;; amdgpu-corpus repo=ROCm/rccl kind=compiled arch=gfx942 opt=O3
	.text
	.amdgcn_target "amdgcn-amd-amdhsa--gfx942"
	.amdhsa_code_object_version 6
	.p2align	2                               ; -- Begin function _ZN12_GLOBAL__N_17runRingIa7FuncSumIaE7ProtoLLLi0ELi1ELi0ELb0EEEviiP15ncclDevWorkColl
	.type	_ZN12_GLOBAL__N_17runRingIa7FuncSumIaE7ProtoLLLi0ELi1ELi0ELb0EEEviiP15ncclDevWorkColl,@function
_ZN12_GLOBAL__N_17runRingIa7FuncSumIaE7ProtoLLLi0ELi1ELi0ELb0EEEviiP15ncclDevWorkColl: ; @_ZN12_GLOBAL__N_17runRingIa7FuncSumIaE7ProtoLLLi0ELi1ELi0ELb0EEEviiP15ncclDevWorkColl
; %bb.0:
	s_waitcnt vmcnt(0) expcnt(0) lgkmcnt(0)
	s_or_saveexec_b64 s[0:1], -1
	scratch_store_dword off, v63, s32 offset:88 ; 4-byte Folded Spill
	s_mov_b64 exec, s[0:1]
	scratch_store_dword off, v40, s32 offset:84 ; 4-byte Folded Spill
	scratch_store_dword off, v41, s32 offset:80 ; 4-byte Folded Spill
	;; [unrolled: 1-line block ×21, first 2 shown]
	scratch_store_dword off, a38, s32       ; 4-byte Folded Spill
	v_writelane_b32 v63, s34, 0
	v_writelane_b32 v63, s35, 1
	;; [unrolled: 1-line block ×22, first 2 shown]
	s_nop 1
	v_writelane_b32 v63, s31, 22
	s_trap 2
	flat_load_dword v9, v[2:3]
	flat_load_dwordx4 v[22:25], v[2:3] offset:72
	flat_load_dwordx2 v[4:5], v[2:3] offset:88
	v_mov_b32_e32 v16, v1
	ds_read_b32 v1, v0
	ds_read_b64 v[18:19], v0
                                        ; implicit-def: $vgpr12_vgpr13
                                        ; implicit-def: $agpr4_agpr5
	s_waitcnt lgkmcnt(0)
	v_readfirstlane_b32 s50, v1
	s_waitcnt vmcnt(0)
	v_not_b32_sdwa v8, v9 dst_sel:DWORD dst_unused:UNUSED_PAD src0_sel:BYTE_0
	v_add_u32_sdwa v6, v9, v8 dst_sel:DWORD dst_unused:UNUSED_PAD src0_sel:BYTE_1 src1_sel:DWORD
	v_ashrrev_i32_e32 v10, 31, v6
	v_mul_lo_u32 v11, v25, v6
	v_mad_u64_u32 v[6:7], s[0:1], v24, v6, 0
	v_mul_lo_u32 v10, v24, v10
	v_add3_u32 v7, v7, v10, v11
	v_cmp_ne_u32_sdwa s[0:1], v9, v1 src0_sel:BYTE_0 src1_sel:DWORD
	s_and_saveexec_b64 s[2:3], s[0:1]
	s_xor_b64 s[0:1], exec, s[2:3]
	s_cbranch_execz .LBB0_6
; %bb.1:
	v_cmp_ne_u32_sdwa s[2:3], v9, v1 src0_sel:BYTE_1 src1_sel:DWORD
                                        ; implicit-def: $vgpr12_vgpr13
                                        ; implicit-def: $agpr4_agpr5
	s_and_saveexec_b64 s[4:5], s[2:3]
	s_xor_b64 s[2:3], exec, s[4:5]
	s_cbranch_execz .LBB0_3
; %bb.2:
	flat_load_dwordx2 v[10:11], v[2:3] offset:96
	v_add_u32_e32 v1, v1, v8
	v_ashrrev_i32_e32 v8, 31, v1
	v_mul_lo_u32 v8, v24, v8
	v_mul_lo_u32 v9, v25, v1
	v_mad_u64_u32 v[12:13], s[4:5], v24, v1, v[22:23]
	v_add3_u32 v13, v9, v13, v8
	v_accvgpr_write_b32 a4, v12
	v_accvgpr_write_b32 a5, v13
	s_waitcnt vmcnt(0) lgkmcnt(0)
	v_lshrrev_b64 v[12:13], 21, v[10:11]
.LBB0_3:
	s_andn2_saveexec_b64 s[2:3], s[2:3]
	s_cbranch_execz .LBB0_5
; %bb.4:
	flat_load_dword v1, v[2:3] offset:100
	v_lshl_add_u64 v[8:9], v[6:7], 0, v[22:23]
	v_accvgpr_write_b32 a4, v8
	v_accvgpr_write_b32 a5, v9
	v_mov_b64_e32 v[24:25], v[4:5]
	s_waitcnt vmcnt(0) lgkmcnt(0)
	v_lshrrev_b32_e32 v12, 10, v1
.LBB0_5:
	s_or_b64 exec, exec, s[2:3]
.LBB0_6:
	s_andn2_saveexec_b64 s[0:1], s[0:1]
	s_cbranch_execz .LBB0_8
; %bb.7:
	flat_load_dwordx2 v[12:13], v[2:3] offset:96
	v_mov_b64_e32 v[8:9], 0
	v_accvgpr_write_b32 a4, v8
	v_accvgpr_write_b32 a5, v9
	v_mov_b64_e32 v[24:25], v[22:23]
.LBB0_8:
	s_or_b64 exec, exec, s[0:1]
	flat_load_dwordx4 v[26:29], v[2:3] offset:16
	v_lshl_add_u64 v[4:5], v[4:5], 0, v[22:23]
	v_lshl_add_u64 v[22:23], v[4:5], 0, v[6:7]
	v_cmp_ge_i32_e32 vcc, v0, v16
	s_and_saveexec_b64 s[0:1], vcc
	s_xor_b64 s[0:1], exec, s[0:1]
	s_cbranch_execz .LBB0_41
; %bb.9:
	flat_load_dword v1, v[18:19]
	s_waitcnt vmcnt(0) lgkmcnt(0)
	v_ashrrev_i32_e32 v3, 31, v1
	v_mul_lo_u32 v2, v23, v1
	v_mul_lo_u32 v3, v22, v3
	v_mad_u64_u32 v[4:5], s[2:3], v22, v1, v[26:27]
	v_add3_u32 v5, v2, v5, v3
	v_cmp_ne_u64_e32 vcc, v[28:29], v[4:5]
	s_and_saveexec_b64 s[2:3], vcc
	s_cbranch_execz .LBB0_40
; %bb.10:
	v_mad_u64_u32 v[4:5], s[4:5], v22, v1, 0
	v_sub_u32_e32 v1, v0, v16
	v_accvgpr_read_b32 v7, a5
	v_ashrrev_i32_e32 v0, 31, v1
	v_accvgpr_read_b32 v6, a4
	v_lshrrev_b32_e32 v0, 26, v0
	v_add3_u32 v5, v5, v3, v2
	v_lshl_add_u64 v[2:3], v[28:29], 0, v[6:7]
	v_lshl_add_u64 v[6:7], v[26:27], 0, v[6:7]
	v_add_u32_e32 v0, v1, v0
	v_lshl_add_u64 v[4:5], v[6:7], 0, v[4:5]
	v_and_b32_e32 v6, 0xffffffc0, v0
	v_sub_u32_e32 v18, v1, v6
	v_cmp_gt_i32_e32 vcc, 1, v18
	v_mov_b32_e32 v1, 0
	s_and_saveexec_b64 s[4:5], vcc
; %bb.11:
	v_or_b32_e32 v1, v2, v4
	v_and_b32_e32 v1, 15, v1
	v_cmp_ne_u32_e32 vcc, 0, v1
	s_nop 1
	v_cndmask_b32_e64 v1, 0, 1, vcc
; %bb.12:
	s_or_b64 exec, exec, s[4:5]
	v_ashrrev_i32_e32 v19, 6, v0
	;;#ASMSTART
	;;#ASMEND
	s_nop 0
	v_cmp_ne_u32_e32 vcc, 0, v1
	s_cbranch_vccz .LBB0_14
; %bb.13:
	s_mov_b64 s[14:15], -1
	s_mov_b64 s[10:11], 0
	v_mov_b64_e32 v[6:7], 0
	s_mov_b64 s[4:5], 0
                                        ; implicit-def: $vgpr8_vgpr9
                                        ; implicit-def: $vgpr0_vgpr1
	v_mov_b32_e32 v15, v18
	v_mov_b32_e32 v17, v19
	s_and_saveexec_b64 s[6:7], s[14:15]
	s_cbranch_execnz .LBB0_25
	s_branch .LBB0_34
.LBB0_14:
	v_ashrrev_i32_e32 v0, 31, v25
	v_lshrrev_b32_e32 v0, 21, v0
	v_mov_b32_e32 v1, 0
	v_lshl_add_u64 v[0:1], v[24:25], 0, v[0:1]
	v_ashrrev_i64 v[10:11], 11, v[0:1]
	v_ashrrev_i32_e32 v0, 31, v19
	v_sub_co_u32_e32 v14, vcc, v10, v19
	s_mov_b64 s[14:15], 0
	s_nop 0
	v_subb_co_u32_e32 v15, vcc, v11, v0, vcc
	v_cmp_gt_i64_e32 vcc, 1, v[14:15]
	s_mov_b64 s[4:5], -1
	v_mov_b64_e32 v[6:7], 0
	s_mov_b64 s[10:11], 0
                                        ; implicit-def: $vgpr8_vgpr9
                                        ; implicit-def: $vgpr0_vgpr1
                                        ; implicit-def: $vgpr15
                                        ; implicit-def: $vgpr17
	s_and_saveexec_b64 s[6:7], vcc
	s_cbranch_execz .LBB0_24
; %bb.15:
	v_lshlrev_b64 v[0:1], 11, v[10:11]
	v_cmp_ne_u64_e32 vcc, v[24:25], v[0:1]
	v_mov_b64_e32 v[6:7], 0
                                        ; implicit-def: $vgpr8_vgpr9
                                        ; implicit-def: $vgpr15
                                        ; implicit-def: $vgpr17
	s_and_saveexec_b64 s[4:5], vcc
	s_cbranch_execz .LBB0_23
; %bb.16:
	v_sub_co_u32_e32 v6, vcc, v24, v0
	v_mov_b32_e32 v9, 0
	s_nop 0
	v_subb_co_u32_e32 v7, vcc, v25, v1, vcc
	v_ashrrev_i32_e32 v8, 31, v7
	v_lshrrev_b32_e32 v8, 22, v8
	v_lshl_add_u64 v[10:11], v[6:7], 0, v[8:9]
	v_ashrrev_i64 v[16:17], 10, v[10:11]
	v_and_b32_e32 v10, 0xfffffc00, v10
	v_lshl_add_u64 v[12:13], v[10:11], 0, v[0:1]
	v_sub_co_u32_e32 v10, vcc, v6, v10
	s_nop 1
	v_subb_co_u32_e32 v11, vcc, v7, v11, vcc
	v_cmp_lt_i64_e32 vcc, 15, v[10:11]
	s_and_saveexec_b64 s[10:11], vcc
; %bb.17:
	v_and_b32_e32 v8, 15, v24
	v_sub_co_u32_e32 v10, vcc, v10, v8
	v_lshl_add_u64 v[16:17], v[16:17], 0, 1
	s_nop 0
	v_subbrev_co_u32_e32 v11, vcc, 0, v11, vcc
	v_lshl_add_u64 v[12:13], v[10:11], 0, v[12:13]
	v_mov_b64_e32 v[10:11], v[8:9]
; %bb.18:
	s_or_b64 exec, exec, s[10:11]
	v_lshlrev_b32_e32 v8, 6, v14
	v_sub_u32_e32 v8, v18, v8
	v_ashrrev_i32_e32 v9, 31, v8
	v_lshrrev_b32_e32 v9, 26, v9
	v_add_u32_e32 v9, v8, v9
	v_ashrrev_i32_e32 v14, 6, v9
	v_and_b32_e32 v9, 0xffffffc0, v9
	v_sub_u32_e32 v20, v8, v9
	v_lshlrev_b32_e32 v8, 4, v20
	v_lshl_add_u32 v8, v14, 10, v8
	v_ashrrev_i32_e32 v9, 31, v8
	v_sub_co_u32_e32 v6, vcc, v6, v8
	s_mov_b64 s[16:17], -1
	s_nop 0
	v_subb_co_u32_e32 v7, vcc, v7, v9, vcc
	v_cmp_gt_i64_e32 vcc, 16, v[6:7]
	v_mov_b64_e32 v[6:7], 0
                                        ; implicit-def: $vgpr24_vgpr25
                                        ; implicit-def: $vgpr15
                                        ; implicit-def: $vgpr17
	s_and_saveexec_b64 s[10:11], vcc
	s_cbranch_execz .LBB0_22
; %bb.19:
	v_cmp_ne_u64_e32 vcc, 0, v[10:11]
	v_mov_b64_e32 v[6:7], 0
                                        ; implicit-def: $vgpr15
                                        ; implicit-def: $vgpr17
	s_and_saveexec_b64 s[16:17], vcc
; %bb.20:
	v_sub_u32_e32 v6, v14, v16
	v_lshl_add_u32 v6, v6, 6, v20
	v_ashrrev_i32_e32 v7, 31, v6
	v_lshrrev_b32_e32 v7, 26, v7
	v_add_u32_e32 v7, v6, v7
	v_and_b32_e32 v14, 0xffffffc0, v7
	s_mov_b64 s[14:15], exec
	v_sub_u32_e32 v15, v6, v14
	v_ashrrev_i32_e32 v17, 6, v7
	v_mov_b64_e32 v[6:7], v[12:13]
; %bb.21:
	s_or_b64 exec, exec, s[16:17]
	s_xor_b64 s[16:17], exec, -1
	s_and_b64 s[14:15], s[14:15], exec
	v_mov_b64_e32 v[24:25], v[10:11]
.LBB0_22:
	s_or_b64 exec, exec, s[10:11]
	s_and_b64 s[10:11], s[16:17], exec
	s_and_b64 s[14:15], s[14:15], exec
.LBB0_23:
	s_or_b64 exec, exec, s[4:5]
	s_xor_b64 s[4:5], exec, -1
	s_and_b64 s[10:11], s[10:11], exec
	s_and_b64 s[14:15], s[14:15], exec
.LBB0_24:
	s_or_b64 exec, exec, s[6:7]
	s_and_saveexec_b64 s[6:7], s[14:15]
	s_cbranch_execz .LBB0_34
.LBB0_25:
	v_ashrrev_i32_e32 v10, 31, v25
	v_lshrrev_b32_e32 v10, 23, v10
	v_mov_b32_e32 v11, 0
	v_lshl_add_u64 v[10:11], v[24:25], 0, v[10:11]
	v_ashrrev_i64 v[12:13], 9, v[10:11]
	v_ashrrev_i32_e32 v11, 31, v17
	v_sub_co_u32_e32 v10, vcc, v12, v17
	s_nop 1
	v_subb_co_u32_e32 v11, vcc, v13, v11, vcc
	v_cmp_gt_i64_e32 vcc, 1, v[10:11]
	s_and_saveexec_b64 s[14:15], vcc
	s_xor_b64 s[14:15], exec, s[14:15]
	s_cbranch_execz .LBB0_31
; %bb.26:
	v_lshlrev_b64 v[12:13], 9, v[12:13]
	v_cmp_ne_u64_e32 vcc, v[24:25], v[12:13]
	s_and_saveexec_b64 s[16:17], vcc
	s_cbranch_execz .LBB0_30
; %bb.27:
	v_lshlrev_b32_e32 v10, 6, v10
	v_sub_co_u32_e32 v16, vcc, v24, v12
	v_sub_u32_e32 v10, v15, v10
	s_nop 0
	v_subb_co_u32_e32 v17, vcc, v25, v13, vcc
	v_ashrrev_i32_e32 v11, 31, v10
	v_cmp_gt_i64_e32 vcc, v[16:17], v[10:11]
	s_and_b64 exec, exec, vcc
	s_cbranch_execz .LBB0_30
; %bb.28:
	v_lshl_add_u64 v[6:7], v[12:13], 0, v[6:7]
	v_lshl_add_u64 v[6:7], v[6:7], 0, v[10:11]
	;; [unrolled: 1-line block ×3, first 2 shown]
	flat_load_ubyte v10, v[10:11]
	v_lshl_add_u64 v[6:7], v[6:7], 0, v[4:5]
	s_and_b64 vcc, exec, -1
	s_waitcnt vmcnt(0) lgkmcnt(0)
	flat_store_byte v[6:7], v10 nt
.LBB0_29:                               ; =>This Inner Loop Header: Depth=1
	s_mov_b64 vcc, vcc
	s_cbranch_vccnz .LBB0_29
.LBB0_30:
	s_or_b64 exec, exec, s[16:17]
                                        ; implicit-def: $vgpr17
                                        ; implicit-def: $vgpr15
                                        ; implicit-def: $vgpr6_vgpr7
.LBB0_31:
	s_andn2_saveexec_b64 s[14:15], s[14:15]
	s_cbranch_execz .LBB0_34
; %bb.32:
	v_lshl_add_u32 v10, v17, 9, v15
	v_ashrrev_i32_e32 v11, 31, v10
	v_lshl_add_u64 v[10:11], v[6:7], 0, v[10:11]
	v_lshl_add_u64 v[6:7], v[10:11], 0, v[4:5]
	;; [unrolled: 1-line block ×3, first 2 shown]
	s_and_b64 vcc, exec, 0
.LBB0_33:                               ; =>This Inner Loop Header: Depth=1
	flat_load_ubyte v12, v[10:11] nt
	flat_load_ubyte v13, v[10:11] offset:64 nt
	flat_load_ubyte v14, v[10:11] offset:128 nt
	;; [unrolled: 1-line block ×7, first 2 shown]
	s_waitcnt vmcnt(0) lgkmcnt(0)
	flat_store_byte v[6:7], v12 nt
	flat_store_byte v[6:7], v13 offset:64 nt
	flat_store_byte v[6:7], v14 offset:128 nt
	;; [unrolled: 1-line block ×7, first 2 shown]
	s_mov_b64 vcc, vcc
	s_cbranch_vccz .LBB0_33
.LBB0_34:
	s_or_b64 exec, exec, s[6:7]
	s_and_saveexec_b64 s[6:7], s[10:11]
	s_cbranch_execz .LBB0_37
; %bb.35:
	v_lshl_add_u64 v[6:7], v[0:1], 0, v[8:9]
	v_lshl_add_u64 v[0:1], v[6:7], 0, v[4:5]
	v_lshl_add_u64 v[6:7], v[6:7], 0, v[2:3]
	s_and_b64 vcc, exec, 0
.LBB0_36:                               ; =>This Inner Loop Header: Depth=1
	global_load_dwordx4 v[8:11], v[6:7], off nt
	s_waitcnt vmcnt(0)
	global_store_dwordx4 v[0:1], v[8:11], off nt
	s_mov_b64 vcc, vcc
	s_cbranch_vccz .LBB0_36
.LBB0_37:
	s_or_b64 exec, exec, s[6:7]
	s_and_saveexec_b64 s[6:7], s[4:5]
	s_xor_b64 s[6:7], exec, s[6:7]
	s_cbranch_execz .LBB0_40
; %bb.38:
	v_lshlrev_b32_e32 v0, 4, v18
	v_lshl_add_u32 v6, v19, 11, v0
	v_ashrrev_i32_e32 v7, 31, v6
	v_lshl_add_u64 v[0:1], v[4:5], 0, v[6:7]
	v_lshl_add_u64 v[2:3], v[2:3], 0, v[6:7]
	s_and_b64 vcc, exec, 0
.LBB0_39:                               ; =>This Inner Loop Header: Depth=1
	global_load_dwordx4 v[4:7], v[2:3], off nt
	global_load_dwordx4 v[8:11], v[2:3], off offset:1024 nt
	s_waitcnt vmcnt(0)
	global_store_dwordx4 v[0:1], v[4:7], off nt
	global_store_dwordx4 v[0:1], v[8:11], off offset:1024 nt
	s_mov_b64 vcc, vcc
	s_cbranch_vccz .LBB0_39
.LBB0_40:
	s_or_b64 exec, exec, s[2:3]
                                        ; implicit-def: $vgpr24_vgpr25
                                        ; implicit-def: $agpr4_agpr5
                                        ; implicit-def: $vgpr12_vgpr13
                                        ; implicit-def: $vgpr22_vgpr23
                                        ; implicit-def: $vgpr0
                                        ; implicit-def: $vgpr16
                                        ; implicit-def: $vgpr18_vgpr19
                                        ; implicit-def: $vgpr31
                                        ; implicit-def: $vgpr28_vgpr29
                                        ; implicit-def: $vgpr2_vgpr3
.LBB0_41:
	s_andn2_saveexec_b64 s[16:17], s[0:1]
	s_cbranch_execz .LBB0_349
; %bb.42:
	flat_load_ushort v5, v[2:3] offset:8
	flat_load_dword v4, v[2:3] offset:4
	s_load_dword s0, s[8:9], 0x0
	v_mov_b32_e32 v7, 0
	v_ashrrev_i32_e32 v1, 31, v0
	v_lshrrev_b32_e32 v8, 26, v1
	s_mov_b32 s2, 0
	s_waitcnt lgkmcnt(0)
	s_cmp_lt_u32 s12, s0
	s_cselect_b32 s0, 12, 18
	s_add_u32 s0, s8, s0
	s_addc_u32 s1, s9, 0
	global_load_ushort v10, v7, s[0:1]
	s_trap 2
	ds_read_b32 v6, v0
	v_mov_b64_e32 v[14:15], 0
	s_waitcnt lgkmcnt(0)
	v_cmp_gt_i32_e32 vcc, 0, v6
	s_and_b64 vcc, exec, vcc
	s_waitcnt vmcnt(0)
	v_lshrrev_b64 v[2:3], 31, v[4:5]
	v_and_b32_e32 v5, 3, v2
	v_add_u32_e32 v2, v0, v8
	v_and_b32_e32 v2, 0xffffffc0, v2
	v_sub_u32_e32 v4, v0, v2
	v_cmp_eq_u32_e64 s[0:1], 0, v4
	s_cbranch_vccnz .LBB0_44
; %bb.43:
	s_trap 2
	ds_read_b64 v[2:3], v0
	v_lshlrev_b64 v[8:9], 3, v[6:7]
	v_and_b32_e32 v7, 0xffff, v5
	s_movk_i32 s2, 0xa8
	s_waitcnt lgkmcnt(0)
	v_lshl_add_u64 v[2:3], v[2:3], 0, v[8:9]
	flat_load_dwordx2 v[2:3], v[2:3]
	s_waitcnt vmcnt(0) lgkmcnt(0)
	v_mad_u64_u32 v[2:3], s[2:3], v7, s2, v[2:3]
	flat_load_dwordx2 a[14:15], v[2:3] offset:504
	flat_load_dwordx2 v[32:33], v[2:3] offset:608
	s_mov_b64 s[2:3], 0x1f8
	v_lshl_add_u64 v[2:3], v[2:3], 0, s[2:3]
	v_cndmask_b32_e64 v21, 0, v3, s[0:1]
	v_cndmask_b32_e64 v20, 0, v2, s[0:1]
	s_mov_b32 s2, 1
	s_branch .LBB0_45
.LBB0_44:
	v_mov_b64_e32 v[20:21], v[14:15]
                                        ; implicit-def: $vgpr32_vgpr33
                                        ; implicit-def: $agpr14_agpr15
.LBB0_45:
	s_trap 2
	ds_read_b32 v2, v0
	s_waitcnt lgkmcnt(0)
	v_cmp_gt_i32_e32 vcc, 0, v2
	s_cbranch_vccnz .LBB0_47
; %bb.46:
	s_trap 2
	ds_read_b64 v[8:9], v0
	v_mov_b32_e32 v3, 0
	v_lshlrev_b64 v[2:3], 3, v[2:3]
	v_and_b32_e32 v5, 0xffff, v5
	s_movk_i32 s0, 0xa8
	s_waitcnt lgkmcnt(0)
	v_lshl_add_u64 v[2:3], v[8:9], 0, v[2:3]
	flat_load_dwordx2 v[2:3], v[2:3]
	v_cmp_eq_u32_e32 vcc, 0, v4
	s_waitcnt vmcnt(0) lgkmcnt(0)
	v_mad_u64_u32 v[2:3], s[0:1], v5, s0, v[2:3]
	flat_load_dwordx2 v[34:35], v[2:3]
	flat_load_dwordx2 v[58:59], v[2:3] offset:104
	v_cndmask_b32_e32 v15, 0, v3, vcc
	v_cndmask_b32_e32 v14, 0, v2, vcc
	s_branch .LBB0_48
.LBB0_47:
                                        ; implicit-def: $vgpr58_vgpr59
                                        ; implicit-def: $vgpr34_vgpr35
.LBB0_48:
	v_subrev_u32_e32 v2, 64, v16
	v_cmp_le_i32_e32 vcc, v2, v0
	v_cmp_gt_i32_e64 s[0:1], s2, v4
	v_mov_b64_e32 v[2:3], 0
	s_and_b64 s[18:19], vcc, s[0:1]
	v_mov_b64_e32 v[38:39], v[2:3]
                                        ; implicit-def: $vgpr36_vgpr37
	s_and_saveexec_b64 s[0:1], s[18:19]
	s_cbranch_execz .LBB0_50
; %bb.49:
	flat_load_dwordx2 v[38:39], v[20:21] offset:56
	flat_load_dwordx2 v[36:37], v[20:21] offset:104
.LBB0_50:
	s_or_b64 exec, exec, s[0:1]
	v_cmp_gt_i32_e64 s[0:1], s2, v0
	v_mov_b64_e32 v[48:49], v[2:3]
                                        ; implicit-def: $vgpr52_vgpr53
	s_and_saveexec_b64 s[2:3], s[0:1]
	s_cbranch_execz .LBB0_52
; %bb.51:
	flat_load_dwordx2 v[48:49], v[14:15] offset:56
	s_waitcnt vmcnt(0) lgkmcnt(0)
	flat_load_dwordx2 v[52:53], v[48:49] sc0 sc1
	s_waitcnt vmcnt(0)
	flat_load_dwordx4 v[2:5], v[14:15] offset:96
.LBB0_52:
	s_or_b64 exec, exec, s[2:3]
	v_cmp_ne_u64_e32 vcc, 0, v[24:25]
	v_mov_b64_e32 v[50:51], 0
	s_and_saveexec_b64 s[20:21], vcc
	s_cbranch_execz .LBB0_325
; %bb.53:
	v_ashrrev_i32_e32 v7, 31, v6
	v_lshrrev_b32_e32 v7, 29, v7
	v_add_u32_e32 v6, v6, v7
	v_mov_b32_e32 v41, 0
	v_ashrrev_i32_e32 v62, 7, v6
	v_lshlrev_b32_e32 v6, 4, v12
	v_mov_b32_e32 v9, v41
	v_and_b32_e32 v8, 0x1fffff0, v6
	v_cvt_f64_u32_e32 v[6:7], 0
	v_accvgpr_write_b32 a17, v9
	v_ldexp_f64 v[6:7], v[6:7], 32
	v_accvgpr_write_b32 a16, v8
	v_cvt_f64_u32_e32 v[8:9], v8
	v_add_f64 v[6:7], v[6:7], v[8:9]
	v_accvgpr_write_b32 a19, v7
	v_accvgpr_write_b32 a18, v6
	v_and_b32_e32 v6, 63, v31
	v_ashrrev_i32_e32 v17, 31, v16
	v_cmp_eq_u32_e64 s[8:9], 0, v6
	v_lshrrev_b32_e32 v6, 26, v17
	v_add_u32_e32 v6, v16, v6
	v_accvgpr_write_b32 a12, v20
	v_ashrrev_i32_e32 v6, 6, v6
	v_accvgpr_write_b32 a13, v21
	v_ashrrev_i32_e32 v7, 31, v6
	v_lshlrev_b32_e32 v20, 3, v0
	v_accvgpr_write_b32 a21, v7
	v_ashrrev_i32_e32 v21, 31, v20
	v_accvgpr_write_b32 a20, v6
	v_lshl_add_u64 v[6:7], v[26:27], 0, v[20:21]
	v_accvgpr_write_b32 a25, v7
	v_accvgpr_write_b32 a24, v6
	v_lshl_add_u64 v[6:7], v[28:29], 0, v[20:21]
	v_accvgpr_read_b32 v9, a5
	v_accvgpr_read_b32 v8, a4
	v_accvgpr_write_b32 a27, v7
	v_accvgpr_write_b32 a26, v6
	v_lshl_add_u64 v[6:7], v[6:7], 0, v[8:9]
	v_accvgpr_write_b32 a29, v7
	v_accvgpr_write_b32 a28, v6
	v_lshlrev_b32_e32 v6, 3, v6
	v_accvgpr_write_b32 a1, v10
	v_cmp_ne_u32_sdwa s[24:25], v10, v16 src0_sel:WORD_0 src1_sel:DWORD
	v_accvgpr_write_b32 a30, v6
	v_and_b32_e32 v6, 0x1fffff, v12
	s_waitcnt vmcnt(0) lgkmcnt(0)
	v_lshl_add_u64 v[10:11], v[0:1], 4, v[34:35]
	v_accvgpr_write_b32 a10, v14
	s_mov_b32 s26, 0
	v_lshlrev_b32_e32 v56, 3, v16
	s_cmp_lt_i32 s50, 3
	v_accvgpr_write_b32 a6, v26
	v_lshlrev_b32_e32 v6, 7, v6
	v_accvgpr_write_b32 a33, v11
	v_mov_b64_e32 v[42:43], 0
	v_accvgpr_mov_b32 a35, a5
	v_accvgpr_write_b32 a23, v21
	v_accvgpr_write_b32 a11, v15
	s_mov_b64 s[22:23], 0
	v_cmp_ne_u64_e64 s[2:3], 0, v[48:49]
	v_cmp_ne_u64_e64 s[4:5], 0, v[2:3]
	v_cmp_ne_u32_e64 s[6:7], 64, v16
	v_accvgpr_write_b32 a0, v31
	s_mov_b32 s27, 1
	v_ashrrev_i32_e32 v57, 31, v56
	s_cselect_b64 s[28:29], -1, 0
	v_cmp_ne_u64_e64 s[10:11], 0, v[38:39]
	s_add_i32 s51, s50, -2
	v_accvgpr_write_b32 a7, v27
	v_accvgpr_write_b32 a8, v28
	;; [unrolled: 1-line block ×4, first 2 shown]
	v_mov_b64_e32 v[6:7], v[24:25]
	v_lshlrev_b32_e32 v27, 6, v16
	v_accvgpr_write_b32 a32, v10
	v_lshlrev_b64 v[24:25], 4, v[16:17]
	s_movk_i32 s52, 0x2710
	s_mov_b64 s[30:31], 0x7ffffff8
	v_accvgpr_mov_b32 a34, a4
	v_mov_b32_e32 v17, 0
	v_mov_b64_e32 v[50:51], v[42:43]
	v_accvgpr_write_b32 a22, v20
	s_branch .LBB0_55
.LBB0_54:                               ;   in Loop: Header=BB0_55 Depth=1
	s_or_b64 exec, exec, s[12:13]
	v_accvgpr_read_b32 v8, a16
	v_accvgpr_read_b32 v6, a34
	;; [unrolled: 1-line block ×4, first 2 shown]
	v_lshl_add_u64 v[6:7], v[6:7], 0, v[8:9]
	v_accvgpr_write_b32 a35, v7
	v_accvgpr_write_b32 a34, v6
	v_accvgpr_read_b32 v1, a30
	v_accvgpr_read_b32 v6, a31
	;; [unrolled: 1-line block ×3, first 2 shown]
	v_add_u32_e32 v1, v1, v6
	v_accvgpr_read_b32 v7, a3
	v_accvgpr_read_b32 v11, a29
	v_lshl_add_u64 v[42:43], v[42:43], 0, v[8:9]
	v_accvgpr_read_b32 v6, a2
	v_lshl_add_u64 v[10:11], v[10:11], 0, v[8:9]
	v_cmp_ge_u64_e32 vcc, v[42:43], v[6:7]
	v_accvgpr_write_b32 a29, v11
	v_lshl_add_u64 v[32:33], v[32:33], 0, 1
	v_accvgpr_write_b32 a30, v1
	s_or_b64 s[22:23], vcc, s[22:23]
	v_accvgpr_write_b32 a28, v10
	s_andn2_b64 exec, exec, s[22:23]
	s_cbranch_execz .LBB0_324
.LBB0_55:                               ; =>This Loop Header: Depth=1
                                        ;     Child Loop BB0_63 Depth 2
                                        ;     Child Loop BB0_80 Depth 2
	;; [unrolled: 1-line block ×9, first 2 shown]
                                        ;       Child Loop BB0_190 Depth 3
                                        ;       Child Loop BB0_206 Depth 3
	;; [unrolled: 1-line block ×3, first 2 shown]
                                        ;         Child Loop BB0_223 Depth 4
                                        ;       Child Loop BB0_257 Depth 3
                                        ;       Child Loop BB0_181 Depth 3
                                        ;     Child Loop BB0_274 Depth 2
                                        ;       Child Loop BB0_278 Depth 3
                                        ;     Child Loop BB0_312 Depth 2
	flat_load_dword v8, v[18:19]
	v_sub_co_u32_e32 v1, vcc, v6, v42
	v_accvgpr_read_b32 v11, a5
	v_accvgpr_write_b32 a2, v6
	v_subb_co_u32_e32 v9, vcc, v7, v43, vcc
	v_accvgpr_read_b32 v10, a4
	v_accvgpr_write_b32 a3, v7
	v_accvgpr_read_b32 v6, a18
	v_lshl_add_u64 v[54:55], v[42:43], 0, v[10:11]
	v_cvt_f64_u32_e32 v[10:11], v9
	v_accvgpr_read_b32 v7, a19
	v_cvt_f64_u32_e32 v[12:13], v1
	v_ldexp_f64 v[10:11], v[10:11], 32
	v_max_f64 v[6:7], v[6:7], v[6:7]
	v_add_f64 v[10:11], v[10:11], v[12:13]
	v_min_f64 v[6:7], v[6:7], v[10:11]
	v_cvt_i32_f64_e32 v1, v[6:7]
	v_max_i32_e32 v1, 0, v1
	v_add_u32_e32 v6, 7, v1
	v_ashrrev_i32_e32 v7, 31, v6
	v_lshrrev_b32_e32 v7, 29, v7
	v_accvgpr_read_b32 v31, a9
	v_add_u32_e32 v9, v6, v7
	v_accvgpr_read_b32 v30, a8
	v_accvgpr_read_b32 v29, a7
	;; [unrolled: 1-line block ×3, first 2 shown]
	v_lshl_add_u64 v[14:15], v[30:31], 0, v[54:55]
	v_accvgpr_write_b32 a36, v54
	v_accvgpr_write_b32 a37, v55
	s_waitcnt vmcnt(0) lgkmcnt(0)
	v_ashrrev_i32_e32 v11, 31, v8
	v_mul_lo_u32 v10, v23, v8
	v_mad_u64_u32 v[6:7], s[12:13], v22, v8, v[54:55]
	v_mul_lo_u32 v11, v22, v11
	v_add3_u32 v7, v10, v7, v11
	v_lshl_add_u64 v[6:7], v[28:29], 0, v[6:7]
	v_cmp_ne_u64_e32 vcc, v[14:15], v[6:7]
	v_ashrrev_i32_e32 v6, 3, v9
	v_accvgpr_write_b32 a38, v6
	s_and_saveexec_b64 s[12:13], vcc
	s_xor_b64 s[14:15], exec, s[12:13]
	s_cbranch_execz .LBB0_121
; %bb.56:                               ;   in Loop: Header=BB0_55 Depth=1
	s_and_saveexec_b64 s[12:13], s[2:3]
	s_cbranch_execz .LBB0_72
; %bb.57:                               ;   in Loop: Header=BB0_55 Depth=1
	v_lshl_add_u64 v[6:7], v[4:5], 0, 1
	v_lshl_add_u64 v[12:13], v[52:53], 0, 8
	v_cmp_lt_u64_e32 vcc, v[12:13], v[6:7]
	s_and_saveexec_b64 s[34:35], vcc
	s_cbranch_execz .LBB0_69
; %bb.58:                               ;   in Loop: Header=BB0_55 Depth=1
	s_sleep 1
	flat_load_dwordx2 v[52:53], v[48:49] sc1
	v_cmp_eq_u32_e32 vcc, 0, v17
	s_and_saveexec_b64 s[36:37], vcc
	s_cbranch_execz .LBB0_68
; %bb.59:                               ;   in Loop: Header=BB0_55 Depth=1
	v_cndmask_b32_e64 v5, 0, 1, vcc
	s_mov_b64 s[38:39], 0
                                        ; implicit-def: $sgpr40_sgpr41
	s_branch .LBB0_63
.LBB0_60:                               ;   in Loop: Header=BB0_63 Depth=2
	s_or_b64 exec, exec, s[48:49]
	s_orn2_b64 s[46:47], s[46:47], exec
.LBB0_61:                               ;   in Loop: Header=BB0_63 Depth=2
	s_or_b64 exec, exec, s[44:45]
	s_xor_b64 vcc, s[46:47], -1
	s_andn2_b64 s[40:41], s[40:41], exec
	s_and_b64 vcc, vcc, exec
	s_or_b64 s[40:41], s[40:41], vcc
.LBB0_62:                               ;   in Loop: Header=BB0_63 Depth=2
	s_or_b64 exec, exec, s[42:43]
	s_and_b64 vcc, exec, s[40:41]
	s_or_b64 s[38:39], vcc, s[38:39]
	s_andn2_b64 exec, exec, s[38:39]
	s_cbranch_execz .LBB0_67
.LBB0_63:                               ;   Parent Loop BB0_55 Depth=1
                                        ; =>  This Inner Loop Header: Depth=2
	s_waitcnt vmcnt(0) lgkmcnt(0)
	v_lshl_add_u64 v[12:13], v[52:53], 0, 8
	v_cmp_lt_u64_e32 vcc, v[12:13], v[6:7]
	v_mov_b32_e32 v17, 0
	s_or_b64 s[40:41], s[40:41], exec
	s_and_saveexec_b64 s[42:43], vcc
	s_cbranch_execz .LBB0_62
; %bb.64:                               ;   in Loop: Header=BB0_63 Depth=2
	s_sleep 1
	flat_load_dwordx2 v[52:53], v[48:49] sc1
	v_add_u32_e32 v5, 1, v5
	v_cmp_eq_u32_e32 vcc, s52, v5
	s_mov_b64 s[46:47], -1
	v_mov_b32_e32 v17, 0
	s_and_saveexec_b64 s[44:45], vcc
	s_cbranch_execz .LBB0_61
; %bb.65:                               ;   in Loop: Header=BB0_63 Depth=2
	s_trap 2
	ds_read_b64 v[12:13], v0
	v_mov_b32_e32 v5, 0
	v_mov_b32_e32 v17, 0
	s_waitcnt vmcnt(0) lgkmcnt(0)
	flat_load_dword v9, v[12:13] sc0 sc1
	s_waitcnt vmcnt(0) lgkmcnt(0)
	buffer_inv sc0 sc1
	v_cmp_ne_u32_e32 vcc, 0, v9
	s_and_saveexec_b64 s[48:49], vcc
	s_cbranch_execz .LBB0_60
; %bb.66:                               ;   in Loop: Header=BB0_63 Depth=2
	v_mov_b32_e32 v17, 1
	s_xor_b64 s[46:47], exec, -1
	ds_write_b32 v0, v9
	s_trap 2
	s_branch .LBB0_60
.LBB0_67:                               ;   in Loop: Header=BB0_55 Depth=1
	s_or_b64 exec, exec, s[38:39]
.LBB0_68:                               ;   in Loop: Header=BB0_55 Depth=1
	s_or_b64 exec, exec, s[36:37]
.LBB0_69:                               ;   in Loop: Header=BB0_55 Depth=1
	s_or_b64 exec, exec, s[34:35]
	s_and_saveexec_b64 s[34:35], s[4:5]
	s_cbranch_execz .LBB0_71
; %bb.70:                               ;   in Loop: Header=BB0_55 Depth=1
	v_and_b32_e32 v40, 0x7ffffff8, v4
	v_cmp_eq_u64_e32 vcc, s[30:31], v[40:41]
	v_accvgpr_read_b32 v5, a38
	v_and_b32_e32 v4, 7, v4
	v_cndmask_b32_e32 v5, v5, v62, vcc
	v_lshlrev_b32_e32 v12, 4, v5
	v_ashrrev_i32_e32 v13, 31, v12
	v_mad_u64_u32 v[4:5], vcc, v4, 24, v[2:3]
	flat_store_dwordx2 v[4:5], v[12:13] offset:8 sc0 sc1
	s_waitcnt vmcnt(0)
.LBB0_71:                               ;   in Loop: Header=BB0_55 Depth=1
	s_or_b64 exec, exec, s[34:35]
	v_mov_b64_e32 v[4:5], v[6:7]
.LBB0_72:                               ;   in Loop: Header=BB0_55 Depth=1
	s_or_b64 exec, exec, s[12:13]
	v_mad_u64_u32 v[8:9], s[12:13], v22, v8, 0
	v_add3_u32 v9, v9, v11, v10
	s_and_saveexec_b64 s[12:13], s[6:7]
	s_cbranch_execz .LBB0_91
; %bb.73:                               ;   in Loop: Header=BB0_55 Depth=1
	s_and_saveexec_b64 vcc, s[24:25]
	s_xor_b64 s[34:35], exec, vcc
	s_cbranch_execz .LBB0_88
; %bb.74:                               ;   in Loop: Header=BB0_55 Depth=1
	s_and_saveexec_b64 s[36:37], s[8:9]
	s_cbranch_execz .LBB0_87
; %bb.75:                               ;   in Loop: Header=BB0_55 Depth=1
	s_mov_b64 s[40:41], exec
	v_mbcnt_lo_u32_b32 v6, s40, 0
	v_mbcnt_hi_u32_b32 v6, s41, v6
	v_cmp_eq_u32_e32 vcc, 0, v6
	s_waitcnt lgkmcnt(0)
	s_and_saveexec_b64 s[38:39], vcc
	s_cbranch_execz .LBB0_77
; %bb.76:                               ;   in Loop: Header=BB0_55 Depth=1
	s_bcnt1_i32_b64 vcc_lo, s[40:41]
	v_mov_b32_e32 v40, vcc_lo
	ds_add_u64 v0, v[40:41]
	s_trap 2
.LBB0_77:                               ;   in Loop: Header=BB0_55 Depth=1
	s_or_b64 exec, exec, s[38:39]
	s_trap 2
	ds_read_b64 v[6:7], v0
	v_accvgpr_read_b32 v10, a20
	v_accvgpr_read_b32 v11, a21
	v_lshl_add_u64 v[50:51], v[50:51], 0, v[10:11]
	s_waitcnt lgkmcnt(0)
	v_cmp_lt_u64_e32 vcc, v[6:7], v[50:51]
	s_and_saveexec_b64 s[38:39], vcc
	s_cbranch_execz .LBB0_86
; %bb.78:                               ;   in Loop: Header=BB0_55 Depth=1
	s_mov_b32 s53, 0
	s_mov_b64 s[40:41], 0
                                        ; implicit-def: $sgpr42_sgpr43
                                        ; implicit-def: $sgpr44_sgpr45
	s_branch .LBB0_80
.LBB0_79:                               ;   in Loop: Header=BB0_80 Depth=2
	s_or_b64 exec, exec, s[48:49]
	s_and_b64 vcc, exec, vcc
	s_or_b64 s[40:41], vcc, s[40:41]
	s_andn2_b64 vcc, s[42:43], exec
	s_and_b64 s[42:43], s[44:45], exec
	s_or_b64 s[42:43], vcc, s[42:43]
	s_andn2_b64 exec, exec, s[40:41]
	s_cbranch_execz .LBB0_84
.LBB0_80:                               ;   Parent Loop BB0_55 Depth=1
                                        ; =>  This Inner Loop Header: Depth=2
	s_add_i32 s53, s53, 1
	s_cmpk_lg_i32 s53, 0x2710
	s_cselect_b64 s[46:47], -1, 0
	s_and_b64 vcc, exec, s[46:47]
                                        ; implicit-def: $sgpr48_sgpr49
	s_cbranch_vccnz .LBB0_82
; %bb.81:                               ;   in Loop: Header=BB0_80 Depth=2
	s_trap 2
	ds_read_b64 v[6:7], v0
	s_andn2_b64 s[46:47], s[46:47], exec
	s_mov_b32 s53, 0
	s_mov_b64 s[48:49], -1
	s_waitcnt vmcnt(0) lgkmcnt(0)
	flat_load_dword v6, v[6:7] sc0 sc1
	s_waitcnt vmcnt(0) lgkmcnt(0)
	buffer_inv sc0 sc1
	v_cmp_eq_u32_e32 vcc, 0, v6
	s_and_b64 vcc, vcc, exec
	s_or_b64 s[46:47], s[46:47], vcc
.LBB0_82:                               ;   in Loop: Header=BB0_80 Depth=2
	s_andn2_b64 s[44:45], s[44:45], exec
	s_and_b64 s[48:49], s[48:49], exec
	s_mov_b64 vcc, -1
	s_or_b64 s[44:45], s[44:45], s[48:49]
	s_and_saveexec_b64 s[48:49], s[46:47]
	s_cbranch_execz .LBB0_79
; %bb.83:                               ;   in Loop: Header=BB0_80 Depth=2
	s_sleep 1
	s_trap 2
	ds_read_b64 v[6:7], v0
	s_andn2_b64 s[44:45], s[44:45], exec
	s_waitcnt lgkmcnt(0)
	v_cmp_ge_u64_e32 vcc, v[6:7], v[50:51]
	s_orn2_b64 vcc, vcc, exec
	s_branch .LBB0_79
.LBB0_84:                               ;   in Loop: Header=BB0_55 Depth=1
	s_or_b64 exec, exec, s[40:41]
	s_and_saveexec_b64 vcc, s[42:43]
	s_xor_b64 vcc, exec, vcc
	s_cbranch_execz .LBB0_86
; %bb.85:                               ;   in Loop: Header=BB0_55 Depth=1
	v_mov_b32_e32 v6, 1
	ds_write_b32 v0, v6
	s_trap 2
.LBB0_86:                               ;   in Loop: Header=BB0_55 Depth=1
	s_or_b64 exec, exec, s[38:39]
	;;#ASMSTART
	s_wakeup
	;;#ASMEND
.LBB0_87:                               ;   in Loop: Header=BB0_55 Depth=1
	s_or_b64 exec, exec, s[36:37]
.LBB0_88:                               ;   in Loop: Header=BB0_55 Depth=1
	s_andn2_saveexec_b64 vcc, s[34:35]
	s_cbranch_execz .LBB0_90
; %bb.89:                               ;   in Loop: Header=BB0_55 Depth=1
	s_waitcnt lgkmcnt(0)
	s_barrier
.LBB0_90:                               ;   in Loop: Header=BB0_55 Depth=1
	s_or_b64 exec, exec, vcc
.LBB0_91:                               ;   in Loop: Header=BB0_55 Depth=1
	s_or_b64 exec, exec, s[12:13]
	v_sub_u32_e32 v7, v1, v20
	v_cmp_lt_i32_e32 vcc, 0, v7
	v_mov_b32_e32 v6, v0
	s_and_saveexec_b64 s[34:35], vcc
	s_cbranch_execz .LBB0_117
; %bb.92:                               ;   in Loop: Header=BB0_55 Depth=1
	v_accvgpr_read_b32 v14, a24
	v_and_b32_e32 v6, 7, v58
	v_accvgpr_read_b32 v15, a25
	v_mul_lo_u32 v12, v6, v62
	v_lshl_add_u64 v[8:9], v[14:15], 0, v[8:9]
	v_accvgpr_read_b32 v14, a32
	v_ashrrev_i32_e32 v13, 31, v12
	v_accvgpr_read_b32 v15, a33
	v_mov_b32_e32 v10, v41
	v_mov_b32_e32 v11, v58
	v_lshl_add_u64 v[12:13], v[12:13], 4, v[14:15]
	v_accvgpr_read_b32 v14, a34
	v_lshl_add_u64 v[10:11], v[10:11], 0, s[26:27]
	s_mov_b64 s[36:37], 0
	v_accvgpr_read_b32 v20, a30
	v_accvgpr_read_b32 v15, a35
	v_mov_b32_e32 v6, v0
	s_branch .LBB0_94
.LBB0_93:                               ;   in Loop: Header=BB0_94 Depth=2
	v_sub_u32_e32 v7, v7, v56
	v_cmp_gt_i32_e32 vcc, 1, v7
	v_add_u32_e32 v6, v6, v16
	v_lshl_add_u64 v[14:15], v[14:15], 0, v[56:57]
	v_add_u32_e32 v20, v20, v27
	s_or_b64 s[36:37], vcc, s[36:37]
	v_lshl_add_u64 v[12:13], v[12:13], 0, v[24:25]
	s_andn2_b64 exec, exec, s[36:37]
	s_cbranch_execz .LBB0_116
.LBB0_94:                               ;   Parent Loop BB0_55 Depth=1
                                        ; =>  This Inner Loop Header: Depth=2
	v_accvgpr_read_b32 v29, a27
	v_accvgpr_read_b32 v28, a26
	v_lshl_add_u64 v[54:55], v[28:29], 0, v[14:15]
	v_and_b32_e32 v30, -4, v54
	v_mov_b32_e32 v31, v55
	global_load_dword v21, v[30:31], off nt
	v_min_u32_e32 v40, 8, v7
	v_and_b32_e32 v54, 3, v54
	v_mov_b32_e32 v55, 0
	v_lshl_add_u64 v[44:45], v[54:55], 0, v[40:41]
	v_cmp_lt_u64_e32 vcc, 4, v[44:45]
	v_mov_b32_e32 v26, 0
	s_and_saveexec_b64 s[12:13], vcc
	s_cbranch_execz .LBB0_96
; %bb.95:                               ;   in Loop: Header=BB0_94 Depth=2
	global_load_dword v26, v[30:31], off offset:4 nt
.LBB0_96:                               ;   in Loop: Header=BB0_94 Depth=2
	s_or_b64 exec, exec, s[12:13]
	v_cmp_lt_u64_e32 vcc, 8, v[44:45]
	s_and_saveexec_b64 s[12:13], vcc
	s_cbranch_execz .LBB0_98
; %bb.97:                               ;   in Loop: Header=BB0_94 Depth=2
	global_load_dword v55, v[30:31], off offset:8 nt
.LBB0_98:                               ;   in Loop: Header=BB0_94 Depth=2
	s_or_b64 exec, exec, s[12:13]
	s_waitcnt vmcnt(0)
	v_alignbit_b32 v54, v26, v21, v20
	v_alignbit_b32 v55, v55, v26, v20
	v_cmp_lt_u32_e32 vcc, 7, v7
	v_or_b32_e32 v44, v10, v54
	v_or_b32_e32 v46, v10, v55
	v_mov_b32_e32 v45, v11
	v_mov_b32_e32 v47, v11
	v_cndmask_b32_e64 v21, 0, 1, vcc
	global_store_dwordx4 v[12:13], v[44:47], off
	;;#ASMSTART
	;;#ASMEND
	v_lshl_add_u64 v[30:31], v[8:9], 0, v[14:15]
	v_cmp_ne_u32_e64 s[12:13], 0, v21
	s_cmp_lg_u64 s[12:13], exec
	s_mov_b64 s[12:13], -1
	s_cbranch_scc0 .LBB0_108
; %bb.99:                               ;   in Loop: Header=BB0_94 Depth=2
	v_cmp_ne_u32_e64 s[12:13], 1, v7
	flat_store_byte v[30:31], v54
	s_and_saveexec_b64 s[38:39], s[12:13]
	s_cbranch_execnz .LBB0_110
; %bb.100:                              ;   in Loop: Header=BB0_94 Depth=2
	s_or_b64 exec, exec, s[38:39]
	v_cmp_lt_u32_e64 s[12:13], 2, v7
	s_and_saveexec_b64 s[38:39], s[12:13]
	s_cbranch_execnz .LBB0_111
.LBB0_101:                              ;   in Loop: Header=BB0_94 Depth=2
	s_or_b64 exec, exec, s[38:39]
	v_cmp_lt_u32_e64 s[12:13], 3, v7
	s_and_saveexec_b64 s[38:39], s[12:13]
	s_cbranch_execnz .LBB0_112
.LBB0_102:                              ;   in Loop: Header=BB0_94 Depth=2
	s_or_b64 exec, exec, s[38:39]
	v_cmp_lt_u32_e64 s[12:13], 4, v7
	s_and_saveexec_b64 s[38:39], s[12:13]
	s_cbranch_execnz .LBB0_113
.LBB0_103:                              ;   in Loop: Header=BB0_94 Depth=2
	s_or_b64 exec, exec, s[38:39]
	v_cmp_lt_u32_e64 s[12:13], 5, v7
	s_and_saveexec_b64 s[38:39], s[12:13]
	s_cbranch_execnz .LBB0_114
.LBB0_104:                              ;   in Loop: Header=BB0_94 Depth=2
	s_or_b64 exec, exec, s[38:39]
	v_cmp_lt_u32_e64 s[12:13], 6, v7
	s_and_saveexec_b64 s[38:39], s[12:13]
	s_cbranch_execnz .LBB0_115
.LBB0_105:                              ;   in Loop: Header=BB0_94 Depth=2
	s_or_b64 exec, exec, s[38:39]
	s_and_saveexec_b64 s[12:13], vcc
	s_cbranch_execz .LBB0_107
.LBB0_106:                              ;   in Loop: Header=BB0_94 Depth=2
	v_lshrrev_b32_e32 v21, 24, v55
	flat_store_byte v[30:31], v21 offset:7
.LBB0_107:                              ;   in Loop: Header=BB0_94 Depth=2
	s_or_b64 exec, exec, s[12:13]
	s_mov_b64 s[12:13], 0
.LBB0_108:                              ;   in Loop: Header=BB0_94 Depth=2
	s_and_b64 vcc, exec, s[12:13]
	s_cbranch_vccz .LBB0_93
; %bb.109:                              ;   in Loop: Header=BB0_94 Depth=2
	global_store_dwordx2 v[30:31], v[54:55], off
	s_branch .LBB0_93
.LBB0_110:                              ;   in Loop: Header=BB0_94 Depth=2
	v_lshrrev_b32_e32 v21, 8, v54
	flat_store_byte v[30:31], v21 offset:1
	s_or_b64 exec, exec, s[38:39]
	v_cmp_lt_u32_e64 s[12:13], 2, v7
	s_and_saveexec_b64 s[38:39], s[12:13]
	s_cbranch_execz .LBB0_101
.LBB0_111:                              ;   in Loop: Header=BB0_94 Depth=2
	flat_store_byte_d16_hi v[30:31], v54 offset:2
	s_or_b64 exec, exec, s[38:39]
	v_cmp_lt_u32_e64 s[12:13], 3, v7
	s_and_saveexec_b64 s[38:39], s[12:13]
	s_cbranch_execz .LBB0_102
.LBB0_112:                              ;   in Loop: Header=BB0_94 Depth=2
	v_lshrrev_b32_e32 v21, 24, v54
	flat_store_byte v[30:31], v21 offset:3
	s_or_b64 exec, exec, s[38:39]
	v_cmp_lt_u32_e64 s[12:13], 4, v7
	s_and_saveexec_b64 s[38:39], s[12:13]
	s_cbranch_execz .LBB0_103
.LBB0_113:                              ;   in Loop: Header=BB0_94 Depth=2
	flat_store_byte v[30:31], v55 offset:4
	s_or_b64 exec, exec, s[38:39]
	v_cmp_lt_u32_e64 s[12:13], 5, v7
	s_and_saveexec_b64 s[38:39], s[12:13]
	s_cbranch_execz .LBB0_104
.LBB0_114:                              ;   in Loop: Header=BB0_94 Depth=2
	v_lshrrev_b32_e32 v21, 8, v55
	flat_store_byte v[30:31], v21 offset:5
	s_or_b64 exec, exec, s[38:39]
	v_cmp_lt_u32_e64 s[12:13], 6, v7
	s_and_saveexec_b64 s[38:39], s[12:13]
	s_cbranch_execz .LBB0_105
.LBB0_115:                              ;   in Loop: Header=BB0_94 Depth=2
	flat_store_byte_d16_hi v[30:31], v55 offset:6
	s_or_b64 exec, exec, s[38:39]
	s_and_saveexec_b64 s[12:13], vcc
	s_cbranch_execnz .LBB0_106
	s_branch .LBB0_107
.LBB0_116:                              ;   in Loop: Header=BB0_55 Depth=1
	s_or_b64 exec, exec, s[36:37]
	v_accvgpr_read_b32 v20, a22
	v_accvgpr_read_b32 v21, a23
.LBB0_117:                              ;   in Loop: Header=BB0_55 Depth=1
	s_or_b64 exec, exec, s[34:35]
	v_and_b32_e32 v40, 0x7ffffff8, v58
	v_cmp_eq_u64_e32 vcc, s[30:31], v[40:41]
	v_cmp_gt_i32_e64 s[12:13], v62, v6
	s_and_b64 vcc, vcc, s[12:13]
	s_and_saveexec_b64 s[12:13], vcc
	s_cbranch_execz .LBB0_120
; %bb.118:                              ;   in Loop: Header=BB0_55 Depth=1
	v_and_b32_e32 v7, 7, v58
	v_mul_lo_u32 v8, v7, v62
	v_ashrrev_i32_e32 v9, 31, v8
	v_ashrrev_i32_e32 v7, 31, v6
	v_lshlrev_b64 v[8:9], 4, v[8:9]
	v_mov_b32_e32 v10, v41
	v_mov_b32_e32 v11, v58
	v_lshl_add_u64 v[8:9], v[6:7], 4, v[8:9]
	v_lshl_add_u64 v[12:13], v[10:11], 0, s[26:27]
	;; [unrolled: 1-line block ×3, first 2 shown]
	s_mov_b64 s[34:35], 0
.LBB0_119:                              ;   Parent Loop BB0_55 Depth=1
                                        ; =>  This Inner Loop Header: Depth=2
	v_add_u32_e32 v6, v6, v16
	v_mov_b32_e32 v14, v12
	v_mov_b32_e32 v15, v13
	v_cmp_ge_i32_e32 vcc, v6, v62
	global_store_dwordx4 v[8:9], v[12:15], off
	s_or_b64 s[34:35], vcc, s[34:35]
	v_lshl_add_u64 v[8:9], v[8:9], 0, v[24:25]
	s_andn2_b64 exec, exec, s[34:35]
	s_cbranch_execnz .LBB0_119
.LBB0_120:                              ;   in Loop: Header=BB0_55 Depth=1
	s_or_b64 exec, exec, s[12:13]
.LBB0_121:                              ;   in Loop: Header=BB0_55 Depth=1
	s_andn2_saveexec_b64 s[14:15], s[14:15]
	s_cbranch_execz .LBB0_169
; %bb.122:                              ;   in Loop: Header=BB0_55 Depth=1
	s_and_saveexec_b64 s[12:13], s[2:3]
	s_cbranch_execz .LBB0_138
; %bb.123:                              ;   in Loop: Header=BB0_55 Depth=1
	v_lshl_add_u64 v[6:7], v[4:5], 0, 1
	s_waitcnt vmcnt(0) lgkmcnt(0)
	v_lshl_add_u64 v[8:9], v[52:53], 0, 8
	v_cmp_lt_u64_e32 vcc, v[8:9], v[6:7]
	s_and_saveexec_b64 s[34:35], vcc
	s_cbranch_execz .LBB0_135
; %bb.124:                              ;   in Loop: Header=BB0_55 Depth=1
	s_sleep 1
	flat_load_dwordx2 v[52:53], v[48:49] sc1
	v_cmp_eq_u32_e32 vcc, 0, v17
	s_and_saveexec_b64 s[36:37], vcc
	s_cbranch_execz .LBB0_134
; %bb.125:                              ;   in Loop: Header=BB0_55 Depth=1
	v_cndmask_b32_e64 v5, 0, 1, vcc
	s_mov_b64 s[38:39], 0
                                        ; implicit-def: $sgpr40_sgpr41
	s_branch .LBB0_129
.LBB0_126:                              ;   in Loop: Header=BB0_129 Depth=2
	s_or_b64 exec, exec, s[48:49]
	s_orn2_b64 s[46:47], s[46:47], exec
.LBB0_127:                              ;   in Loop: Header=BB0_129 Depth=2
	s_or_b64 exec, exec, s[44:45]
	s_xor_b64 vcc, s[46:47], -1
	s_andn2_b64 s[40:41], s[40:41], exec
	s_and_b64 vcc, vcc, exec
	s_or_b64 s[40:41], s[40:41], vcc
.LBB0_128:                              ;   in Loop: Header=BB0_129 Depth=2
	s_or_b64 exec, exec, s[42:43]
	s_and_b64 vcc, exec, s[40:41]
	s_or_b64 s[38:39], vcc, s[38:39]
	s_andn2_b64 exec, exec, s[38:39]
	s_cbranch_execz .LBB0_133
.LBB0_129:                              ;   Parent Loop BB0_55 Depth=1
                                        ; =>  This Inner Loop Header: Depth=2
	s_waitcnt vmcnt(0) lgkmcnt(0)
	v_lshl_add_u64 v[8:9], v[52:53], 0, 8
	v_cmp_lt_u64_e32 vcc, v[8:9], v[6:7]
	v_mov_b32_e32 v17, 0
	s_or_b64 s[40:41], s[40:41], exec
	s_and_saveexec_b64 s[42:43], vcc
	s_cbranch_execz .LBB0_128
; %bb.130:                              ;   in Loop: Header=BB0_129 Depth=2
	s_sleep 1
	flat_load_dwordx2 v[52:53], v[48:49] sc1
	v_add_u32_e32 v5, 1, v5
	v_cmp_eq_u32_e32 vcc, s52, v5
	s_mov_b64 s[46:47], -1
	v_mov_b32_e32 v17, 0
	s_and_saveexec_b64 s[44:45], vcc
	s_cbranch_execz .LBB0_127
; %bb.131:                              ;   in Loop: Header=BB0_129 Depth=2
	s_trap 2
	ds_read_b64 v[8:9], v0
	v_mov_b32_e32 v5, 0
	v_mov_b32_e32 v17, 0
	s_waitcnt vmcnt(0) lgkmcnt(0)
	flat_load_dword v8, v[8:9] sc0 sc1
	s_waitcnt vmcnt(0) lgkmcnt(0)
	buffer_inv sc0 sc1
	v_cmp_ne_u32_e32 vcc, 0, v8
	s_and_saveexec_b64 s[48:49], vcc
	s_cbranch_execz .LBB0_126
; %bb.132:                              ;   in Loop: Header=BB0_129 Depth=2
	v_mov_b32_e32 v17, 1
	s_xor_b64 s[46:47], exec, -1
	ds_write_b32 v0, v8
	s_trap 2
	s_branch .LBB0_126
.LBB0_133:                              ;   in Loop: Header=BB0_55 Depth=1
	s_or_b64 exec, exec, s[38:39]
.LBB0_134:                              ;   in Loop: Header=BB0_55 Depth=1
	s_or_b64 exec, exec, s[36:37]
.LBB0_135:                              ;   in Loop: Header=BB0_55 Depth=1
	s_or_b64 exec, exec, s[34:35]
	s_and_saveexec_b64 s[34:35], s[4:5]
	s_cbranch_execz .LBB0_137
; %bb.136:                              ;   in Loop: Header=BB0_55 Depth=1
	v_and_b32_e32 v40, 0x7ffffff8, v4
	v_cmp_eq_u64_e32 vcc, s[30:31], v[40:41]
	v_accvgpr_read_b32 v5, a38
	v_and_b32_e32 v4, 7, v4
	v_cndmask_b32_e32 v5, v5, v62, vcc
	v_lshlrev_b32_e32 v8, 4, v5
	v_ashrrev_i32_e32 v9, 31, v8
	v_mad_u64_u32 v[4:5], vcc, v4, 24, v[2:3]
	flat_store_dwordx2 v[4:5], v[8:9] offset:8 sc0 sc1
	s_waitcnt vmcnt(0)
.LBB0_137:                              ;   in Loop: Header=BB0_55 Depth=1
	s_or_b64 exec, exec, s[34:35]
	v_mov_b64_e32 v[4:5], v[6:7]
.LBB0_138:                              ;   in Loop: Header=BB0_55 Depth=1
	s_or_b64 exec, exec, s[12:13]
	s_and_saveexec_b64 s[12:13], s[6:7]
	s_cbranch_execz .LBB0_157
; %bb.139:                              ;   in Loop: Header=BB0_55 Depth=1
	s_and_saveexec_b64 vcc, s[24:25]
	s_xor_b64 s[34:35], exec, vcc
	s_cbranch_execz .LBB0_154
; %bb.140:                              ;   in Loop: Header=BB0_55 Depth=1
	s_and_saveexec_b64 s[36:37], s[8:9]
	s_cbranch_execz .LBB0_153
; %bb.141:                              ;   in Loop: Header=BB0_55 Depth=1
	s_mov_b64 s[40:41], exec
	v_mbcnt_lo_u32_b32 v6, s40, 0
	v_mbcnt_hi_u32_b32 v6, s41, v6
	v_cmp_eq_u32_e32 vcc, 0, v6
	s_waitcnt lgkmcnt(0)
	s_and_saveexec_b64 s[38:39], vcc
	s_cbranch_execz .LBB0_143
; %bb.142:                              ;   in Loop: Header=BB0_55 Depth=1
	s_bcnt1_i32_b64 vcc_lo, s[40:41]
	v_mov_b32_e32 v40, vcc_lo
	ds_add_u64 v0, v[40:41]
	s_trap 2
.LBB0_143:                              ;   in Loop: Header=BB0_55 Depth=1
	s_or_b64 exec, exec, s[38:39]
	s_trap 2
	ds_read_b64 v[6:7], v0
	v_accvgpr_read_b32 v8, a20
	v_accvgpr_read_b32 v9, a21
	v_lshl_add_u64 v[50:51], v[50:51], 0, v[8:9]
	s_waitcnt lgkmcnt(0)
	v_cmp_lt_u64_e32 vcc, v[6:7], v[50:51]
	s_and_saveexec_b64 s[38:39], vcc
	s_cbranch_execz .LBB0_152
; %bb.144:                              ;   in Loop: Header=BB0_55 Depth=1
	s_mov_b32 s53, 0
	s_mov_b64 s[40:41], 0
                                        ; implicit-def: $sgpr42_sgpr43
                                        ; implicit-def: $sgpr44_sgpr45
	s_branch .LBB0_146
.LBB0_145:                              ;   in Loop: Header=BB0_146 Depth=2
	s_or_b64 exec, exec, s[48:49]
	s_and_b64 vcc, exec, vcc
	s_or_b64 s[40:41], vcc, s[40:41]
	s_andn2_b64 vcc, s[42:43], exec
	s_and_b64 s[42:43], s[44:45], exec
	s_or_b64 s[42:43], vcc, s[42:43]
	s_andn2_b64 exec, exec, s[40:41]
	s_cbranch_execz .LBB0_150
.LBB0_146:                              ;   Parent Loop BB0_55 Depth=1
                                        ; =>  This Inner Loop Header: Depth=2
	s_add_i32 s53, s53, 1
	s_cmpk_lg_i32 s53, 0x2710
	s_cselect_b64 s[46:47], -1, 0
	s_and_b64 vcc, exec, s[46:47]
                                        ; implicit-def: $sgpr48_sgpr49
	s_cbranch_vccnz .LBB0_148
; %bb.147:                              ;   in Loop: Header=BB0_146 Depth=2
	s_trap 2
	ds_read_b64 v[6:7], v0
	s_andn2_b64 s[46:47], s[46:47], exec
	s_mov_b32 s53, 0
	s_mov_b64 s[48:49], -1
	s_waitcnt vmcnt(0) lgkmcnt(0)
	flat_load_dword v6, v[6:7] sc0 sc1
	s_waitcnt vmcnt(0) lgkmcnt(0)
	buffer_inv sc0 sc1
	v_cmp_eq_u32_e32 vcc, 0, v6
	s_and_b64 vcc, vcc, exec
	s_or_b64 s[46:47], s[46:47], vcc
.LBB0_148:                              ;   in Loop: Header=BB0_146 Depth=2
	s_andn2_b64 s[44:45], s[44:45], exec
	s_and_b64 s[48:49], s[48:49], exec
	s_mov_b64 vcc, -1
	s_or_b64 s[44:45], s[44:45], s[48:49]
	s_and_saveexec_b64 s[48:49], s[46:47]
	s_cbranch_execz .LBB0_145
; %bb.149:                              ;   in Loop: Header=BB0_146 Depth=2
	s_sleep 1
	s_trap 2
	ds_read_b64 v[6:7], v0
	s_andn2_b64 s[44:45], s[44:45], exec
	s_waitcnt lgkmcnt(0)
	v_cmp_ge_u64_e32 vcc, v[6:7], v[50:51]
	s_orn2_b64 vcc, vcc, exec
	s_branch .LBB0_145
.LBB0_150:                              ;   in Loop: Header=BB0_55 Depth=1
	s_or_b64 exec, exec, s[40:41]
	s_and_saveexec_b64 vcc, s[42:43]
	s_xor_b64 vcc, exec, vcc
	s_cbranch_execz .LBB0_152
; %bb.151:                              ;   in Loop: Header=BB0_55 Depth=1
	v_mov_b32_e32 v6, 1
	ds_write_b32 v0, v6
	s_trap 2
.LBB0_152:                              ;   in Loop: Header=BB0_55 Depth=1
	s_or_b64 exec, exec, s[38:39]
	;;#ASMSTART
	s_wakeup
	;;#ASMEND
.LBB0_153:                              ;   in Loop: Header=BB0_55 Depth=1
	s_or_b64 exec, exec, s[36:37]
.LBB0_154:                              ;   in Loop: Header=BB0_55 Depth=1
	s_andn2_saveexec_b64 vcc, s[34:35]
	s_cbranch_execz .LBB0_156
; %bb.155:                              ;   in Loop: Header=BB0_55 Depth=1
	s_waitcnt lgkmcnt(0)
	s_barrier
.LBB0_156:                              ;   in Loop: Header=BB0_55 Depth=1
	s_or_b64 exec, exec, vcc
.LBB0_157:                              ;   in Loop: Header=BB0_55 Depth=1
	s_or_b64 exec, exec, s[12:13]
	v_sub_u32_e32 v20, v1, v20
	v_cmp_lt_i32_e32 vcc, 0, v20
	v_and_b32_e32 v7, 7, v58
	v_mov_b32_e32 v6, v0
	s_and_saveexec_b64 s[12:13], vcc
	s_cbranch_execz .LBB0_165
; %bb.158:                              ;   in Loop: Header=BB0_55 Depth=1
	v_mul_lo_u32 v10, v7, v62
	v_accvgpr_read_b32 v12, a32
	v_ashrrev_i32_e32 v11, 31, v10
	v_accvgpr_read_b32 v13, a33
	v_mov_b32_e32 v8, v41
	v_mov_b32_e32 v9, v58
	v_lshl_add_u64 v[10:11], v[10:11], 4, v[12:13]
	v_accvgpr_read_b32 v12, a28
	v_lshl_add_u64 v[8:9], v[8:9], 0, s[26:27]
	s_mov_b64 s[34:35], 0
	v_accvgpr_read_b32 v21, a30
	v_accvgpr_read_b32 v13, a29
	v_mov_b32_e32 v6, v0
	s_branch .LBB0_160
.LBB0_159:                              ;   in Loop: Header=BB0_160 Depth=2
	s_or_b64 exec, exec, s[36:37]
	s_waitcnt vmcnt(0)
	v_alignbit_b32 v14, v30, v26, v21
	v_alignbit_b32 v15, v31, v30, v21
	v_sub_u32_e32 v20, v20, v56
	v_or_b32_e32 v44, v8, v14
	v_or_b32_e32 v46, v8, v15
	v_mov_b32_e32 v45, v9
	v_mov_b32_e32 v47, v9
	v_cmp_gt_i32_e32 vcc, 1, v20
	global_store_dwordx4 v[10:11], v[44:47], off
	v_add_u32_e32 v6, v6, v16
	v_lshl_add_u64 v[12:13], v[12:13], 0, v[56:57]
	v_add_u32_e32 v21, v21, v27
	s_or_b64 s[34:35], vcc, s[34:35]
	v_lshl_add_u64 v[10:11], v[10:11], 0, v[24:25]
	s_andn2_b64 exec, exec, s[34:35]
	s_cbranch_execz .LBB0_164
.LBB0_160:                              ;   Parent Loop BB0_55 Depth=1
                                        ; =>  This Inner Loop Header: Depth=2
	v_and_b32_e32 v14, -4, v12
	v_mov_b32_e32 v15, v13
	global_load_dword v26, v[14:15], off nt
	v_min_u32_e32 v40, 8, v20
	v_and_b32_e32 v30, 3, v12
	v_mov_b32_e32 v31, 0
	v_lshl_add_u64 v[54:55], v[30:31], 0, v[40:41]
	v_cmp_lt_u64_e32 vcc, 4, v[54:55]
	v_mov_b32_e32 v30, 0
	s_and_saveexec_b64 s[36:37], vcc
	s_cbranch_execz .LBB0_162
; %bb.161:                              ;   in Loop: Header=BB0_160 Depth=2
	global_load_dword v30, v[14:15], off offset:4 nt
.LBB0_162:                              ;   in Loop: Header=BB0_160 Depth=2
	s_or_b64 exec, exec, s[36:37]
	v_cmp_lt_u64_e32 vcc, 8, v[54:55]
	s_and_saveexec_b64 s[36:37], vcc
	s_cbranch_execz .LBB0_159
; %bb.163:                              ;   in Loop: Header=BB0_160 Depth=2
	global_load_dword v31, v[14:15], off offset:8 nt
	s_branch .LBB0_159
.LBB0_164:                              ;   in Loop: Header=BB0_55 Depth=1
	s_or_b64 exec, exec, s[34:35]
.LBB0_165:                              ;   in Loop: Header=BB0_55 Depth=1
	s_or_b64 exec, exec, s[12:13]
	v_and_b32_e32 v40, 0x7ffffff8, v58
	v_cmp_eq_u64_e32 vcc, s[30:31], v[40:41]
	v_cmp_gt_i32_e64 s[12:13], v62, v6
	s_and_b64 vcc, vcc, s[12:13]
	s_mov_b64 s[12:13], exec
	v_accvgpr_read_b32 v20, a22
	s_and_b64 vcc, s[12:13], vcc
	v_accvgpr_read_b32 v21, a23
	s_mov_b64 exec, vcc
	s_cbranch_execz .LBB0_168
; %bb.166:                              ;   in Loop: Header=BB0_55 Depth=1
	v_mul_lo_u32 v8, v7, v62
	v_ashrrev_i32_e32 v9, 31, v8
	v_ashrrev_i32_e32 v7, 31, v6
	v_lshlrev_b64 v[8:9], 4, v[8:9]
	v_mov_b32_e32 v10, v41
	v_mov_b32_e32 v11, v58
	v_lshl_add_u64 v[8:9], v[6:7], 4, v[8:9]
	v_lshl_add_u64 v[12:13], v[10:11], 0, s[26:27]
	v_lshl_add_u64 v[8:9], v[34:35], 0, v[8:9]
	s_mov_b64 s[34:35], 0
.LBB0_167:                              ;   Parent Loop BB0_55 Depth=1
                                        ; =>  This Inner Loop Header: Depth=2
	v_add_u32_e32 v6, v6, v16
	v_mov_b32_e32 v14, v12
	v_mov_b32_e32 v15, v13
	v_cmp_ge_i32_e32 vcc, v6, v62
	global_store_dwordx4 v[8:9], v[12:15], off
	s_or_b64 s[34:35], vcc, s[34:35]
	v_lshl_add_u64 v[8:9], v[8:9], 0, v[24:25]
	s_andn2_b64 exec, exec, s[34:35]
	s_cbranch_execnz .LBB0_167
.LBB0_168:                              ;   in Loop: Header=BB0_55 Depth=1
	s_or_b64 exec, exec, s[12:13]
.LBB0_169:                              ;   in Loop: Header=BB0_55 Depth=1
	s_or_b64 exec, exec, s[14:15]
	v_lshl_add_u64 v[30:31], v[58:59], 0, 1
	s_andn2_b64 vcc, exec, s[28:29]
	v_sub_u32_e32 v26, v1, v20
	s_cbranch_vccnz .LBB0_171
; %bb.170:                              ;   in Loop: Header=BB0_55 Depth=1
	v_sub_u32_e32 v1, v1, v20
	s_cbranch_execz .LBB0_172
	s_branch .LBB0_269
.LBB0_171:                              ;   in Loop: Header=BB0_55 Depth=1
                                        ; implicit-def: $vgpr1
.LBB0_172:                              ;   in Loop: Header=BB0_55 Depth=1
	v_accvgpr_read_b32 v6, a24
	v_accvgpr_read_b32 v8, a36
	;; [unrolled: 1-line block ×4, first 2 shown]
	v_cmp_lt_i32_e64 s[12:13], 0, v26
	v_lshl_add_u64 v[44:45], v[6:7], 0, v[8:9]
	v_add_u16_e32 v21, 1, v58
	s_mov_b32 s53, 1
.LBB0_173:                              ;   Parent Loop BB0_55 Depth=1
                                        ; =>  This Loop Header: Depth=2
                                        ;       Child Loop BB0_190 Depth 3
                                        ;       Child Loop BB0_206 Depth 3
	;; [unrolled: 1-line block ×3, first 2 shown]
                                        ;         Child Loop BB0_223 Depth 4
                                        ;       Child Loop BB0_257 Depth 3
                                        ;       Child Loop BB0_181 Depth 3
	s_sub_i32 s14, s50, s53
	s_ashr_i32 s15, s14, 31
	s_lshl_b64 s[14:15], s[14:15], 2
	v_lshl_add_u64 v[6:7], v[18:19], 0, s[14:15]
	s_waitcnt vmcnt(0) lgkmcnt(0)
	flat_load_dword v1, v[6:7]
	s_and_saveexec_b64 s[14:15], s[2:3]
	s_cbranch_execnz .LBB0_184
; %bb.174:                              ;   in Loop: Header=BB0_173 Depth=2
	s_or_b64 exec, exec, s[14:15]
	s_and_saveexec_b64 s[14:15], s[6:7]
	s_cbranch_execnz .LBB0_199
.LBB0_175:                              ;   in Loop: Header=BB0_173 Depth=2
	s_or_b64 exec, exec, s[14:15]
	v_mov_b32_e32 v46, v0
	s_and_saveexec_b64 s[34:35], s[12:13]
	s_cbranch_execnz .LBB0_217
.LBB0_176:                              ;   in Loop: Header=BB0_173 Depth=2
	s_or_b64 exec, exec, s[34:35]
	s_and_saveexec_b64 s[14:15], s[6:7]
	s_cbranch_execnz .LBB0_250
.LBB0_177:                              ;   in Loop: Header=BB0_173 Depth=2
	s_or_b64 exec, exec, s[14:15]
	s_and_saveexec_b64 s[14:15], s[10:11]
	s_cbranch_execz .LBB0_179
.LBB0_178:                              ;   in Loop: Header=BB0_173 Depth=2
	v_lshl_add_u64 v[36:37], v[36:37], 0, 1
	flat_store_dwordx2 v[38:39], v[36:37] sc0 sc1
.LBB0_179:                              ;   in Loop: Header=BB0_173 Depth=2
	s_or_b64 exec, exec, s[14:15]
	v_and_b32_e32 v40, 0x7ffffff8, v30
	v_cmp_eq_u64_e32 vcc, s[30:31], v[40:41]
	v_cmp_gt_i32_e64 s[14:15], v62, v46
	s_and_b64 vcc, vcc, s[14:15]
	s_and_saveexec_b64 s[14:15], vcc
	s_cbranch_execz .LBB0_182
; %bb.180:                              ;   in Loop: Header=BB0_173 Depth=2
	s_waitcnt vmcnt(0) lgkmcnt(0)
	v_and_b32_e32 v1, 7, v21
	v_mul_lo_u32 v6, v62, v1
	v_ashrrev_i32_e32 v7, 31, v6
	v_lshlrev_b64 v[6:7], 4, v[6:7]
	v_ashrrev_i32_e32 v47, 31, v46
	v_mov_b32_e32 v8, v41
	v_mov_b32_e32 v9, v30
	v_lshl_add_u64 v[6:7], v[46:47], 4, v[6:7]
	v_lshl_add_u64 v[12:13], v[8:9], 0, s[26:27]
	;; [unrolled: 1-line block ×3, first 2 shown]
	s_mov_b64 s[34:35], 0
.LBB0_181:                              ;   Parent Loop BB0_55 Depth=1
                                        ;     Parent Loop BB0_173 Depth=2
                                        ; =>    This Inner Loop Header: Depth=3
	v_add_u32_e32 v46, v46, v16
	v_mov_b32_e32 v14, v12
	v_mov_b32_e32 v15, v13
	v_cmp_ge_i32_e32 vcc, v46, v62
	global_store_dwordx4 v[6:7], v[12:15], off
	s_or_b64 s[34:35], vcc, s[34:35]
	v_lshl_add_u64 v[6:7], v[6:7], 0, v[24:25]
	s_andn2_b64 exec, exec, s[34:35]
	s_cbranch_execnz .LBB0_181
.LBB0_182:                              ;   in Loop: Header=BB0_173 Depth=2
	s_or_b64 exec, exec, s[14:15]
	s_add_i32 s14, s53, 1
	v_lshl_add_u64 v[32:33], v[32:33], 0, 1
	v_lshl_add_u64 v[30:31], v[30:31], 0, 1
	s_cmp_eq_u32 s53, s51
	v_add_u16_e32 v21, 1, v21
	s_cbranch_scc1 .LBB0_268
; %bb.183:                              ;   in Loop: Header=BB0_173 Depth=2
	s_mov_b32 s53, s14
	s_branch .LBB0_173
.LBB0_184:                              ;   in Loop: Header=BB0_173 Depth=2
	v_lshl_add_u64 v[6:7], v[4:5], 0, 1
	s_waitcnt vmcnt(0) lgkmcnt(0)
	v_lshl_add_u64 v[8:9], v[52:53], 0, 8
	v_cmp_lt_u64_e32 vcc, v[8:9], v[6:7]
	s_and_saveexec_b64 s[34:35], vcc
	s_cbranch_execz .LBB0_196
; %bb.185:                              ;   in Loop: Header=BB0_173 Depth=2
	s_sleep 1
	flat_load_dwordx2 v[52:53], v[48:49] sc1
	v_cmp_eq_u32_e32 vcc, 0, v17
	s_and_saveexec_b64 s[36:37], vcc
	s_cbranch_execz .LBB0_195
; %bb.186:                              ;   in Loop: Header=BB0_173 Depth=2
	v_cndmask_b32_e64 v5, 0, 1, vcc
	s_mov_b64 s[38:39], 0
                                        ; implicit-def: $sgpr40_sgpr41
	s_branch .LBB0_190
.LBB0_187:                              ;   in Loop: Header=BB0_190 Depth=3
	s_or_b64 exec, exec, s[48:49]
	s_orn2_b64 s[46:47], s[46:47], exec
.LBB0_188:                              ;   in Loop: Header=BB0_190 Depth=3
	s_or_b64 exec, exec, s[44:45]
	s_xor_b64 vcc, s[46:47], -1
	s_andn2_b64 s[40:41], s[40:41], exec
	s_and_b64 vcc, vcc, exec
	s_or_b64 s[40:41], s[40:41], vcc
.LBB0_189:                              ;   in Loop: Header=BB0_190 Depth=3
	s_or_b64 exec, exec, s[42:43]
	s_and_b64 vcc, exec, s[40:41]
	s_or_b64 s[38:39], vcc, s[38:39]
	s_andn2_b64 exec, exec, s[38:39]
	s_cbranch_execz .LBB0_194
.LBB0_190:                              ;   Parent Loop BB0_55 Depth=1
                                        ;     Parent Loop BB0_173 Depth=2
                                        ; =>    This Inner Loop Header: Depth=3
	s_waitcnt vmcnt(0) lgkmcnt(0)
	v_lshl_add_u64 v[8:9], v[52:53], 0, 8
	v_cmp_lt_u64_e32 vcc, v[8:9], v[6:7]
	v_mov_b32_e32 v17, 0
	s_or_b64 s[40:41], s[40:41], exec
	s_and_saveexec_b64 s[42:43], vcc
	s_cbranch_execz .LBB0_189
; %bb.191:                              ;   in Loop: Header=BB0_190 Depth=3
	s_sleep 1
	flat_load_dwordx2 v[52:53], v[48:49] sc1
	v_add_u32_e32 v5, 1, v5
	v_cmp_eq_u32_e32 vcc, s52, v5
	s_mov_b64 s[46:47], -1
	v_mov_b32_e32 v17, 0
	s_and_saveexec_b64 s[44:45], vcc
	s_cbranch_execz .LBB0_188
; %bb.192:                              ;   in Loop: Header=BB0_190 Depth=3
	s_trap 2
	ds_read_b64 v[8:9], v0
	v_mov_b32_e32 v5, 0
	v_mov_b32_e32 v17, 0
	s_waitcnt vmcnt(0) lgkmcnt(0)
	flat_load_dword v8, v[8:9] sc0 sc1
	s_waitcnt vmcnt(0) lgkmcnt(0)
	buffer_inv sc0 sc1
	v_cmp_ne_u32_e32 vcc, 0, v8
	s_and_saveexec_b64 s[48:49], vcc
	s_cbranch_execz .LBB0_187
; %bb.193:                              ;   in Loop: Header=BB0_190 Depth=3
	v_mov_b32_e32 v17, 1
	s_xor_b64 s[46:47], exec, -1
	ds_write_b32 v0, v8
	s_trap 2
	s_branch .LBB0_187
.LBB0_194:                              ;   in Loop: Header=BB0_173 Depth=2
	s_or_b64 exec, exec, s[38:39]
.LBB0_195:                              ;   in Loop: Header=BB0_173 Depth=2
	s_or_b64 exec, exec, s[36:37]
.LBB0_196:                              ;   in Loop: Header=BB0_173 Depth=2
	s_or_b64 exec, exec, s[34:35]
	s_and_saveexec_b64 s[34:35], s[4:5]
	s_cbranch_execz .LBB0_198
; %bb.197:                              ;   in Loop: Header=BB0_173 Depth=2
	v_and_b32_e32 v40, 0x7ffffff8, v4
	v_cmp_eq_u64_e32 vcc, s[30:31], v[40:41]
	v_accvgpr_read_b32 v5, a38
	v_and_b32_e32 v4, 7, v4
	v_cndmask_b32_e32 v5, v5, v62, vcc
	v_lshlrev_b32_e32 v8, 4, v5
	v_ashrrev_i32_e32 v9, 31, v8
	v_mad_u64_u32 v[4:5], vcc, v4, 24, v[2:3]
	flat_store_dwordx2 v[4:5], v[8:9] offset:8 sc0 sc1
	s_waitcnt vmcnt(0)
.LBB0_198:                              ;   in Loop: Header=BB0_173 Depth=2
	s_or_b64 exec, exec, s[34:35]
	v_mov_b64_e32 v[4:5], v[6:7]
	s_or_b64 exec, exec, s[14:15]
	s_and_saveexec_b64 s[14:15], s[6:7]
	s_cbranch_execz .LBB0_175
.LBB0_199:                              ;   in Loop: Header=BB0_173 Depth=2
	s_and_saveexec_b64 vcc, s[24:25]
	s_xor_b64 s[34:35], exec, vcc
	s_cbranch_execz .LBB0_214
; %bb.200:                              ;   in Loop: Header=BB0_173 Depth=2
	s_and_saveexec_b64 s[36:37], s[8:9]
	s_cbranch_execz .LBB0_213
; %bb.201:                              ;   in Loop: Header=BB0_173 Depth=2
	s_mov_b64 s[40:41], exec
	v_mbcnt_lo_u32_b32 v6, s40, 0
	v_mbcnt_hi_u32_b32 v6, s41, v6
	v_cmp_eq_u32_e32 vcc, 0, v6
	s_waitcnt lgkmcnt(0)
	s_and_saveexec_b64 s[38:39], vcc
	s_cbranch_execz .LBB0_203
; %bb.202:                              ;   in Loop: Header=BB0_173 Depth=2
	s_bcnt1_i32_b64 vcc_lo, s[40:41]
	v_mov_b32_e32 v40, vcc_lo
	ds_add_u64 v0, v[40:41]
	s_trap 2
.LBB0_203:                              ;   in Loop: Header=BB0_173 Depth=2
	s_or_b64 exec, exec, s[38:39]
	s_trap 2
	ds_read_b64 v[6:7], v0
	v_accvgpr_read_b32 v8, a20
	v_accvgpr_read_b32 v9, a21
	v_lshl_add_u64 v[50:51], v[50:51], 0, v[8:9]
	s_waitcnt lgkmcnt(0)
	v_cmp_lt_u64_e32 vcc, v[6:7], v[50:51]
	s_and_saveexec_b64 s[38:39], vcc
	s_cbranch_execz .LBB0_212
; %bb.204:                              ;   in Loop: Header=BB0_173 Depth=2
	s_mov_b32 s54, 0
	s_mov_b64 s[40:41], 0
                                        ; implicit-def: $sgpr42_sgpr43
                                        ; implicit-def: $sgpr44_sgpr45
	s_branch .LBB0_206
.LBB0_205:                              ;   in Loop: Header=BB0_206 Depth=3
	s_or_b64 exec, exec, s[48:49]
	s_and_b64 vcc, exec, vcc
	s_or_b64 s[40:41], vcc, s[40:41]
	s_andn2_b64 vcc, s[42:43], exec
	s_and_b64 s[42:43], s[44:45], exec
	s_or_b64 s[42:43], vcc, s[42:43]
	s_andn2_b64 exec, exec, s[40:41]
	s_cbranch_execz .LBB0_210
.LBB0_206:                              ;   Parent Loop BB0_55 Depth=1
                                        ;     Parent Loop BB0_173 Depth=2
                                        ; =>    This Inner Loop Header: Depth=3
	s_add_i32 s54, s54, 1
	s_cmpk_lg_i32 s54, 0x2710
	s_cselect_b64 s[46:47], -1, 0
	s_and_b64 vcc, exec, s[46:47]
                                        ; implicit-def: $sgpr48_sgpr49
	s_cbranch_vccnz .LBB0_208
; %bb.207:                              ;   in Loop: Header=BB0_206 Depth=3
	s_trap 2
	ds_read_b64 v[6:7], v0
	s_andn2_b64 s[46:47], s[46:47], exec
	s_mov_b32 s54, 0
	s_mov_b64 s[48:49], -1
	s_waitcnt vmcnt(0) lgkmcnt(0)
	flat_load_dword v6, v[6:7] sc0 sc1
	s_waitcnt vmcnt(0) lgkmcnt(0)
	buffer_inv sc0 sc1
	v_cmp_eq_u32_e32 vcc, 0, v6
	s_and_b64 vcc, vcc, exec
	s_or_b64 s[46:47], s[46:47], vcc
.LBB0_208:                              ;   in Loop: Header=BB0_206 Depth=3
	s_andn2_b64 s[44:45], s[44:45], exec
	s_and_b64 s[48:49], s[48:49], exec
	s_mov_b64 vcc, -1
	s_or_b64 s[44:45], s[44:45], s[48:49]
	s_and_saveexec_b64 s[48:49], s[46:47]
	s_cbranch_execz .LBB0_205
; %bb.209:                              ;   in Loop: Header=BB0_206 Depth=3
	s_sleep 1
	s_trap 2
	ds_read_b64 v[6:7], v0
	s_andn2_b64 s[44:45], s[44:45], exec
	s_waitcnt lgkmcnt(0)
	v_cmp_ge_u64_e32 vcc, v[6:7], v[50:51]
	s_orn2_b64 vcc, vcc, exec
	s_branch .LBB0_205
.LBB0_210:                              ;   in Loop: Header=BB0_173 Depth=2
	s_or_b64 exec, exec, s[40:41]
	s_and_saveexec_b64 vcc, s[42:43]
	s_xor_b64 vcc, exec, vcc
	s_cbranch_execz .LBB0_212
; %bb.211:                              ;   in Loop: Header=BB0_173 Depth=2
	v_mov_b32_e32 v6, 1
	ds_write_b32 v0, v6
	s_trap 2
.LBB0_212:                              ;   in Loop: Header=BB0_173 Depth=2
	s_or_b64 exec, exec, s[38:39]
	;;#ASMSTART
	s_wakeup
	;;#ASMEND
.LBB0_213:                              ;   in Loop: Header=BB0_173 Depth=2
	s_or_b64 exec, exec, s[36:37]
.LBB0_214:                              ;   in Loop: Header=BB0_173 Depth=2
	s_andn2_saveexec_b64 vcc, s[34:35]
	s_cbranch_execz .LBB0_216
; %bb.215:                              ;   in Loop: Header=BB0_173 Depth=2
	s_waitcnt lgkmcnt(0)
	s_barrier
.LBB0_216:                              ;   in Loop: Header=BB0_173 Depth=2
	s_or_b64 exec, exec, vcc
	s_or_b64 exec, exec, s[14:15]
	v_mov_b32_e32 v46, v0
	s_and_saveexec_b64 s[34:35], s[12:13]
	s_cbranch_execz .LBB0_176
.LBB0_217:                              ;   in Loop: Header=BB0_173 Depth=2
	s_waitcnt vmcnt(0) lgkmcnt(0)
	v_ashrrev_i32_e32 v6, 31, v1
	v_mad_u64_u32 v[8:9], s[14:15], v22, v1, v[44:45]
	v_mul_lo_u32 v1, v23, v1
	v_mul_lo_u32 v6, v22, v6
	v_add3_u32 v9, v1, v9, v6
	v_and_b32_e32 v1, 7, v32
	v_mul_lo_u32 v6, v1, v62
	v_accvgpr_read_b32 v10, a14
	v_ashrrev_i32_e32 v7, 31, v6
	v_accvgpr_read_b32 v11, a15
	v_and_b32_e32 v1, 7, v30
	v_lshl_add_u64 v[10:11], v[6:7], 4, v[10:11]
	v_mul_lo_u32 v6, v1, v62
	v_ashrrev_i32_e32 v7, 31, v6
	v_lshl_add_u64 v[54:55], v[6:7], 4, v[34:35]
	v_mov_b32_e32 v6, v41
	v_mov_b32_e32 v7, v30
	v_add_u32_e32 v40, 1, v32
	v_lshl_add_u64 v[6:7], v[6:7], 0, s[26:27]
	s_mov_b64 s[36:37], 0
	v_mov_b32_e32 v20, v26
	v_mov_b32_e32 v46, v0
	s_branch .LBB0_219
.LBB0_218:                              ;   in Loop: Header=BB0_219 Depth=3
	v_sub_u32_e32 v20, v20, v56
	v_cmp_gt_i32_e32 vcc, 1, v20
	v_lshl_add_u64 v[8:9], v[8:9], 0, v[56:57]
	s_or_b64 s[36:37], vcc, s[36:37]
	v_add_u32_e32 v46, v46, v16
	s_andn2_b64 exec, exec, s[36:37]
	s_cbranch_execz .LBB0_249
.LBB0_219:                              ;   Parent Loop BB0_55 Depth=1
                                        ;     Parent Loop BB0_173 Depth=2
                                        ; =>    This Loop Header: Depth=3
                                        ;         Child Loop BB0_223 Depth 4
	v_ashrrev_i32_e32 v47, 31, v46
	v_lshl_add_u64 v[58:59], v[46:47], 4, v[10:11]
	global_load_dwordx4 v[12:15], v[58:59], off nt
	v_cmp_eq_u32_e32 vcc, 0, v17
	s_and_saveexec_b64 s[38:39], vcc
	s_cbranch_execz .LBB0_231
; %bb.220:                              ;   in Loop: Header=BB0_219 Depth=3
	s_waitcnt vmcnt(0)
	v_cmp_ne_u32_e32 vcc, v40, v13
	v_cmp_ne_u32_e64 s[14:15], v40, v15
	s_or_b64 s[14:15], vcc, s[14:15]
	v_mov_b32_e32 v17, 0
	s_and_saveexec_b64 s[40:41], s[14:15]
	s_cbranch_execz .LBB0_230
; %bb.221:                              ;   in Loop: Header=BB0_219 Depth=3
	s_mov_b32 s46, 1
	s_mov_b64 s[42:43], 0
	v_mov_b32_e32 v17, 0
	s_branch .LBB0_223
.LBB0_222:                              ;   in Loop: Header=BB0_223 Depth=4
	s_or_b64 exec, exec, s[44:45]
	s_and_b64 s[14:15], exec, s[14:15]
	s_or_b64 s[42:43], s[14:15], s[42:43]
	s_andn2_b64 exec, exec, s[42:43]
	s_cbranch_execz .LBB0_229
.LBB0_223:                              ;   Parent Loop BB0_55 Depth=1
                                        ;     Parent Loop BB0_173 Depth=2
                                        ;       Parent Loop BB0_219 Depth=3
                                        ; =>      This Inner Loop Header: Depth=4
	global_load_dwordx4 v[12:15], v[58:59], off nt
	s_add_i32 s46, s46, 1
	s_cmpk_lg_i32 s46, 0x2710
	s_cbranch_scc1 .LBB0_227
; %bb.224:                              ;   in Loop: Header=BB0_223 Depth=4
	s_trap 2
	ds_read_b64 v[60:61], v0
	s_waitcnt vmcnt(0) lgkmcnt(0)
	flat_load_dword v1, v[60:61] sc0 sc1
	s_waitcnt vmcnt(0) lgkmcnt(0)
	buffer_inv sc0 sc1
	v_cmp_ne_u32_e32 vcc, 0, v1
	s_and_saveexec_b64 s[14:15], vcc
	s_cbranch_execz .LBB0_226
; %bb.225:                              ;   in Loop: Header=BB0_223 Depth=4
	v_mov_b32_e32 v17, 1
	ds_write_b32 v0, v1
	s_trap 2
.LBB0_226:                              ;   in Loop: Header=BB0_223 Depth=4
	s_or_b64 exec, exec, s[14:15]
	s_mov_b32 s46, 0
	v_mov_b32_e32 v1, v17
	v_cmp_eq_u32_e32 vcc, 0, v1
	s_mov_b64 s[14:15], -1
	s_and_saveexec_b64 s[44:45], vcc
	s_cbranch_execz .LBB0_222
	s_branch .LBB0_228
.LBB0_227:                              ;   in Loop: Header=BB0_223 Depth=4
	v_mov_b32_e32 v1, 0
	v_cmp_eq_u32_e32 vcc, 0, v1
	s_mov_b64 s[14:15], -1
	s_and_saveexec_b64 s[44:45], vcc
	s_cbranch_execz .LBB0_222
.LBB0_228:                              ;   in Loop: Header=BB0_223 Depth=4
	s_waitcnt vmcnt(0)
	v_cmp_eq_u32_e32 vcc, v40, v13
	v_cmp_eq_u32_e64 s[14:15], v40, v15
	s_and_b64 s[14:15], vcc, s[14:15]
	s_orn2_b64 s[14:15], s[14:15], exec
	s_branch .LBB0_222
.LBB0_229:                              ;   in Loop: Header=BB0_219 Depth=3
	s_or_b64 exec, exec, s[42:43]
.LBB0_230:                              ;   in Loop: Header=BB0_219 Depth=3
	s_or_b64 exec, exec, s[40:41]
.LBB0_231:                              ;   in Loop: Header=BB0_219 Depth=3
	s_or_b64 exec, exec, s[38:39]
	v_cmp_lt_u32_e32 vcc, 7, v20
	v_lshl_add_u64 v[28:29], v[46:47], 4, v[54:55]
	s_waitcnt vmcnt(0)
	v_or_b32_e32 v58, v12, v6
	v_or_b32_e32 v60, v14, v6
	v_mov_b32_e32 v59, v7
	v_mov_b32_e32 v61, v7
	v_cndmask_b32_e64 v13, 0, 1, vcc
	global_store_dwordx4 v[28:29], v[58:61], off
	;;#ASMSTART
	;;#ASMEND
	v_mov_b32_e32 v1, v14
	v_cmp_ne_u32_e64 s[14:15], 0, v13
	s_cmp_lg_u64 s[14:15], exec
	s_mov_b64 s[14:15], -1
	s_cbranch_scc0 .LBB0_241
; %bb.232:                              ;   in Loop: Header=BB0_219 Depth=3
	v_cmp_ne_u32_e64 s[14:15], 1, v20
	flat_store_byte v[8:9], v12
	s_and_saveexec_b64 s[38:39], s[14:15]
	s_cbranch_execnz .LBB0_243
; %bb.233:                              ;   in Loop: Header=BB0_219 Depth=3
	s_or_b64 exec, exec, s[38:39]
	v_cmp_lt_u32_e64 s[14:15], 2, v20
	s_and_saveexec_b64 s[38:39], s[14:15]
	s_cbranch_execnz .LBB0_244
.LBB0_234:                              ;   in Loop: Header=BB0_219 Depth=3
	s_or_b64 exec, exec, s[38:39]
	v_cmp_lt_u32_e64 s[14:15], 3, v20
	s_and_saveexec_b64 s[38:39], s[14:15]
	s_cbranch_execnz .LBB0_245
.LBB0_235:                              ;   in Loop: Header=BB0_219 Depth=3
	s_or_b64 exec, exec, s[38:39]
	v_cmp_lt_u32_e64 s[14:15], 4, v20
	s_and_saveexec_b64 s[38:39], s[14:15]
	s_cbranch_execnz .LBB0_246
.LBB0_236:                              ;   in Loop: Header=BB0_219 Depth=3
	s_or_b64 exec, exec, s[38:39]
	v_cmp_lt_u32_e64 s[14:15], 5, v20
	s_and_saveexec_b64 s[38:39], s[14:15]
	s_cbranch_execnz .LBB0_247
.LBB0_237:                              ;   in Loop: Header=BB0_219 Depth=3
	s_or_b64 exec, exec, s[38:39]
	v_cmp_lt_u32_e64 s[14:15], 6, v20
	s_and_saveexec_b64 s[38:39], s[14:15]
	s_cbranch_execnz .LBB0_248
.LBB0_238:                              ;   in Loop: Header=BB0_219 Depth=3
	s_or_b64 exec, exec, s[38:39]
	s_and_saveexec_b64 s[14:15], vcc
	s_cbranch_execz .LBB0_240
.LBB0_239:                              ;   in Loop: Header=BB0_219 Depth=3
	v_lshrrev_b32_e32 v13, 24, v1
	flat_store_byte v[8:9], v13 offset:7
.LBB0_240:                              ;   in Loop: Header=BB0_219 Depth=3
	s_or_b64 exec, exec, s[14:15]
	s_mov_b64 s[14:15], 0
.LBB0_241:                              ;   in Loop: Header=BB0_219 Depth=3
	s_and_b64 vcc, exec, s[14:15]
	s_cbranch_vccz .LBB0_218
; %bb.242:                              ;   in Loop: Header=BB0_219 Depth=3
	v_or_b32_e32 v13, 0, v1
	global_store_dwordx2 v[8:9], v[12:13], off
	s_branch .LBB0_218
.LBB0_243:                              ;   in Loop: Header=BB0_219 Depth=3
	v_lshrrev_b32_e32 v13, 8, v12
	flat_store_byte v[8:9], v13 offset:1
	s_or_b64 exec, exec, s[38:39]
	v_cmp_lt_u32_e64 s[14:15], 2, v20
	s_and_saveexec_b64 s[38:39], s[14:15]
	s_cbranch_execz .LBB0_234
.LBB0_244:                              ;   in Loop: Header=BB0_219 Depth=3
	flat_store_byte_d16_hi v[8:9], v12 offset:2
	s_or_b64 exec, exec, s[38:39]
	v_cmp_lt_u32_e64 s[14:15], 3, v20
	s_and_saveexec_b64 s[38:39], s[14:15]
	s_cbranch_execz .LBB0_235
.LBB0_245:                              ;   in Loop: Header=BB0_219 Depth=3
	v_lshrrev_b32_e32 v13, 24, v12
	flat_store_byte v[8:9], v13 offset:3
	s_or_b64 exec, exec, s[38:39]
	v_cmp_lt_u32_e64 s[14:15], 4, v20
	s_and_saveexec_b64 s[38:39], s[14:15]
	s_cbranch_execz .LBB0_236
.LBB0_246:                              ;   in Loop: Header=BB0_219 Depth=3
	flat_store_byte v[8:9], v14 offset:4
	s_or_b64 exec, exec, s[38:39]
	v_cmp_lt_u32_e64 s[14:15], 5, v20
	s_and_saveexec_b64 s[38:39], s[14:15]
	s_cbranch_execz .LBB0_237
.LBB0_247:                              ;   in Loop: Header=BB0_219 Depth=3
	v_lshrrev_b32_e32 v13, 8, v1
	flat_store_byte v[8:9], v13 offset:5
	s_or_b64 exec, exec, s[38:39]
	v_cmp_lt_u32_e64 s[14:15], 6, v20
	s_and_saveexec_b64 s[38:39], s[14:15]
	s_cbranch_execz .LBB0_238
.LBB0_248:                              ;   in Loop: Header=BB0_219 Depth=3
	flat_store_byte_d16_hi v[8:9], v1 offset:6
	s_or_b64 exec, exec, s[38:39]
	s_and_saveexec_b64 s[14:15], vcc
	s_cbranch_execnz .LBB0_239
	s_branch .LBB0_240
.LBB0_249:                              ;   in Loop: Header=BB0_173 Depth=2
	s_or_b64 exec, exec, s[36:37]
	s_or_b64 exec, exec, s[34:35]
	s_and_saveexec_b64 s[14:15], s[6:7]
	s_cbranch_execz .LBB0_177
.LBB0_250:                              ;   in Loop: Header=BB0_173 Depth=2
	s_and_saveexec_b64 vcc, s[24:25]
	s_xor_b64 s[34:35], exec, vcc
	s_cbranch_execz .LBB0_265
; %bb.251:                              ;   in Loop: Header=BB0_173 Depth=2
	s_and_saveexec_b64 s[36:37], s[8:9]
	s_cbranch_execz .LBB0_264
; %bb.252:                              ;   in Loop: Header=BB0_173 Depth=2
	s_mov_b64 s[40:41], exec
	s_waitcnt vmcnt(0) lgkmcnt(0)
	v_mbcnt_lo_u32_b32 v1, s40, 0
	v_mbcnt_hi_u32_b32 v1, s41, v1
	v_cmp_eq_u32_e32 vcc, 0, v1
	s_and_saveexec_b64 s[38:39], vcc
	s_cbranch_execz .LBB0_254
; %bb.253:                              ;   in Loop: Header=BB0_173 Depth=2
	s_bcnt1_i32_b64 vcc_lo, s[40:41]
	v_mov_b32_e32 v40, vcc_lo
	ds_add_u64 v0, v[40:41]
	s_trap 2
.LBB0_254:                              ;   in Loop: Header=BB0_173 Depth=2
	s_or_b64 exec, exec, s[38:39]
	s_trap 2
	ds_read_b64 v[6:7], v0
	v_accvgpr_read_b32 v8, a20
	v_accvgpr_read_b32 v9, a21
	v_lshl_add_u64 v[50:51], v[50:51], 0, v[8:9]
	s_waitcnt lgkmcnt(0)
	v_cmp_lt_u64_e32 vcc, v[6:7], v[50:51]
	s_and_saveexec_b64 s[38:39], vcc
	s_cbranch_execz .LBB0_263
; %bb.255:                              ;   in Loop: Header=BB0_173 Depth=2
	s_mov_b32 s54, 0
	s_mov_b64 s[40:41], 0
                                        ; implicit-def: $sgpr42_sgpr43
                                        ; implicit-def: $sgpr44_sgpr45
	s_branch .LBB0_257
.LBB0_256:                              ;   in Loop: Header=BB0_257 Depth=3
	s_or_b64 exec, exec, s[48:49]
	s_and_b64 vcc, exec, vcc
	s_or_b64 s[40:41], vcc, s[40:41]
	s_andn2_b64 vcc, s[42:43], exec
	s_and_b64 s[42:43], s[44:45], exec
	s_or_b64 s[42:43], vcc, s[42:43]
	s_andn2_b64 exec, exec, s[40:41]
	s_cbranch_execz .LBB0_261
.LBB0_257:                              ;   Parent Loop BB0_55 Depth=1
                                        ;     Parent Loop BB0_173 Depth=2
                                        ; =>    This Inner Loop Header: Depth=3
	s_add_i32 s54, s54, 1
	s_cmpk_lg_i32 s54, 0x2710
	s_cselect_b64 s[46:47], -1, 0
	s_and_b64 vcc, exec, s[46:47]
                                        ; implicit-def: $sgpr48_sgpr49
	s_cbranch_vccnz .LBB0_259
; %bb.258:                              ;   in Loop: Header=BB0_257 Depth=3
	s_trap 2
	ds_read_b64 v[6:7], v0
	s_andn2_b64 s[46:47], s[46:47], exec
	s_mov_b32 s54, 0
	s_mov_b64 s[48:49], -1
	s_waitcnt lgkmcnt(0)
	flat_load_dword v1, v[6:7] sc0 sc1
	s_waitcnt vmcnt(0) lgkmcnt(0)
	buffer_inv sc0 sc1
	v_cmp_eq_u32_e32 vcc, 0, v1
	s_and_b64 vcc, vcc, exec
	s_or_b64 s[46:47], s[46:47], vcc
.LBB0_259:                              ;   in Loop: Header=BB0_257 Depth=3
	s_andn2_b64 s[44:45], s[44:45], exec
	s_and_b64 s[48:49], s[48:49], exec
	s_mov_b64 vcc, -1
	s_or_b64 s[44:45], s[44:45], s[48:49]
	s_and_saveexec_b64 s[48:49], s[46:47]
	s_cbranch_execz .LBB0_256
; %bb.260:                              ;   in Loop: Header=BB0_257 Depth=3
	s_sleep 1
	s_trap 2
	ds_read_b64 v[6:7], v0
	s_andn2_b64 s[44:45], s[44:45], exec
	s_waitcnt lgkmcnt(0)
	v_cmp_ge_u64_e32 vcc, v[6:7], v[50:51]
	s_orn2_b64 vcc, vcc, exec
	s_branch .LBB0_256
.LBB0_261:                              ;   in Loop: Header=BB0_173 Depth=2
	s_or_b64 exec, exec, s[40:41]
	s_and_saveexec_b64 vcc, s[42:43]
	s_xor_b64 vcc, exec, vcc
	s_cbranch_execz .LBB0_263
; %bb.262:                              ;   in Loop: Header=BB0_173 Depth=2
	v_mov_b32_e32 v1, 1
	ds_write_b32 v0, v1
	s_trap 2
.LBB0_263:                              ;   in Loop: Header=BB0_173 Depth=2
	s_or_b64 exec, exec, s[38:39]
	;;#ASMSTART
	s_wakeup
	;;#ASMEND
.LBB0_264:                              ;   in Loop: Header=BB0_173 Depth=2
	s_or_b64 exec, exec, s[36:37]
.LBB0_265:                              ;   in Loop: Header=BB0_173 Depth=2
	s_andn2_saveexec_b64 vcc, s[34:35]
	s_cbranch_execz .LBB0_267
; %bb.266:                              ;   in Loop: Header=BB0_173 Depth=2
	s_waitcnt lgkmcnt(0)
	s_barrier
.LBB0_267:                              ;   in Loop: Header=BB0_173 Depth=2
	s_or_b64 exec, exec, vcc
	s_or_b64 exec, exec, s[14:15]
	s_and_saveexec_b64 s[14:15], s[10:11]
	s_cbranch_execnz .LBB0_178
	s_branch .LBB0_179
.LBB0_268:                              ;   in Loop: Header=BB0_55 Depth=1
	v_accvgpr_read_b32 v20, a22
	s_waitcnt vmcnt(0) lgkmcnt(0)
	v_mov_b32_e32 v1, v26
	v_accvgpr_read_b32 v21, a23
.LBB0_269:                              ;   in Loop: Header=BB0_55 Depth=1
	v_mov_b64_e32 v[58:59], v[30:31]
	v_cmp_lt_i32_e32 vcc, 0, v1
	s_and_saveexec_b64 s[14:15], vcc
	s_cbranch_execnz .LBB0_272
; %bb.270:                              ;   in Loop: Header=BB0_55 Depth=1
	s_or_b64 exec, exec, s[14:15]
	s_and_saveexec_b64 s[12:13], s[6:7]
	s_cbranch_execnz .LBB0_305
.LBB0_271:                              ;   in Loop: Header=BB0_55 Depth=1
	s_or_b64 exec, exec, s[12:13]
	s_and_saveexec_b64 s[12:13], s[10:11]
	s_cbranch_execz .LBB0_54
	s_branch .LBB0_323
.LBB0_272:                              ;   in Loop: Header=BB0_55 Depth=1
	flat_load_dword v10, v[18:19] offset:4
	v_accvgpr_read_b32 v6, a6
	v_accvgpr_read_b32 v8, a8
	;; [unrolled: 1-line block ×6, first 2 shown]
	v_lshl_add_u64 v[8:9], v[6:7], 0, v[8:9]
	v_and_b32_e32 v6, 7, v32
	v_mul_lo_u32 v6, v6, v62
	v_accvgpr_read_b32 v12, a14
	v_ashrrev_i32_e32 v7, 31, v6
	v_accvgpr_read_b32 v13, a15
	v_lshl_add_u64 v[6:7], v[6:7], 4, v[12:13]
	v_mov_b64_e32 v[14:15], v[20:21]
	v_add_u32_e32 v20, 1, v32
	s_mov_b64 s[34:35], 0
	s_waitcnt vmcnt(0) lgkmcnt(0)
	v_ashrrev_i32_e32 v11, 31, v10
	v_mul_lo_u32 v12, v23, v10
	v_mad_u64_u32 v[8:9], s[12:13], v22, v10, v[8:9]
	v_mul_lo_u32 v10, v22, v11
	v_add3_u32 v9, v12, v9, v10
	v_lshl_add_u64 v[8:9], v[8:9], 0, v[14:15]
	v_mov_b32_e32 v10, v0
	s_branch .LBB0_274
.LBB0_273:                              ;   in Loop: Header=BB0_274 Depth=2
	v_sub_u32_e32 v1, v1, v56
	v_cmp_gt_i32_e32 vcc, 1, v1
	v_lshl_add_u64 v[8:9], v[8:9], 0, v[56:57]
	s_or_b64 s[34:35], vcc, s[34:35]
	v_add_u32_e32 v10, v10, v16
	s_andn2_b64 exec, exec, s[34:35]
	s_cbranch_execz .LBB0_304
.LBB0_274:                              ;   Parent Loop BB0_55 Depth=1
                                        ; =>  This Loop Header: Depth=2
                                        ;       Child Loop BB0_278 Depth 3
	v_ashrrev_i32_e32 v11, 31, v10
	v_lshl_add_u64 v[30:31], v[10:11], 4, v[6:7]
	global_load_dwordx4 v[12:15], v[30:31], off nt
	v_cmp_eq_u32_e32 vcc, 0, v17
	s_and_saveexec_b64 s[36:37], vcc
	s_cbranch_execz .LBB0_286
; %bb.275:                              ;   in Loop: Header=BB0_274 Depth=2
	s_waitcnt vmcnt(0)
	v_cmp_ne_u32_e32 vcc, v20, v13
	v_cmp_ne_u32_e64 s[12:13], v20, v15
	s_or_b64 s[12:13], vcc, s[12:13]
	v_mov_b32_e32 v17, 0
	s_and_saveexec_b64 s[38:39], s[12:13]
	s_cbranch_execz .LBB0_285
; %bb.276:                              ;   in Loop: Header=BB0_274 Depth=2
	s_mov_b32 s44, 1
	s_mov_b64 s[40:41], 0
	v_mov_b32_e32 v17, 0
	s_branch .LBB0_278
.LBB0_277:                              ;   in Loop: Header=BB0_278 Depth=3
	s_or_b64 exec, exec, s[42:43]
	s_and_b64 s[12:13], exec, s[12:13]
	s_or_b64 s[40:41], s[12:13], s[40:41]
	s_andn2_b64 exec, exec, s[40:41]
	s_cbranch_execz .LBB0_284
.LBB0_278:                              ;   Parent Loop BB0_55 Depth=1
                                        ;     Parent Loop BB0_274 Depth=2
                                        ; =>    This Inner Loop Header: Depth=3
	global_load_dwordx4 v[12:15], v[30:31], off nt
	s_add_i32 s44, s44, 1
	s_cmpk_lg_i32 s44, 0x2710
	s_cbranch_scc1 .LBB0_282
; %bb.279:                              ;   in Loop: Header=BB0_278 Depth=3
	s_trap 2
	ds_read_b64 v[54:55], v0
	s_waitcnt vmcnt(0) lgkmcnt(0)
	flat_load_dword v11, v[54:55] sc0 sc1
	s_waitcnt vmcnt(0) lgkmcnt(0)
	buffer_inv sc0 sc1
	v_cmp_ne_u32_e32 vcc, 0, v11
	s_and_saveexec_b64 s[12:13], vcc
	s_cbranch_execz .LBB0_281
; %bb.280:                              ;   in Loop: Header=BB0_278 Depth=3
	v_mov_b32_e32 v17, 1
	ds_write_b32 v0, v11
	s_trap 2
.LBB0_281:                              ;   in Loop: Header=BB0_278 Depth=3
	s_or_b64 exec, exec, s[12:13]
	s_mov_b32 s44, 0
	v_mov_b32_e32 v11, v17
	v_cmp_eq_u32_e32 vcc, 0, v11
	s_mov_b64 s[12:13], -1
	s_and_saveexec_b64 s[42:43], vcc
	s_cbranch_execz .LBB0_277
	s_branch .LBB0_283
.LBB0_282:                              ;   in Loop: Header=BB0_278 Depth=3
	v_mov_b32_e32 v11, 0
	v_cmp_eq_u32_e32 vcc, 0, v11
	s_mov_b64 s[12:13], -1
	s_and_saveexec_b64 s[42:43], vcc
	s_cbranch_execz .LBB0_277
.LBB0_283:                              ;   in Loop: Header=BB0_278 Depth=3
	s_waitcnt vmcnt(0)
	v_cmp_eq_u32_e32 vcc, v20, v13
	v_cmp_eq_u32_e64 s[12:13], v20, v15
	s_and_b64 s[12:13], vcc, s[12:13]
	s_orn2_b64 s[12:13], s[12:13], exec
	s_branch .LBB0_277
.LBB0_284:                              ;   in Loop: Header=BB0_274 Depth=2
	s_or_b64 exec, exec, s[40:41]
.LBB0_285:                              ;   in Loop: Header=BB0_274 Depth=2
	s_or_b64 exec, exec, s[38:39]
.LBB0_286:                              ;   in Loop: Header=BB0_274 Depth=2
	s_or_b64 exec, exec, s[36:37]
	v_cmp_lt_u32_e32 vcc, 7, v1
	s_waitcnt vmcnt(0)
	v_mov_b32_e32 v13, v14
	v_cndmask_b32_e64 v11, 0, 1, vcc
	;;#ASMSTART
	;;#ASMEND
	s_nop 0
	v_cmp_ne_u32_e64 s[12:13], 0, v11
	s_cmp_lg_u64 s[12:13], exec
	s_mov_b64 s[12:13], -1
	s_cbranch_scc0 .LBB0_296
; %bb.287:                              ;   in Loop: Header=BB0_274 Depth=2
	v_cmp_ne_u32_e64 s[12:13], 1, v1
	flat_store_byte v[8:9], v12
	s_and_saveexec_b64 s[36:37], s[12:13]
	s_cbranch_execnz .LBB0_298
; %bb.288:                              ;   in Loop: Header=BB0_274 Depth=2
	s_or_b64 exec, exec, s[36:37]
	v_cmp_lt_u32_e64 s[12:13], 2, v1
	s_and_saveexec_b64 s[36:37], s[12:13]
	s_cbranch_execnz .LBB0_299
.LBB0_289:                              ;   in Loop: Header=BB0_274 Depth=2
	s_or_b64 exec, exec, s[36:37]
	v_cmp_lt_u32_e64 s[12:13], 3, v1
	s_and_saveexec_b64 s[36:37], s[12:13]
	s_cbranch_execnz .LBB0_300
.LBB0_290:                              ;   in Loop: Header=BB0_274 Depth=2
	s_or_b64 exec, exec, s[36:37]
	v_cmp_lt_u32_e64 s[12:13], 4, v1
	s_and_saveexec_b64 s[36:37], s[12:13]
	s_cbranch_execnz .LBB0_301
.LBB0_291:                              ;   in Loop: Header=BB0_274 Depth=2
	s_or_b64 exec, exec, s[36:37]
	v_cmp_lt_u32_e64 s[12:13], 5, v1
	s_and_saveexec_b64 s[36:37], s[12:13]
	s_cbranch_execnz .LBB0_302
.LBB0_292:                              ;   in Loop: Header=BB0_274 Depth=2
	s_or_b64 exec, exec, s[36:37]
	v_cmp_lt_u32_e64 s[12:13], 6, v1
	s_and_saveexec_b64 s[36:37], s[12:13]
	s_cbranch_execnz .LBB0_303
.LBB0_293:                              ;   in Loop: Header=BB0_274 Depth=2
	s_or_b64 exec, exec, s[36:37]
	s_and_saveexec_b64 s[12:13], vcc
	s_cbranch_execz .LBB0_295
.LBB0_294:                              ;   in Loop: Header=BB0_274 Depth=2
	v_lshrrev_b32_e32 v11, 24, v13
	flat_store_byte v[8:9], v11 offset:7
.LBB0_295:                              ;   in Loop: Header=BB0_274 Depth=2
	s_or_b64 exec, exec, s[12:13]
	s_mov_b64 s[12:13], 0
.LBB0_296:                              ;   in Loop: Header=BB0_274 Depth=2
	s_and_b64 vcc, exec, s[12:13]
	s_cbranch_vccz .LBB0_273
; %bb.297:                              ;   in Loop: Header=BB0_274 Depth=2
	global_store_dwordx2 v[8:9], v[12:13], off
	s_branch .LBB0_273
.LBB0_298:                              ;   in Loop: Header=BB0_274 Depth=2
	v_lshrrev_b32_e32 v11, 8, v12
	flat_store_byte v[8:9], v11 offset:1
	s_or_b64 exec, exec, s[36:37]
	v_cmp_lt_u32_e64 s[12:13], 2, v1
	s_and_saveexec_b64 s[36:37], s[12:13]
	s_cbranch_execz .LBB0_289
.LBB0_299:                              ;   in Loop: Header=BB0_274 Depth=2
	flat_store_byte_d16_hi v[8:9], v12 offset:2
	s_or_b64 exec, exec, s[36:37]
	v_cmp_lt_u32_e64 s[12:13], 3, v1
	s_and_saveexec_b64 s[36:37], s[12:13]
	s_cbranch_execz .LBB0_290
.LBB0_300:                              ;   in Loop: Header=BB0_274 Depth=2
	v_lshrrev_b32_e32 v11, 24, v12
	flat_store_byte v[8:9], v11 offset:3
	s_or_b64 exec, exec, s[36:37]
	v_cmp_lt_u32_e64 s[12:13], 4, v1
	s_and_saveexec_b64 s[36:37], s[12:13]
	s_cbranch_execz .LBB0_291
.LBB0_301:                              ;   in Loop: Header=BB0_274 Depth=2
	flat_store_byte v[8:9], v14 offset:4
	s_or_b64 exec, exec, s[36:37]
	v_cmp_lt_u32_e64 s[12:13], 5, v1
	s_and_saveexec_b64 s[36:37], s[12:13]
	s_cbranch_execz .LBB0_292
.LBB0_302:                              ;   in Loop: Header=BB0_274 Depth=2
	v_lshrrev_b32_e32 v11, 8, v13
	flat_store_byte v[8:9], v11 offset:5
	s_or_b64 exec, exec, s[36:37]
	v_cmp_lt_u32_e64 s[12:13], 6, v1
	s_and_saveexec_b64 s[36:37], s[12:13]
	s_cbranch_execz .LBB0_293
.LBB0_303:                              ;   in Loop: Header=BB0_274 Depth=2
	flat_store_byte_d16_hi v[8:9], v13 offset:6
	s_or_b64 exec, exec, s[36:37]
	s_and_saveexec_b64 s[12:13], vcc
	s_cbranch_execnz .LBB0_294
	s_branch .LBB0_295
.LBB0_304:                              ;   in Loop: Header=BB0_55 Depth=1
	s_or_b64 exec, exec, s[34:35]
	v_accvgpr_read_b32 v20, a22
	v_accvgpr_read_b32 v21, a23
	s_or_b64 exec, exec, s[14:15]
	s_and_saveexec_b64 s[12:13], s[6:7]
	s_cbranch_execz .LBB0_271
.LBB0_305:                              ;   in Loop: Header=BB0_55 Depth=1
	s_and_saveexec_b64 s[14:15], s[24:25]
	s_xor_b64 s[14:15], exec, s[14:15]
	s_cbranch_execz .LBB0_320
; %bb.306:                              ;   in Loop: Header=BB0_55 Depth=1
	s_and_saveexec_b64 s[34:35], s[8:9]
	s_cbranch_execz .LBB0_319
; %bb.307:                              ;   in Loop: Header=BB0_55 Depth=1
	s_mov_b64 s[38:39], exec
	v_mbcnt_lo_u32_b32 v1, s38, 0
	v_mbcnt_hi_u32_b32 v1, s39, v1
	v_cmp_eq_u32_e32 vcc, 0, v1
	s_waitcnt lgkmcnt(0)
	s_and_saveexec_b64 s[36:37], vcc
	s_cbranch_execz .LBB0_309
; %bb.308:                              ;   in Loop: Header=BB0_55 Depth=1
	s_bcnt1_i32_b64 vcc_lo, s[38:39]
	v_mov_b32_e32 v40, vcc_lo
	ds_add_u64 v0, v[40:41]
	s_trap 2
.LBB0_309:                              ;   in Loop: Header=BB0_55 Depth=1
	s_or_b64 exec, exec, s[36:37]
	s_trap 2
	ds_read_b64 v[6:7], v0
	v_accvgpr_read_b32 v8, a20
	v_accvgpr_read_b32 v9, a21
	v_lshl_add_u64 v[50:51], v[50:51], 0, v[8:9]
	s_waitcnt lgkmcnt(0)
	v_cmp_lt_u64_e32 vcc, v[6:7], v[50:51]
	s_and_saveexec_b64 s[36:37], vcc
	s_cbranch_execz .LBB0_318
; %bb.310:                              ;   in Loop: Header=BB0_55 Depth=1
	s_mov_b32 s48, 0
	s_mov_b64 s[38:39], 0
                                        ; implicit-def: $sgpr40_sgpr41
                                        ; implicit-def: $sgpr42_sgpr43
	s_branch .LBB0_312
.LBB0_311:                              ;   in Loop: Header=BB0_312 Depth=2
	s_or_b64 exec, exec, s[46:47]
	s_and_b64 vcc, exec, vcc
	s_or_b64 s[38:39], vcc, s[38:39]
	s_andn2_b64 vcc, s[40:41], exec
	s_and_b64 s[40:41], s[42:43], exec
	s_or_b64 s[40:41], vcc, s[40:41]
	s_andn2_b64 exec, exec, s[38:39]
	s_cbranch_execz .LBB0_316
.LBB0_312:                              ;   Parent Loop BB0_55 Depth=1
                                        ; =>  This Inner Loop Header: Depth=2
	s_add_i32 s48, s48, 1
	s_cmpk_lg_i32 s48, 0x2710
	s_cselect_b64 s[44:45], -1, 0
	s_and_b64 vcc, exec, s[44:45]
                                        ; implicit-def: $sgpr46_sgpr47
	s_cbranch_vccnz .LBB0_314
; %bb.313:                              ;   in Loop: Header=BB0_312 Depth=2
	s_trap 2
	ds_read_b64 v[6:7], v0
	s_andn2_b64 s[44:45], s[44:45], exec
	s_mov_b32 s48, 0
	s_mov_b64 s[46:47], -1
	s_waitcnt vmcnt(0) lgkmcnt(0)
	flat_load_dword v1, v[6:7] sc0 sc1
	s_waitcnt vmcnt(0) lgkmcnt(0)
	buffer_inv sc0 sc1
	v_cmp_eq_u32_e32 vcc, 0, v1
	s_and_b64 vcc, vcc, exec
	s_or_b64 s[44:45], s[44:45], vcc
.LBB0_314:                              ;   in Loop: Header=BB0_312 Depth=2
	s_andn2_b64 s[42:43], s[42:43], exec
	s_and_b64 s[46:47], s[46:47], exec
	s_mov_b64 vcc, -1
	s_or_b64 s[42:43], s[42:43], s[46:47]
	s_and_saveexec_b64 s[46:47], s[44:45]
	s_cbranch_execz .LBB0_311
; %bb.315:                              ;   in Loop: Header=BB0_312 Depth=2
	s_sleep 1
	s_trap 2
	ds_read_b64 v[6:7], v0
	s_andn2_b64 s[42:43], s[42:43], exec
	s_waitcnt lgkmcnt(0)
	v_cmp_ge_u64_e32 vcc, v[6:7], v[50:51]
	s_orn2_b64 vcc, vcc, exec
	s_branch .LBB0_311
.LBB0_316:                              ;   in Loop: Header=BB0_55 Depth=1
	s_or_b64 exec, exec, s[38:39]
	s_and_saveexec_b64 vcc, s[40:41]
	s_xor_b64 vcc, exec, vcc
	s_cbranch_execz .LBB0_318
; %bb.317:                              ;   in Loop: Header=BB0_55 Depth=1
	v_mov_b32_e32 v1, 1
	ds_write_b32 v0, v1
	s_trap 2
.LBB0_318:                              ;   in Loop: Header=BB0_55 Depth=1
	s_or_b64 exec, exec, s[36:37]
	;;#ASMSTART
	s_wakeup
	;;#ASMEND
.LBB0_319:                              ;   in Loop: Header=BB0_55 Depth=1
	s_or_b64 exec, exec, s[34:35]
.LBB0_320:                              ;   in Loop: Header=BB0_55 Depth=1
	s_andn2_saveexec_b64 s[14:15], s[14:15]
	s_cbranch_execz .LBB0_322
; %bb.321:                              ;   in Loop: Header=BB0_55 Depth=1
	s_waitcnt lgkmcnt(0)
	s_barrier
.LBB0_322:                              ;   in Loop: Header=BB0_55 Depth=1
	s_or_b64 exec, exec, s[14:15]
	s_or_b64 exec, exec, s[12:13]
	s_and_saveexec_b64 s[12:13], s[10:11]
	s_cbranch_execz .LBB0_54
.LBB0_323:                              ;   in Loop: Header=BB0_55 Depth=1
	v_lshl_add_u64 v[36:37], v[36:37], 0, 1
	flat_store_dwordx2 v[38:39], v[36:37] sc0 sc1
	s_branch .LBB0_54
.LBB0_324:
	s_or_b64 exec, exec, s[22:23]
	v_accvgpr_read_b32 v15, a11
	v_accvgpr_read_b32 v21, a13
	;; [unrolled: 1-line block ×6, first 2 shown]
.LBB0_325:
	s_or_b64 exec, exec, s[20:21]
; %bb.326:
	s_and_saveexec_b64 s[2:3], s[18:19]
	s_cbranch_execnz .LBB0_329
; %bb.327:
	s_or_b64 exec, exec, s[2:3]
	s_and_saveexec_b64 s[2:3], s[0:1]
	s_cbranch_execnz .LBB0_330
.LBB0_328:
	s_or_b64 exec, exec, s[2:3]
	v_cmp_ne_u32_e32 vcc, 64, v16
	s_and_saveexec_b64 s[0:1], vcc
	s_cbranch_execnz .LBB0_331
	s_branch .LBB0_348
.LBB0_329:
	s_waitcnt vmcnt(0) lgkmcnt(0)
	flat_store_dwordx2 v[20:21], v[36:37] offset:104
	s_or_b64 exec, exec, s[2:3]
	s_and_saveexec_b64 s[2:3], s[0:1]
	s_cbranch_execz .LBB0_328
.LBB0_330:
	s_waitcnt vmcnt(0) lgkmcnt(0)
	flat_store_dwordx2 v[14:15], v[4:5] offset:104
	s_or_b64 exec, exec, s[2:3]
	v_cmp_ne_u32_e32 vcc, 64, v16
	s_and_saveexec_b64 s[0:1], vcc
	s_cbranch_execz .LBB0_348
.LBB0_331:
	v_cmp_ne_u32_sdwa s[2:3], v10, v16 src0_sel:WORD_0 src1_sel:DWORD
	s_and_saveexec_b64 s[4:5], s[2:3]
	s_xor_b64 s[2:3], exec, s[4:5]
	s_cbranch_execz .LBB0_346
; %bb.332:
	v_and_b32_e32 v0, 63, v31
	v_cmp_eq_u32_e32 vcc, 0, v0
	s_and_saveexec_b64 s[4:5], vcc
	s_cbranch_execz .LBB0_345
; %bb.333:
	s_mov_b64 s[8:9], exec
	v_mbcnt_lo_u32_b32 v0, s8, 0
	v_mbcnt_hi_u32_b32 v0, s9, v0
	v_cmp_eq_u32_e32 vcc, 0, v0
	s_waitcnt lgkmcnt(0)
	s_and_saveexec_b64 s[6:7], vcc
	s_cbranch_execz .LBB0_335
; %bb.334:
	s_bcnt1_i32_b64 s8, s[8:9]
	v_mov_b32_e32 v0, s8
	v_mov_b32_e32 v1, 0
	ds_add_u64 v0, v[0:1]
	s_trap 2
.LBB0_335:
	s_or_b64 exec, exec, s[6:7]
	v_ashrrev_i32_e32 v0, 31, v16
	v_lshrrev_b32_e32 v0, 26, v0
	s_trap 2
	s_waitcnt vmcnt(0)
	ds_read_b64 v[2:3], v0
	v_add_u32_e32 v0, v16, v0
	v_ashrrev_i32_e32 v0, 6, v0
	v_ashrrev_i32_e32 v1, 31, v0
	v_lshl_add_u64 v[0:1], v[50:51], 0, v[0:1]
	s_waitcnt lgkmcnt(0)
	v_cmp_lt_u64_e32 vcc, v[2:3], v[0:1]
	s_and_saveexec_b64 s[6:7], vcc
	s_cbranch_execz .LBB0_344
; %bb.336:
	s_mov_b32 s22, 0
	s_mov_b64 s[8:9], 0
                                        ; implicit-def: $sgpr10_sgpr11
                                        ; implicit-def: $sgpr12_sgpr13
	s_branch .LBB0_338
.LBB0_337:                              ;   in Loop: Header=BB0_338 Depth=1
	s_or_b64 exec, exec, s[20:21]
	s_and_b64 s[14:15], exec, s[18:19]
	s_or_b64 s[8:9], s[14:15], s[8:9]
	s_andn2_b64 s[10:11], s[10:11], exec
	s_and_b64 s[14:15], s[12:13], exec
	s_or_b64 s[10:11], s[10:11], s[14:15]
	s_andn2_b64 exec, exec, s[8:9]
	s_cbranch_execz .LBB0_342
.LBB0_338:                              ; =>This Inner Loop Header: Depth=1
	s_add_i32 s22, s22, 1
	s_cmpk_lg_i32 s22, 0x2710
	s_cselect_b64 s[14:15], -1, 0
	s_and_b64 vcc, exec, s[14:15]
                                        ; implicit-def: $sgpr20_sgpr21
	s_cbranch_vccnz .LBB0_340
; %bb.339:                              ;   in Loop: Header=BB0_338 Depth=1
	s_trap 2
	ds_read_b64 v[2:3], v0
	s_andn2_b64 s[14:15], s[14:15], exec
	s_mov_b32 s22, 0
	s_mov_b64 s[20:21], -1
	s_waitcnt lgkmcnt(0)
	flat_load_dword v2, v[2:3] sc0 sc1
	s_waitcnt vmcnt(0) lgkmcnt(0)
	buffer_inv sc0 sc1
	v_cmp_eq_u32_e32 vcc, 0, v2
	s_and_b64 s[18:19], vcc, exec
	s_or_b64 s[14:15], s[14:15], s[18:19]
.LBB0_340:                              ;   in Loop: Header=BB0_338 Depth=1
	s_andn2_b64 s[12:13], s[12:13], exec
	s_and_b64 s[20:21], s[20:21], exec
	s_mov_b64 s[18:19], -1
	s_or_b64 s[12:13], s[12:13], s[20:21]
	s_and_saveexec_b64 s[20:21], s[14:15]
	s_cbranch_execz .LBB0_337
; %bb.341:                              ;   in Loop: Header=BB0_338 Depth=1
	s_sleep 1
	s_trap 2
	ds_read_b64 v[2:3], v0
	s_andn2_b64 s[12:13], s[12:13], exec
	s_waitcnt lgkmcnt(0)
	v_cmp_ge_u64_e32 vcc, v[2:3], v[0:1]
	s_orn2_b64 s[18:19], vcc, exec
	s_branch .LBB0_337
.LBB0_342:
	s_or_b64 exec, exec, s[8:9]
	s_and_saveexec_b64 s[8:9], s[10:11]
	s_xor_b64 s[8:9], exec, s[8:9]
	s_cbranch_execz .LBB0_344
; %bb.343:
	v_mov_b32_e32 v0, 1
	ds_write_b32 v0, v0
	s_trap 2
.LBB0_344:
	s_or_b64 exec, exec, s[6:7]
	;;#ASMSTART
	s_wakeup
	;;#ASMEND
.LBB0_345:
	s_or_b64 exec, exec, s[4:5]
.LBB0_346:
	s_andn2_saveexec_b64 s[2:3], s[2:3]
	s_cbranch_execz .LBB0_348
; %bb.347:
	s_waitcnt lgkmcnt(0)
	s_barrier
.LBB0_348:
	s_or_b64 exec, exec, s[0:1]
.LBB0_349:
	s_or_b64 exec, exec, s[16:17]
	scratch_load_dword a38, off, s32        ; 4-byte Folded Reload
	scratch_load_dword a37, off, s32 offset:4 ; 4-byte Folded Reload
	scratch_load_dword a36, off, s32 offset:8 ; 4-byte Folded Reload
	;; [unrolled: 1-line block ×9, first 2 shown]
	s_waitcnt lgkmcnt(0)
	scratch_load_dword v59, off, s32 offset:40 ; 4-byte Folded Reload
	scratch_load_dword v58, off, s32 offset:44 ; 4-byte Folded Reload
	scratch_load_dword v57, off, s32 offset:48 ; 4-byte Folded Reload
	scratch_load_dword v56, off, s32 offset:52 ; 4-byte Folded Reload
	scratch_load_dword v47, off, s32 offset:56 ; 4-byte Folded Reload
	scratch_load_dword v46, off, s32 offset:60 ; 4-byte Folded Reload
	scratch_load_dword v45, off, s32 offset:64 ; 4-byte Folded Reload
	scratch_load_dword v44, off, s32 offset:68 ; 4-byte Folded Reload
	scratch_load_dword v43, off, s32 offset:72 ; 4-byte Folded Reload
	scratch_load_dword v42, off, s32 offset:76 ; 4-byte Folded Reload
	scratch_load_dword v41, off, s32 offset:80 ; 4-byte Folded Reload
	scratch_load_dword v40, off, s32 offset:84 ; 4-byte Folded Reload
	v_readlane_b32 s30, v63, 21
	v_readlane_b32 s31, v63, 22
	;; [unrolled: 1-line block ×23, first 2 shown]
	s_or_saveexec_b64 s[0:1], -1
	scratch_load_dword v63, off, s32 offset:88 ; 4-byte Folded Reload
	s_mov_b64 exec, s[0:1]
	s_waitcnt vmcnt(0)
	s_setpc_b64 s[30:31]
.Lfunc_end0:
	.size	_ZN12_GLOBAL__N_17runRingIa7FuncSumIaE7ProtoLLLi0ELi1ELi0ELb0EEEviiP15ncclDevWorkColl, .Lfunc_end0-_ZN12_GLOBAL__N_17runRingIa7FuncSumIaE7ProtoLLLi0ELi1ELi0ELb0EEEviiP15ncclDevWorkColl
                                        ; -- End function
	.section	.AMDGPU.csdata,"",@progbits
; Function info:
; codeLenInByte = 11116
; NumSgprs: 61
; NumVgprs: 64
; NumAgprs: 39
; TotalNumVgprs: 103
; ScratchSize: 96
; MemoryBound: 0
	.text
	.p2align	2                               ; -- Begin function _Z42ncclDevFunc_AllGather_RING_LL_Sum_i8_0_0_1v
	.type	_Z42ncclDevFunc_AllGather_RING_LL_Sum_i8_0_0_1v,@function
_Z42ncclDevFunc_AllGather_RING_LL_Sum_i8_0_0_1v: ; @_Z42ncclDevFunc_AllGather_RING_LL_Sum_i8_0_0_1v
; %bb.0:
	s_waitcnt vmcnt(0) expcnt(0) lgkmcnt(0)
	s_mov_b32 s0, s33
	s_mov_b32 s33, s32
	s_or_saveexec_b64 s[2:3], -1
	scratch_store_dword off, v43, s33 offset:16 ; 4-byte Folded Spill
	s_mov_b64 exec, s[2:3]
	v_writelane_b32 v43, s0, 31
	s_add_i32 s32, s32, 32
	scratch_store_dword off, v40, s33 offset:12 ; 4-byte Folded Spill
	scratch_store_dword off, v41, s33 offset:8 ; 4-byte Folded Spill
	;; [unrolled: 1-line block ×3, first 2 shown]
	scratch_store_dword off, v63, s33       ; 4-byte Folded Spill
	v_writelane_b32 v43, s34, 0
	v_writelane_b32 v43, s35, 1
	;; [unrolled: 1-line block ×30, first 2 shown]
	s_nop 1
	v_writelane_b32 v43, s31, 30
	s_trap 2
	ds_read_b32 v0, v0
	v_mov_b32_e32 v40, v31
	s_mov_b32 s55, s12
	s_mov_b64 s[56:57], s[8:9]
	s_waitcnt lgkmcnt(0)
	v_cmp_gt_i32_e32 vcc, 1, v0
	s_cbranch_vccnz .LBB1_8
; %bb.1:
	s_mov_b32 s62, 0
	v_and_b32_e32 v41, 0x3ff, v40
	s_mov_b64 s[58:59], src_shared_base
	v_mov_b32_e32 v42, 6
	s_branch .LBB1_3
.LBB1_2:                                ;   in Loop: Header=BB1_3 Depth=1
	s_or_b64 exec, exec, s[60:61]
	s_trap 2
	ds_read_b32 v0, v0
	s_add_i32 s62, s62, 1
	s_waitcnt lgkmcnt(0)
	v_cmp_lt_i32_e32 vcc, s62, v0
	s_cbranch_vccz .LBB1_8
.LBB1_3:                                ; =>This Inner Loop Header: Depth=1
	s_trap 2
	ds_read_b32 v0, v0
	s_cmp_eq_u32 s62, 0
	s_cbranch_scc1 .LBB1_6
; %bb.4:                                ;   in Loop: Header=BB1_3 Depth=1
	s_trap 2
	s_waitcnt lgkmcnt(0)
	ds_read_b32 v1, v0
	s_waitcnt lgkmcnt(0)
	v_xor_b32_e32 v1, v1, v0
	v_and_b32_e32 v1, 0xff0000, v1
	v_cmp_eq_u32_e32 vcc, 0, v1
	s_cbranch_vccnz .LBB1_6
; %bb.5:                                ;   in Loop: Header=BB1_3 Depth=1
	s_barrier
	ds_read_b32 v0, v0
.LBB1_6:                                ;   in Loop: Header=BB1_3 Depth=1
	s_waitcnt lgkmcnt(0)
	v_lshlrev_b32_sdwa v1, v42, v0 dst_sel:DWORD dst_unused:UNUSED_PAD src0_sel:DWORD src1_sel:BYTE_2
	v_cmp_lt_u32_e32 vcc, v41, v1
	s_and_saveexec_b64 s[60:61], vcc
	s_cbranch_execz .LBB1_2
; %bb.7:                                ;   in Loop: Header=BB1_3 Depth=1
	s_mov_b64 s[8:9], s[56:57]
	s_mov_b32 s12, s55
	v_mov_b32_e32 v31, v40
	v_mov_b32_e32 v0, v41
	;; [unrolled: 1-line block ×3, first 2 shown]
	s_getpc_b64 s[0:1]
	s_add_u32 s0, s0, _ZN12_GLOBAL__N_17runRingIa7FuncSumIaE7ProtoLLLi0ELi1ELi0ELb0EEEviiP15ncclDevWorkColl@rel32@lo+4
	s_addc_u32 s1, s1, _ZN12_GLOBAL__N_17runRingIa7FuncSumIaE7ProtoLLLi0ELi1ELi0ELb0EEEviiP15ncclDevWorkColl@rel32@hi+12
	s_swappc_b64 s[30:31], s[0:1]
	s_branch .LBB1_2
.LBB1_8:
	scratch_load_dword v63, off, s33        ; 4-byte Folded Reload
	scratch_load_dword v42, off, s33 offset:4 ; 4-byte Folded Reload
	scratch_load_dword v41, off, s33 offset:8 ; 4-byte Folded Reload
	scratch_load_dword v40, off, s33 offset:12 ; 4-byte Folded Reload
	v_readlane_b32 s30, v43, 29
	v_readlane_b32 s31, v43, 30
	;; [unrolled: 1-line block ×32, first 2 shown]
	s_or_saveexec_b64 s[2:3], -1
	scratch_load_dword v43, off, s33 offset:16 ; 4-byte Folded Reload
	s_mov_b64 exec, s[2:3]
	s_addk_i32 s32, 0xffe0
	s_mov_b32 s33, s0
	s_waitcnt vmcnt(0)
	s_setpc_b64 s[30:31]
.Lfunc_end1:
	.size	_Z42ncclDevFunc_AllGather_RING_LL_Sum_i8_0_0_1v, .Lfunc_end1-_Z42ncclDevFunc_AllGather_RING_LL_Sum_i8_0_0_1v
                                        ; -- End function
	.section	.AMDGPU.csdata,"",@progbits
; Function info:
; codeLenInByte = 880
; NumSgprs: 69
; NumVgprs: 64
; NumAgprs: 39
; TotalNumVgprs: 103
; ScratchSize: 128
; MemoryBound: 0
	.text
	.p2align	2                               ; -- Begin function __ockl_fprintf_append_string_n
	.type	__ockl_fprintf_append_string_n,@function
__ockl_fprintf_append_string_n:         ; @__ockl_fprintf_append_string_n
; %bb.0:
	s_waitcnt vmcnt(0) expcnt(0) lgkmcnt(0)
	v_mov_b32_e32 v9, v3
	v_mov_b32_e32 v8, v2
	v_or_b32_e32 v2, 2, v0
	v_cmp_eq_u32_e32 vcc, 0, v6
	s_mov_b32 s18, 0
	s_mov_b64 s[2:3], 0
	v_cndmask_b32_e32 v0, v2, v0, vcc
	v_cmp_ne_u64_e32 vcc, 0, v[8:9]
	v_mbcnt_lo_u32_b32 v2, -1, 0
	s_and_saveexec_b64 s[0:1], vcc
	s_xor_b64 s[4:5], exec, s[0:1]
	s_cbranch_execz .LBB2_86
; %bb.1:
	s_load_dwordx2 s[6:7], s[8:9], 0x50
	v_and_b32_e32 v6, 2, v0
	v_mov_b32_e32 v31, 0
	v_and_b32_e32 v0, -3, v0
	v_mbcnt_hi_u32_b32 v32, -1, v2
	s_movk_i32 s19, 0xff1f
	v_mov_b32_e32 v12, 2
	v_mov_b32_e32 v13, 1
	s_branch .LBB2_3
.LBB2_2:                                ;   in Loop: Header=BB2_3 Depth=1
	s_or_b64 exec, exec, s[12:13]
	v_sub_co_u32_e32 v4, vcc, v4, v34
	v_lshl_add_u64 v[8:9], v[8:9], 0, v[34:35]
	s_nop 0
	v_subb_co_u32_e32 v5, vcc, v5, v35, vcc
	v_cmp_eq_u64_e32 vcc, 0, v[4:5]
	s_or_b64 s[2:3], vcc, s[2:3]
	s_andn2_b64 exec, exec, s[2:3]
	s_cbranch_execz .LBB2_85
.LBB2_3:                                ; =>This Loop Header: Depth=1
                                        ;     Child Loop BB2_6 Depth 2
                                        ;     Child Loop BB2_14 Depth 2
	;; [unrolled: 1-line block ×11, first 2 shown]
	v_cmp_gt_u64_e32 vcc, 56, v[4:5]
                                        ; implicit-def: $vgpr2_vgpr3
                                        ; implicit-def: $sgpr10
	s_nop 1
	v_cndmask_b32_e32 v35, 0, v5, vcc
	v_cndmask_b32_e32 v34, 56, v4, vcc
	v_cmp_gt_u64_e32 vcc, 8, v[4:5]
	s_and_saveexec_b64 s[0:1], vcc
	s_xor_b64 s[0:1], exec, s[0:1]
	s_cbranch_execz .LBB2_9
; %bb.4:                                ;   in Loop: Header=BB2_3 Depth=1
	s_mov_b64 s[12:13], 0
	v_cmp_ne_u64_e32 vcc, 0, v[4:5]
	s_waitcnt vmcnt(0)
	v_mov_b64_e32 v[2:3], 0
	s_and_saveexec_b64 s[10:11], vcc
	s_cbranch_execz .LBB2_8
; %bb.5:                                ;   in Loop: Header=BB2_3 Depth=1
	v_lshlrev_b64 v[10:11], 3, v[34:35]
	v_mov_b64_e32 v[2:3], 0
	v_mov_b64_e32 v[14:15], v[8:9]
	s_mov_b64 s[14:15], 0
.LBB2_6:                                ;   Parent Loop BB2_3 Depth=1
                                        ; =>  This Inner Loop Header: Depth=2
	flat_load_ubyte v7, v[14:15]
	v_mov_b32_e32 v17, s18
	v_lshl_add_u64 v[14:15], v[14:15], 0, 1
	s_waitcnt vmcnt(0) lgkmcnt(0)
	v_and_b32_e32 v16, 0xffff, v7
	v_lshlrev_b64 v[16:17], s14, v[16:17]
	s_add_u32 s14, s14, 8
	s_addc_u32 s15, s15, 0
	v_cmp_eq_u32_e32 vcc, s14, v10
	v_or_b32_e32 v3, v17, v3
	s_or_b64 s[12:13], vcc, s[12:13]
	v_or_b32_e32 v2, v16, v2
	s_andn2_b64 exec, exec, s[12:13]
	s_cbranch_execnz .LBB2_6
; %bb.7:                                ;   in Loop: Header=BB2_3 Depth=1
	s_or_b64 exec, exec, s[12:13]
.LBB2_8:                                ;   in Loop: Header=BB2_3 Depth=1
	s_or_b64 exec, exec, s[10:11]
	s_mov_b32 s10, 0
.LBB2_9:                                ;   in Loop: Header=BB2_3 Depth=1
	s_or_saveexec_b64 s[0:1], s[0:1]
	v_mov_b32_e32 v7, s10
	v_mov_b64_e32 v[10:11], v[8:9]
	s_xor_b64 exec, exec, s[0:1]
	s_cbranch_execz .LBB2_11
; %bb.10:                               ;   in Loop: Header=BB2_3 Depth=1
	s_waitcnt vmcnt(0)
	flat_load_dwordx2 v[2:3], v[8:9]
	v_add_u32_e32 v7, -8, v34
	s_waitcnt vmcnt(0) lgkmcnt(0)
	v_and_b32_e32 v10, 0xff, v3
	v_and_b32_e32 v11, 0xff00, v3
	;; [unrolled: 1-line block ×4, first 2 shown]
	v_or_b32_e32 v10, v10, v11
	v_or3_b32 v2, v2, 0, 0
	v_or3_b32 v3, v10, v14, v3
	v_lshl_add_u64 v[10:11], v[8:9], 0, 8
.LBB2_11:                               ;   in Loop: Header=BB2_3 Depth=1
	s_or_b64 exec, exec, s[0:1]
	v_cmp_gt_u32_e32 vcc, 8, v7
                                        ; implicit-def: $vgpr14_vgpr15
                                        ; implicit-def: $sgpr10
	s_and_saveexec_b64 s[0:1], vcc
	s_xor_b64 s[0:1], exec, s[0:1]
	s_cbranch_execz .LBB2_17
; %bb.12:                               ;   in Loop: Header=BB2_3 Depth=1
	v_cmp_ne_u32_e32 vcc, 0, v7
	v_mov_b64_e32 v[14:15], 0
	s_and_saveexec_b64 s[10:11], vcc
	s_cbranch_execz .LBB2_16
; %bb.13:                               ;   in Loop: Header=BB2_3 Depth=1
	s_mov_b64 s[12:13], 0
	v_mov_b64_e32 v[14:15], 0
	s_mov_b64 s[14:15], 0
	s_mov_b64 s[16:17], 0
.LBB2_14:                               ;   Parent Loop BB2_3 Depth=1
                                        ; =>  This Inner Loop Header: Depth=2
	v_lshl_add_u64 v[16:17], v[10:11], 0, s[16:17]
	flat_load_ubyte v16, v[16:17]
	s_add_u32 s16, s16, 1
	v_mov_b32_e32 v17, s18
	s_addc_u32 s17, s17, 0
	v_cmp_eq_u32_e32 vcc, s16, v7
	s_waitcnt vmcnt(0) lgkmcnt(0)
	v_and_b32_e32 v16, 0xffff, v16
	v_lshlrev_b64 v[16:17], s14, v[16:17]
	s_add_u32 s14, s14, 8
	s_addc_u32 s15, s15, 0
	v_or_b32_e32 v15, v17, v15
	s_or_b64 s[12:13], vcc, s[12:13]
	v_or_b32_e32 v14, v16, v14
	s_andn2_b64 exec, exec, s[12:13]
	s_cbranch_execnz .LBB2_14
; %bb.15:                               ;   in Loop: Header=BB2_3 Depth=1
	s_or_b64 exec, exec, s[12:13]
.LBB2_16:                               ;   in Loop: Header=BB2_3 Depth=1
	s_or_b64 exec, exec, s[10:11]
	s_mov_b32 s10, 0
                                        ; implicit-def: $vgpr7
.LBB2_17:                               ;   in Loop: Header=BB2_3 Depth=1
	s_or_saveexec_b64 s[0:1], s[0:1]
	v_mov_b32_e32 v18, s10
	s_xor_b64 exec, exec, s[0:1]
	s_cbranch_execz .LBB2_19
; %bb.18:                               ;   in Loop: Header=BB2_3 Depth=1
	flat_load_dwordx2 v[14:15], v[10:11]
	v_add_u32_e32 v18, -8, v7
	v_lshl_add_u64 v[10:11], v[10:11], 0, 8
	s_waitcnt vmcnt(0) lgkmcnt(0)
	v_and_b32_e32 v7, 0xff, v15
	v_and_b32_e32 v16, 0xff00, v15
	;; [unrolled: 1-line block ×4, first 2 shown]
	v_or_b32_e32 v7, v7, v16
	v_or3_b32 v14, v14, 0, 0
	v_or3_b32 v15, v7, v17, v15
.LBB2_19:                               ;   in Loop: Header=BB2_3 Depth=1
	s_or_b64 exec, exec, s[0:1]
	v_cmp_gt_u32_e32 vcc, 8, v18
                                        ; implicit-def: $sgpr10
	s_and_saveexec_b64 s[0:1], vcc
	s_xor_b64 s[0:1], exec, s[0:1]
	s_cbranch_execz .LBB2_25
; %bb.20:                               ;   in Loop: Header=BB2_3 Depth=1
	v_cmp_ne_u32_e32 vcc, 0, v18
	v_mov_b64_e32 v[16:17], 0
	s_and_saveexec_b64 s[10:11], vcc
	s_cbranch_execz .LBB2_24
; %bb.21:                               ;   in Loop: Header=BB2_3 Depth=1
	s_mov_b64 s[12:13], 0
	v_mov_b64_e32 v[16:17], 0
	s_mov_b64 s[14:15], 0
	s_mov_b64 s[16:17], 0
.LBB2_22:                               ;   Parent Loop BB2_3 Depth=1
                                        ; =>  This Inner Loop Header: Depth=2
	v_lshl_add_u64 v[20:21], v[10:11], 0, s[16:17]
	flat_load_ubyte v7, v[20:21]
	s_add_u32 s16, s16, 1
	v_mov_b32_e32 v21, s18
	s_addc_u32 s17, s17, 0
	v_cmp_eq_u32_e32 vcc, s16, v18
	s_waitcnt vmcnt(0) lgkmcnt(0)
	v_and_b32_e32 v20, 0xffff, v7
	v_lshlrev_b64 v[20:21], s14, v[20:21]
	s_add_u32 s14, s14, 8
	s_addc_u32 s15, s15, 0
	v_or_b32_e32 v17, v21, v17
	s_or_b64 s[12:13], vcc, s[12:13]
	v_or_b32_e32 v16, v20, v16
	s_andn2_b64 exec, exec, s[12:13]
	s_cbranch_execnz .LBB2_22
; %bb.23:                               ;   in Loop: Header=BB2_3 Depth=1
	s_or_b64 exec, exec, s[12:13]
.LBB2_24:                               ;   in Loop: Header=BB2_3 Depth=1
	s_or_b64 exec, exec, s[10:11]
	s_mov_b32 s10, 0
                                        ; implicit-def: $vgpr18
.LBB2_25:                               ;   in Loop: Header=BB2_3 Depth=1
	s_or_saveexec_b64 s[0:1], s[0:1]
	v_mov_b32_e32 v7, s10
	s_xor_b64 exec, exec, s[0:1]
	s_cbranch_execz .LBB2_27
; %bb.26:                               ;   in Loop: Header=BB2_3 Depth=1
	flat_load_dwordx2 v[16:17], v[10:11]
	v_add_u32_e32 v7, -8, v18
	v_lshl_add_u64 v[10:11], v[10:11], 0, 8
	s_waitcnt vmcnt(0) lgkmcnt(0)
	v_and_b32_e32 v18, 0xff, v17
	v_and_b32_e32 v19, 0xff00, v17
	;; [unrolled: 1-line block ×4, first 2 shown]
	v_or_b32_e32 v18, v18, v19
	v_or3_b32 v16, v16, 0, 0
	v_or3_b32 v17, v18, v20, v17
.LBB2_27:                               ;   in Loop: Header=BB2_3 Depth=1
	s_or_b64 exec, exec, s[0:1]
	v_cmp_gt_u32_e32 vcc, 8, v7
                                        ; implicit-def: $vgpr18_vgpr19
                                        ; implicit-def: $sgpr10
	s_and_saveexec_b64 s[0:1], vcc
	s_xor_b64 s[0:1], exec, s[0:1]
	s_cbranch_execz .LBB2_33
; %bb.28:                               ;   in Loop: Header=BB2_3 Depth=1
	v_cmp_ne_u32_e32 vcc, 0, v7
	v_mov_b64_e32 v[18:19], 0
	s_and_saveexec_b64 s[10:11], vcc
	s_cbranch_execz .LBB2_32
; %bb.29:                               ;   in Loop: Header=BB2_3 Depth=1
	s_mov_b64 s[12:13], 0
	v_mov_b64_e32 v[18:19], 0
	s_mov_b64 s[14:15], 0
	s_mov_b64 s[16:17], 0
.LBB2_30:                               ;   Parent Loop BB2_3 Depth=1
                                        ; =>  This Inner Loop Header: Depth=2
	v_lshl_add_u64 v[20:21], v[10:11], 0, s[16:17]
	flat_load_ubyte v20, v[20:21]
	s_add_u32 s16, s16, 1
	v_mov_b32_e32 v21, s18
	s_addc_u32 s17, s17, 0
	v_cmp_eq_u32_e32 vcc, s16, v7
	s_waitcnt vmcnt(0) lgkmcnt(0)
	v_and_b32_e32 v20, 0xffff, v20
	v_lshlrev_b64 v[20:21], s14, v[20:21]
	s_add_u32 s14, s14, 8
	s_addc_u32 s15, s15, 0
	v_or_b32_e32 v19, v21, v19
	s_or_b64 s[12:13], vcc, s[12:13]
	v_or_b32_e32 v18, v20, v18
	s_andn2_b64 exec, exec, s[12:13]
	s_cbranch_execnz .LBB2_30
; %bb.31:                               ;   in Loop: Header=BB2_3 Depth=1
	s_or_b64 exec, exec, s[12:13]
.LBB2_32:                               ;   in Loop: Header=BB2_3 Depth=1
	s_or_b64 exec, exec, s[10:11]
	s_mov_b32 s10, 0
                                        ; implicit-def: $vgpr7
.LBB2_33:                               ;   in Loop: Header=BB2_3 Depth=1
	s_or_saveexec_b64 s[0:1], s[0:1]
	v_mov_b32_e32 v22, s10
	s_xor_b64 exec, exec, s[0:1]
	s_cbranch_execz .LBB2_35
; %bb.34:                               ;   in Loop: Header=BB2_3 Depth=1
	flat_load_dwordx2 v[18:19], v[10:11]
	v_add_u32_e32 v22, -8, v7
	v_lshl_add_u64 v[10:11], v[10:11], 0, 8
	s_waitcnt vmcnt(0) lgkmcnt(0)
	v_and_b32_e32 v7, 0xff, v19
	v_and_b32_e32 v20, 0xff00, v19
	;; [unrolled: 1-line block ×4, first 2 shown]
	v_or_b32_e32 v7, v7, v20
	v_or3_b32 v18, v18, 0, 0
	v_or3_b32 v19, v7, v21, v19
.LBB2_35:                               ;   in Loop: Header=BB2_3 Depth=1
	s_or_b64 exec, exec, s[0:1]
	v_cmp_gt_u32_e32 vcc, 8, v22
                                        ; implicit-def: $sgpr10
	s_and_saveexec_b64 s[0:1], vcc
	s_xor_b64 s[0:1], exec, s[0:1]
	s_cbranch_execz .LBB2_41
; %bb.36:                               ;   in Loop: Header=BB2_3 Depth=1
	v_cmp_ne_u32_e32 vcc, 0, v22
	v_mov_b64_e32 v[20:21], 0
	s_and_saveexec_b64 s[10:11], vcc
	s_cbranch_execz .LBB2_40
; %bb.37:                               ;   in Loop: Header=BB2_3 Depth=1
	s_mov_b64 s[12:13], 0
	v_mov_b64_e32 v[20:21], 0
	s_mov_b64 s[14:15], 0
	s_mov_b64 s[16:17], 0
.LBB2_38:                               ;   Parent Loop BB2_3 Depth=1
                                        ; =>  This Inner Loop Header: Depth=2
	v_lshl_add_u64 v[24:25], v[10:11], 0, s[16:17]
	flat_load_ubyte v7, v[24:25]
	s_add_u32 s16, s16, 1
	v_mov_b32_e32 v25, s18
	s_addc_u32 s17, s17, 0
	v_cmp_eq_u32_e32 vcc, s16, v22
	s_waitcnt vmcnt(0) lgkmcnt(0)
	v_and_b32_e32 v24, 0xffff, v7
	v_lshlrev_b64 v[24:25], s14, v[24:25]
	s_add_u32 s14, s14, 8
	s_addc_u32 s15, s15, 0
	v_or_b32_e32 v21, v25, v21
	s_or_b64 s[12:13], vcc, s[12:13]
	v_or_b32_e32 v20, v24, v20
	s_andn2_b64 exec, exec, s[12:13]
	s_cbranch_execnz .LBB2_38
; %bb.39:                               ;   in Loop: Header=BB2_3 Depth=1
	s_or_b64 exec, exec, s[12:13]
.LBB2_40:                               ;   in Loop: Header=BB2_3 Depth=1
	s_or_b64 exec, exec, s[10:11]
	s_mov_b32 s10, 0
                                        ; implicit-def: $vgpr22
.LBB2_41:                               ;   in Loop: Header=BB2_3 Depth=1
	s_or_saveexec_b64 s[0:1], s[0:1]
	v_mov_b32_e32 v7, s10
	s_xor_b64 exec, exec, s[0:1]
	s_cbranch_execz .LBB2_43
; %bb.42:                               ;   in Loop: Header=BB2_3 Depth=1
	flat_load_dwordx2 v[20:21], v[10:11]
	v_add_u32_e32 v7, -8, v22
	v_lshl_add_u64 v[10:11], v[10:11], 0, 8
	s_waitcnt vmcnt(0) lgkmcnt(0)
	v_and_b32_e32 v22, 0xff, v21
	v_and_b32_e32 v23, 0xff00, v21
	;; [unrolled: 1-line block ×4, first 2 shown]
	v_or_b32_e32 v22, v22, v23
	v_or3_b32 v20, v20, 0, 0
	v_or3_b32 v21, v22, v24, v21
.LBB2_43:                               ;   in Loop: Header=BB2_3 Depth=1
	s_or_b64 exec, exec, s[0:1]
	v_cmp_gt_u32_e32 vcc, 8, v7
                                        ; implicit-def: $vgpr22_vgpr23
                                        ; implicit-def: $sgpr10
	s_and_saveexec_b64 s[0:1], vcc
	s_xor_b64 s[0:1], exec, s[0:1]
	s_cbranch_execz .LBB2_49
; %bb.44:                               ;   in Loop: Header=BB2_3 Depth=1
	v_cmp_ne_u32_e32 vcc, 0, v7
	v_mov_b64_e32 v[22:23], 0
	s_and_saveexec_b64 s[10:11], vcc
	s_cbranch_execz .LBB2_48
; %bb.45:                               ;   in Loop: Header=BB2_3 Depth=1
	s_mov_b64 s[12:13], 0
	v_mov_b64_e32 v[22:23], 0
	s_mov_b64 s[14:15], 0
	s_mov_b64 s[16:17], 0
.LBB2_46:                               ;   Parent Loop BB2_3 Depth=1
                                        ; =>  This Inner Loop Header: Depth=2
	v_lshl_add_u64 v[24:25], v[10:11], 0, s[16:17]
	flat_load_ubyte v24, v[24:25]
	s_add_u32 s16, s16, 1
	v_mov_b32_e32 v25, s18
	s_addc_u32 s17, s17, 0
	v_cmp_eq_u32_e32 vcc, s16, v7
	s_waitcnt vmcnt(0) lgkmcnt(0)
	v_and_b32_e32 v24, 0xffff, v24
	v_lshlrev_b64 v[24:25], s14, v[24:25]
	s_add_u32 s14, s14, 8
	s_addc_u32 s15, s15, 0
	v_or_b32_e32 v23, v25, v23
	s_or_b64 s[12:13], vcc, s[12:13]
	v_or_b32_e32 v22, v24, v22
	s_andn2_b64 exec, exec, s[12:13]
	s_cbranch_execnz .LBB2_46
; %bb.47:                               ;   in Loop: Header=BB2_3 Depth=1
	s_or_b64 exec, exec, s[12:13]
.LBB2_48:                               ;   in Loop: Header=BB2_3 Depth=1
	s_or_b64 exec, exec, s[10:11]
	s_mov_b32 s10, 0
                                        ; implicit-def: $vgpr7
.LBB2_49:                               ;   in Loop: Header=BB2_3 Depth=1
	s_or_saveexec_b64 s[0:1], s[0:1]
	v_mov_b32_e32 v26, s10
	s_xor_b64 exec, exec, s[0:1]
	s_cbranch_execz .LBB2_51
; %bb.50:                               ;   in Loop: Header=BB2_3 Depth=1
	flat_load_dwordx2 v[22:23], v[10:11]
	v_add_u32_e32 v26, -8, v7
	v_lshl_add_u64 v[10:11], v[10:11], 0, 8
	s_waitcnt vmcnt(0) lgkmcnt(0)
	v_and_b32_e32 v7, 0xff, v23
	v_and_b32_e32 v24, 0xff00, v23
	v_and_b32_e32 v25, 0xff0000, v23
	v_and_b32_e32 v23, 0xff000000, v23
	v_or_b32_e32 v7, v7, v24
	v_or3_b32 v22, v22, 0, 0
	v_or3_b32 v23, v7, v25, v23
.LBB2_51:                               ;   in Loop: Header=BB2_3 Depth=1
	s_or_b64 exec, exec, s[0:1]
	v_cmp_gt_u32_e32 vcc, 8, v26
	s_and_saveexec_b64 s[0:1], vcc
	s_xor_b64 s[0:1], exec, s[0:1]
	s_cbranch_execz .LBB2_57
; %bb.52:                               ;   in Loop: Header=BB2_3 Depth=1
	v_cmp_ne_u32_e32 vcc, 0, v26
	v_mov_b64_e32 v[24:25], 0
	s_and_saveexec_b64 s[10:11], vcc
	s_cbranch_execz .LBB2_56
; %bb.53:                               ;   in Loop: Header=BB2_3 Depth=1
	s_mov_b64 s[12:13], 0
	v_mov_b64_e32 v[24:25], 0
	s_mov_b64 s[14:15], 0
.LBB2_54:                               ;   Parent Loop BB2_3 Depth=1
                                        ; =>  This Inner Loop Header: Depth=2
	flat_load_ubyte v7, v[10:11]
	v_mov_b32_e32 v29, s18
	v_add_u32_e32 v26, -1, v26
	v_cmp_eq_u32_e32 vcc, 0, v26
	v_lshl_add_u64 v[10:11], v[10:11], 0, 1
	s_waitcnt vmcnt(0) lgkmcnt(0)
	v_and_b32_e32 v28, 0xffff, v7
	v_lshlrev_b64 v[28:29], s14, v[28:29]
	s_add_u32 s14, s14, 8
	s_addc_u32 s15, s15, 0
	v_or_b32_e32 v25, v29, v25
	s_or_b64 s[12:13], vcc, s[12:13]
	v_or_b32_e32 v24, v28, v24
	s_andn2_b64 exec, exec, s[12:13]
	s_cbranch_execnz .LBB2_54
; %bb.55:                               ;   in Loop: Header=BB2_3 Depth=1
	s_or_b64 exec, exec, s[12:13]
.LBB2_56:                               ;   in Loop: Header=BB2_3 Depth=1
	s_or_b64 exec, exec, s[10:11]
                                        ; implicit-def: $vgpr10_vgpr11
.LBB2_57:                               ;   in Loop: Header=BB2_3 Depth=1
	s_andn2_saveexec_b64 s[0:1], s[0:1]
	s_cbranch_execz .LBB2_59
; %bb.58:                               ;   in Loop: Header=BB2_3 Depth=1
	flat_load_dwordx2 v[10:11], v[10:11]
	s_waitcnt vmcnt(0) lgkmcnt(0)
	v_and_b32_e32 v7, 0xff, v11
	v_and_b32_e32 v24, 0xff00, v11
	;; [unrolled: 1-line block ×4, first 2 shown]
	v_or_b32_e32 v7, v7, v24
	v_or3_b32 v25, v7, v25, v11
	v_or3_b32 v24, v10, 0, 0
.LBB2_59:                               ;   in Loop: Header=BB2_3 Depth=1
	s_or_b64 exec, exec, s[0:1]
	v_readfirstlane_b32 s0, v32
	v_mov_b64_e32 v[10:11], 0
	s_nop 0
	v_cmp_eq_u32_e64 s[0:1], s0, v32
	s_and_saveexec_b64 s[10:11], s[0:1]
	s_cbranch_execz .LBB2_65
; %bb.60:                               ;   in Loop: Header=BB2_3 Depth=1
	s_waitcnt lgkmcnt(0)
	global_load_dwordx2 v[28:29], v31, s[6:7] offset:24 sc0 sc1
	s_waitcnt vmcnt(0)
	buffer_inv sc0 sc1
	global_load_dwordx2 v[10:11], v31, s[6:7] offset:40
	global_load_dwordx2 v[26:27], v31, s[6:7]
	s_waitcnt vmcnt(1)
	v_and_b32_e32 v7, v10, v28
	v_and_b32_e32 v10, v11, v29
	v_mul_lo_u32 v10, v10, 24
	v_mul_hi_u32 v11, v7, 24
	v_add_u32_e32 v11, v11, v10
	v_mul_lo_u32 v10, v7, 24
	s_waitcnt vmcnt(0)
	v_lshl_add_u64 v[10:11], v[26:27], 0, v[10:11]
	global_load_dwordx2 v[26:27], v[10:11], off sc0 sc1
	s_waitcnt vmcnt(0)
	global_atomic_cmpswap_x2 v[10:11], v31, v[26:29], s[6:7] offset:24 sc0 sc1
	s_waitcnt vmcnt(0)
	buffer_inv sc0 sc1
	v_cmp_ne_u64_e32 vcc, v[10:11], v[28:29]
	s_and_saveexec_b64 s[12:13], vcc
	s_cbranch_execz .LBB2_64
; %bb.61:                               ;   in Loop: Header=BB2_3 Depth=1
	s_mov_b64 s[14:15], 0
.LBB2_62:                               ;   Parent Loop BB2_3 Depth=1
                                        ; =>  This Inner Loop Header: Depth=2
	s_sleep 1
	global_load_dwordx2 v[26:27], v31, s[6:7] offset:40
	global_load_dwordx2 v[36:37], v31, s[6:7]
	v_mov_b64_e32 v[28:29], v[10:11]
	s_waitcnt vmcnt(1)
	v_and_b32_e32 v10, v26, v28
	s_waitcnt vmcnt(0)
	v_mad_u64_u32 v[10:11], s[16:17], v10, 24, v[36:37]
	v_and_b32_e32 v7, v27, v29
	v_mov_b32_e32 v26, v11
	v_mad_u64_u32 v[26:27], s[16:17], v7, 24, v[26:27]
	v_mov_b32_e32 v11, v26
	global_load_dwordx2 v[26:27], v[10:11], off sc0 sc1
	s_waitcnt vmcnt(0)
	global_atomic_cmpswap_x2 v[10:11], v31, v[26:29], s[6:7] offset:24 sc0 sc1
	s_waitcnt vmcnt(0)
	buffer_inv sc0 sc1
	v_cmp_eq_u64_e32 vcc, v[10:11], v[28:29]
	s_or_b64 s[14:15], vcc, s[14:15]
	s_andn2_b64 exec, exec, s[14:15]
	s_cbranch_execnz .LBB2_62
; %bb.63:                               ;   in Loop: Header=BB2_3 Depth=1
	s_or_b64 exec, exec, s[14:15]
.LBB2_64:                               ;   in Loop: Header=BB2_3 Depth=1
	s_or_b64 exec, exec, s[12:13]
.LBB2_65:                               ;   in Loop: Header=BB2_3 Depth=1
	s_or_b64 exec, exec, s[10:11]
	s_waitcnt lgkmcnt(0)
	global_load_dwordx2 v[36:37], v31, s[6:7] offset:40
	global_load_dwordx4 v[26:29], v31, s[6:7]
	v_readfirstlane_b32 s10, v10
	v_readfirstlane_b32 s11, v11
	s_mov_b64 s[12:13], exec
	s_waitcnt vmcnt(1)
	v_readfirstlane_b32 s14, v36
	v_readfirstlane_b32 s15, v37
	s_and_b64 s[14:15], s[10:11], s[14:15]
	s_mul_i32 s16, s15, 24
	s_mul_hi_u32 s17, s14, 24
	s_add_i32 s17, s17, s16
	s_mul_i32 s16, s14, 24
	s_waitcnt vmcnt(0)
	v_lshl_add_u64 v[36:37], v[26:27], 0, s[16:17]
	s_and_saveexec_b64 s[16:17], s[0:1]
	s_cbranch_execz .LBB2_67
; %bb.66:                               ;   in Loop: Header=BB2_3 Depth=1
	v_mov_b64_e32 v[10:11], s[12:13]
	global_store_dwordx4 v[36:37], v[10:13], off offset:8
.LBB2_67:                               ;   in Loop: Header=BB2_3 Depth=1
	s_or_b64 exec, exec, s[16:17]
	s_lshl_b64 s[12:13], s[14:15], 12
	v_or_b32_e32 v7, 0, v1
	v_cmp_lt_u64_e32 vcc, 56, v[4:5]
	v_lshl_add_u64 v[10:11], v[28:29], 0, s[12:13]
	v_or_b32_e32 v28, v0, v6
	v_cndmask_b32_e32 v1, v7, v1, vcc
	v_lshl_add_u32 v7, v34, 2, 28
	v_cndmask_b32_e32 v0, v28, v0, vcc
	v_and_b32_e32 v7, 0x1e0, v7
	v_and_or_b32 v0, v0, s19, v7
	v_lshlrev_b32_e32 v30, 6, v32
	v_readfirstlane_b32 s12, v10
	v_readfirstlane_b32 s13, v11
	s_nop 4
	global_store_dwordx4 v30, v[0:3], s[12:13]
	global_store_dwordx4 v30, v[14:17], s[12:13] offset:16
	global_store_dwordx4 v30, v[18:21], s[12:13] offset:32
	;; [unrolled: 1-line block ×3, first 2 shown]
	s_and_saveexec_b64 s[12:13], s[0:1]
	s_cbranch_execz .LBB2_75
; %bb.68:                               ;   in Loop: Header=BB2_3 Depth=1
	global_load_dwordx2 v[18:19], v31, s[6:7] offset:32 sc0 sc1
	global_load_dwordx2 v[0:1], v31, s[6:7] offset:40
	v_mov_b32_e32 v16, s10
	v_mov_b32_e32 v17, s11
	s_waitcnt vmcnt(0)
	v_readfirstlane_b32 s14, v0
	v_readfirstlane_b32 s15, v1
	s_and_b64 s[14:15], s[14:15], s[10:11]
	s_mul_i32 s15, s15, 24
	s_mul_hi_u32 s16, s14, 24
	s_mul_i32 s14, s14, 24
	s_add_i32 s15, s16, s15
	v_lshl_add_u64 v[14:15], v[26:27], 0, s[14:15]
	global_store_dwordx2 v[14:15], v[18:19], off
	buffer_wbl2 sc0 sc1
	s_waitcnt vmcnt(0)
	global_atomic_cmpswap_x2 v[2:3], v31, v[16:19], s[6:7] offset:32 sc0 sc1
	s_waitcnt vmcnt(0)
	v_cmp_ne_u64_e32 vcc, v[2:3], v[18:19]
	s_and_saveexec_b64 s[14:15], vcc
	s_cbranch_execz .LBB2_71
; %bb.69:                               ;   in Loop: Header=BB2_3 Depth=1
	s_mov_b64 s[16:17], 0
.LBB2_70:                               ;   Parent Loop BB2_3 Depth=1
                                        ; =>  This Inner Loop Header: Depth=2
	s_sleep 1
	global_store_dwordx2 v[14:15], v[2:3], off
	v_mov_b32_e32 v0, s10
	v_mov_b32_e32 v1, s11
	buffer_wbl2 sc0 sc1
	s_waitcnt vmcnt(0)
	global_atomic_cmpswap_x2 v[0:1], v31, v[0:3], s[6:7] offset:32 sc0 sc1
	s_waitcnt vmcnt(0)
	v_cmp_eq_u64_e32 vcc, v[0:1], v[2:3]
	s_or_b64 s[16:17], vcc, s[16:17]
	v_mov_b64_e32 v[2:3], v[0:1]
	s_andn2_b64 exec, exec, s[16:17]
	s_cbranch_execnz .LBB2_70
.LBB2_71:                               ;   in Loop: Header=BB2_3 Depth=1
	s_or_b64 exec, exec, s[14:15]
	global_load_dwordx2 v[0:1], v31, s[6:7] offset:16
	s_mov_b64 s[16:17], exec
	v_mbcnt_lo_u32_b32 v2, s16, 0
	v_mbcnt_hi_u32_b32 v2, s17, v2
	v_cmp_eq_u32_e32 vcc, 0, v2
	s_and_saveexec_b64 s[14:15], vcc
	s_cbranch_execz .LBB2_73
; %bb.72:                               ;   in Loop: Header=BB2_3 Depth=1
	s_bcnt1_i32_b64 s16, s[16:17]
	v_mov_b32_e32 v2, s16
	v_mov_b32_e32 v3, v31
	buffer_wbl2 sc0 sc1
	s_waitcnt vmcnt(0)
	global_atomic_add_x2 v[0:1], v[2:3], off offset:8 sc1
.LBB2_73:                               ;   in Loop: Header=BB2_3 Depth=1
	s_or_b64 exec, exec, s[14:15]
	s_waitcnt vmcnt(0)
	global_load_dwordx2 v[2:3], v[0:1], off offset:16
	s_waitcnt vmcnt(0)
	v_cmp_eq_u64_e32 vcc, 0, v[2:3]
	s_cbranch_vccnz .LBB2_75
; %bb.74:                               ;   in Loop: Header=BB2_3 Depth=1
	global_load_dword v0, v[0:1], off offset:24
	v_mov_b32_e32 v1, v31
	buffer_wbl2 sc0 sc1
	s_waitcnt vmcnt(0)
	global_store_dwordx2 v[2:3], v[0:1], off sc0 sc1
	v_and_b32_e32 v0, 0xffffff, v0
	s_nop 0
	v_readfirstlane_b32 m0, v0
	s_sendmsg sendmsg(MSG_INTERRUPT)
.LBB2_75:                               ;   in Loop: Header=BB2_3 Depth=1
	s_or_b64 exec, exec, s[12:13]
	v_lshl_add_u64 v[0:1], v[10:11], 0, v[30:31]
	s_branch .LBB2_79
.LBB2_76:                               ;   in Loop: Header=BB2_79 Depth=2
	s_or_b64 exec, exec, s[12:13]
	v_readfirstlane_b32 s12, v2
	s_cmp_eq_u32 s12, 0
	s_cbranch_scc1 .LBB2_78
; %bb.77:                               ;   in Loop: Header=BB2_79 Depth=2
	s_sleep 1
	s_cbranch_execnz .LBB2_79
	s_branch .LBB2_81
.LBB2_78:                               ;   in Loop: Header=BB2_3 Depth=1
	s_branch .LBB2_81
.LBB2_79:                               ;   Parent Loop BB2_3 Depth=1
                                        ; =>  This Inner Loop Header: Depth=2
	v_mov_b32_e32 v2, 1
	s_and_saveexec_b64 s[12:13], s[0:1]
	s_cbranch_execz .LBB2_76
; %bb.80:                               ;   in Loop: Header=BB2_79 Depth=2
	global_load_dword v2, v[36:37], off offset:20 sc0 sc1
	s_waitcnt vmcnt(0)
	buffer_inv sc0 sc1
	v_and_b32_e32 v2, 1, v2
	s_branch .LBB2_76
.LBB2_81:                               ;   in Loop: Header=BB2_3 Depth=1
	global_load_dwordx4 v[0:3], v[0:1], off
	s_and_saveexec_b64 s[12:13], s[0:1]
	s_cbranch_execz .LBB2_2
; %bb.82:                               ;   in Loop: Header=BB2_3 Depth=1
	global_load_dwordx2 v[2:3], v31, s[6:7] offset:40
	global_load_dwordx2 v[10:11], v31, s[6:7] offset:24 sc0 sc1
	global_load_dwordx2 v[18:19], v31, s[6:7]
	s_waitcnt vmcnt(2)
	v_lshl_add_u64 v[14:15], v[2:3], 0, 1
	v_lshl_add_u64 v[20:21], v[14:15], 0, s[10:11]
	v_cmp_eq_u64_e32 vcc, 0, v[20:21]
	s_waitcnt vmcnt(1)
	v_mov_b32_e32 v16, v10
	v_mov_b32_e32 v17, v11
	v_cndmask_b32_e32 v15, v21, v15, vcc
	v_cndmask_b32_e32 v14, v20, v14, vcc
	v_and_b32_e32 v3, v15, v3
	v_and_b32_e32 v2, v14, v2
	v_mul_lo_u32 v3, v3, 24
	v_mul_hi_u32 v7, v2, 24
	v_mul_lo_u32 v2, v2, 24
	v_add_u32_e32 v3, v7, v3
	s_waitcnt vmcnt(0)
	v_lshl_add_u64 v[2:3], v[18:19], 0, v[2:3]
	global_store_dwordx2 v[2:3], v[10:11], off
	buffer_wbl2 sc0 sc1
	s_waitcnt vmcnt(0)
	global_atomic_cmpswap_x2 v[16:17], v31, v[14:17], s[6:7] offset:24 sc0 sc1
	s_waitcnt vmcnt(0)
	v_cmp_ne_u64_e32 vcc, v[16:17], v[10:11]
	s_and_b64 exec, exec, vcc
	s_cbranch_execz .LBB2_2
; %bb.83:                               ;   in Loop: Header=BB2_3 Depth=1
	s_mov_b64 s[0:1], 0
.LBB2_84:                               ;   Parent Loop BB2_3 Depth=1
                                        ; =>  This Inner Loop Header: Depth=2
	s_sleep 1
	global_store_dwordx2 v[2:3], v[16:17], off
	buffer_wbl2 sc0 sc1
	s_waitcnt vmcnt(0)
	global_atomic_cmpswap_x2 v[10:11], v31, v[14:17], s[6:7] offset:24 sc0 sc1
	s_waitcnt vmcnt(0)
	v_cmp_eq_u64_e32 vcc, v[10:11], v[16:17]
	s_or_b64 s[0:1], vcc, s[0:1]
	v_mov_b64_e32 v[16:17], v[10:11]
	s_andn2_b64 exec, exec, s[0:1]
	s_cbranch_execnz .LBB2_84
	s_branch .LBB2_2
.LBB2_85:
	s_or_b64 exec, exec, s[2:3]
                                        ; implicit-def: $vgpr0
                                        ; implicit-def: $vgpr1
                                        ; implicit-def: $vgpr2
.LBB2_86:
	s_andn2_saveexec_b64 s[2:3], s[4:5]
	s_cbranch_execz .LBB2_109
; %bb.87:
	s_load_dwordx2 s[4:5], s[8:9], 0x50
	s_waitcnt vmcnt(0)
	v_mbcnt_hi_u32_b32 v3, -1, v2
	v_mov_b64_e32 v[8:9], 0
	v_readfirstlane_b32 s0, v3
	s_nop 1
	v_cmp_eq_u32_e64 s[0:1], s0, v3
	s_and_saveexec_b64 s[6:7], s[0:1]
	s_cbranch_execz .LBB2_93
; %bb.88:
	v_mov_b32_e32 v2, 0
	s_waitcnt lgkmcnt(0)
	global_load_dwordx2 v[6:7], v2, s[4:5] offset:24 sc0 sc1
	s_waitcnt vmcnt(0)
	buffer_inv sc0 sc1
	global_load_dwordx2 v[4:5], v2, s[4:5] offset:40
	global_load_dwordx2 v[8:9], v2, s[4:5]
	s_waitcnt vmcnt(1)
	v_and_b32_e32 v4, v4, v6
	v_and_b32_e32 v5, v5, v7
	v_mul_lo_u32 v5, v5, 24
	v_mul_hi_u32 v10, v4, 24
	v_add_u32_e32 v5, v10, v5
	v_mul_lo_u32 v4, v4, 24
	s_waitcnt vmcnt(0)
	v_lshl_add_u64 v[4:5], v[8:9], 0, v[4:5]
	global_load_dwordx2 v[4:5], v[4:5], off sc0 sc1
	s_waitcnt vmcnt(0)
	global_atomic_cmpswap_x2 v[8:9], v2, v[4:7], s[4:5] offset:24 sc0 sc1
	s_waitcnt vmcnt(0)
	buffer_inv sc0 sc1
	v_cmp_ne_u64_e32 vcc, v[8:9], v[6:7]
	s_and_saveexec_b64 s[8:9], vcc
	s_cbranch_execz .LBB2_92
; %bb.89:
	s_mov_b64 s[10:11], 0
.LBB2_90:                               ; =>This Inner Loop Header: Depth=1
	s_sleep 1
	global_load_dwordx2 v[4:5], v2, s[4:5] offset:40
	global_load_dwordx2 v[10:11], v2, s[4:5]
	v_mov_b64_e32 v[6:7], v[8:9]
	s_waitcnt vmcnt(1)
	v_and_b32_e32 v4, v4, v6
	v_and_b32_e32 v9, v5, v7
	s_waitcnt vmcnt(0)
	v_mad_u64_u32 v[4:5], s[12:13], v4, 24, v[10:11]
	v_mov_b32_e32 v8, v5
	v_mad_u64_u32 v[8:9], s[12:13], v9, 24, v[8:9]
	v_mov_b32_e32 v5, v8
	global_load_dwordx2 v[4:5], v[4:5], off sc0 sc1
	s_waitcnt vmcnt(0)
	global_atomic_cmpswap_x2 v[8:9], v2, v[4:7], s[4:5] offset:24 sc0 sc1
	s_waitcnt vmcnt(0)
	buffer_inv sc0 sc1
	v_cmp_eq_u64_e32 vcc, v[8:9], v[6:7]
	s_or_b64 s[10:11], vcc, s[10:11]
	s_andn2_b64 exec, exec, s[10:11]
	s_cbranch_execnz .LBB2_90
; %bb.91:
	s_or_b64 exec, exec, s[10:11]
.LBB2_92:
	s_or_b64 exec, exec, s[8:9]
.LBB2_93:
	s_or_b64 exec, exec, s[6:7]
	v_mov_b32_e32 v2, 0
	s_waitcnt lgkmcnt(0)
	global_load_dwordx2 v[10:11], v2, s[4:5] offset:40
	global_load_dwordx4 v[4:7], v2, s[4:5]
	v_readfirstlane_b32 s6, v8
	v_readfirstlane_b32 s7, v9
	s_mov_b64 s[8:9], exec
	s_waitcnt vmcnt(1)
	v_readfirstlane_b32 s10, v10
	v_readfirstlane_b32 s11, v11
	s_and_b64 s[10:11], s[6:7], s[10:11]
	s_mul_i32 s12, s11, 24
	s_mul_hi_u32 s13, s10, 24
	s_add_i32 s13, s13, s12
	s_mul_i32 s12, s10, 24
	s_waitcnt vmcnt(0)
	v_lshl_add_u64 v[8:9], v[4:5], 0, s[12:13]
	s_and_saveexec_b64 s[12:13], s[0:1]
	s_cbranch_execz .LBB2_95
; %bb.94:
	v_mov_b64_e32 v[10:11], s[8:9]
	v_mov_b32_e32 v12, 2
	v_mov_b32_e32 v13, 1
	global_store_dwordx4 v[8:9], v[10:13], off offset:8
.LBB2_95:
	s_or_b64 exec, exec, s[12:13]
	s_lshl_b64 s[8:9], s[10:11], 12
	v_lshl_add_u64 v[6:7], v[6:7], 0, s[8:9]
	s_movk_i32 s8, 0xff1f
	v_and_or_b32 v0, v0, s8, 32
	s_mov_b32 s8, 0
	v_lshlrev_b32_e32 v10, 6, v3
	v_mov_b32_e32 v3, v2
	v_readfirstlane_b32 s12, v6
	v_readfirstlane_b32 s13, v7
	s_mov_b32 s9, s8
	s_mov_b32 s10, s8
	;; [unrolled: 1-line block ×3, first 2 shown]
	s_nop 1
	global_store_dwordx4 v10, v[0:3], s[12:13]
	s_nop 1
	v_mov_b64_e32 v[0:1], s[8:9]
	v_mov_b64_e32 v[2:3], s[10:11]
	global_store_dwordx4 v10, v[0:3], s[12:13] offset:16
	global_store_dwordx4 v10, v[0:3], s[12:13] offset:32
	;; [unrolled: 1-line block ×3, first 2 shown]
	s_and_saveexec_b64 s[8:9], s[0:1]
	s_cbranch_execz .LBB2_103
; %bb.96:
	v_mov_b32_e32 v6, 0
	global_load_dwordx2 v[12:13], v6, s[4:5] offset:32 sc0 sc1
	global_load_dwordx2 v[0:1], v6, s[4:5] offset:40
	v_mov_b32_e32 v10, s6
	v_mov_b32_e32 v11, s7
	s_waitcnt vmcnt(0)
	v_and_b32_e32 v0, s6, v0
	v_and_b32_e32 v1, s7, v1
	v_mul_lo_u32 v1, v1, 24
	v_mul_hi_u32 v2, v0, 24
	v_mul_lo_u32 v0, v0, 24
	v_add_u32_e32 v1, v2, v1
	v_lshl_add_u64 v[4:5], v[4:5], 0, v[0:1]
	global_store_dwordx2 v[4:5], v[12:13], off
	buffer_wbl2 sc0 sc1
	s_waitcnt vmcnt(0)
	global_atomic_cmpswap_x2 v[2:3], v6, v[10:13], s[4:5] offset:32 sc0 sc1
	s_waitcnt vmcnt(0)
	v_cmp_ne_u64_e32 vcc, v[2:3], v[12:13]
	s_and_saveexec_b64 s[10:11], vcc
	s_cbranch_execz .LBB2_99
; %bb.97:
	s_mov_b64 s[12:13], 0
.LBB2_98:                               ; =>This Inner Loop Header: Depth=1
	s_sleep 1
	global_store_dwordx2 v[4:5], v[2:3], off
	v_mov_b32_e32 v0, s6
	v_mov_b32_e32 v1, s7
	buffer_wbl2 sc0 sc1
	s_waitcnt vmcnt(0)
	global_atomic_cmpswap_x2 v[0:1], v6, v[0:3], s[4:5] offset:32 sc0 sc1
	s_waitcnt vmcnt(0)
	v_cmp_eq_u64_e32 vcc, v[0:1], v[2:3]
	s_or_b64 s[12:13], vcc, s[12:13]
	v_mov_b64_e32 v[2:3], v[0:1]
	s_andn2_b64 exec, exec, s[12:13]
	s_cbranch_execnz .LBB2_98
.LBB2_99:
	s_or_b64 exec, exec, s[10:11]
	v_mov_b32_e32 v3, 0
	global_load_dwordx2 v[0:1], v3, s[4:5] offset:16
	s_mov_b64 s[10:11], exec
	v_mbcnt_lo_u32_b32 v2, s10, 0
	v_mbcnt_hi_u32_b32 v2, s11, v2
	v_cmp_eq_u32_e32 vcc, 0, v2
	s_and_saveexec_b64 s[12:13], vcc
	s_cbranch_execz .LBB2_101
; %bb.100:
	s_bcnt1_i32_b64 s10, s[10:11]
	v_mov_b32_e32 v2, s10
	buffer_wbl2 sc0 sc1
	s_waitcnt vmcnt(0)
	global_atomic_add_x2 v[0:1], v[2:3], off offset:8 sc1
.LBB2_101:
	s_or_b64 exec, exec, s[12:13]
	s_waitcnt vmcnt(0)
	global_load_dwordx2 v[2:3], v[0:1], off offset:16
	s_waitcnt vmcnt(0)
	v_cmp_eq_u64_e32 vcc, 0, v[2:3]
	s_cbranch_vccnz .LBB2_103
; %bb.102:
	global_load_dword v0, v[0:1], off offset:24
	v_mov_b32_e32 v1, 0
	buffer_wbl2 sc0 sc1
	s_waitcnt vmcnt(0)
	global_store_dwordx2 v[2:3], v[0:1], off sc0 sc1
	v_and_b32_e32 v0, 0xffffff, v0
	s_nop 0
	v_readfirstlane_b32 m0, v0
	s_sendmsg sendmsg(MSG_INTERRUPT)
.LBB2_103:
	s_or_b64 exec, exec, s[8:9]
	s_branch .LBB2_107
.LBB2_104:                              ;   in Loop: Header=BB2_107 Depth=1
	s_or_b64 exec, exec, s[8:9]
	v_readfirstlane_b32 s8, v0
	s_cmp_eq_u32 s8, 0
	s_cbranch_scc1 .LBB2_106
; %bb.105:                              ;   in Loop: Header=BB2_107 Depth=1
	s_sleep 1
	s_cbranch_execnz .LBB2_107
	s_branch .LBB2_110
.LBB2_106:
	s_branch .LBB2_110
.LBB2_107:                              ; =>This Inner Loop Header: Depth=1
	v_mov_b32_e32 v0, 1
	s_and_saveexec_b64 s[8:9], s[0:1]
	s_cbranch_execz .LBB2_104
; %bb.108:                              ;   in Loop: Header=BB2_107 Depth=1
	global_load_dword v0, v[8:9], off offset:20 sc0 sc1
	s_waitcnt vmcnt(0)
	buffer_inv sc0 sc1
	v_and_b32_e32 v0, 1, v0
	s_branch .LBB2_104
.LBB2_109:
	s_or_b64 exec, exec, s[2:3]
	s_waitcnt vmcnt(0) lgkmcnt(0)
	s_setpc_b64 s[30:31]
.LBB2_110:
	s_and_saveexec_b64 s[8:9], s[0:1]
	s_cbranch_execz .LBB2_113
; %bb.111:
	v_mov_b32_e32 v6, 0
	global_load_dwordx2 v[4:5], v6, s[4:5] offset:40
	global_load_dwordx2 v[8:9], v6, s[4:5] offset:24 sc0 sc1
	global_load_dwordx2 v[10:11], v6, s[4:5]
	s_mov_b64 s[0:1], 0
	s_waitcnt vmcnt(2)
	v_lshl_add_u64 v[0:1], v[4:5], 0, 1
	v_lshl_add_u64 v[12:13], v[0:1], 0, s[6:7]
	v_cmp_eq_u64_e32 vcc, 0, v[12:13]
	s_waitcnt vmcnt(1)
	v_mov_b32_e32 v2, v8
	v_cndmask_b32_e32 v1, v13, v1, vcc
	v_cndmask_b32_e32 v0, v12, v0, vcc
	v_and_b32_e32 v3, v1, v5
	v_and_b32_e32 v4, v0, v4
	v_mul_lo_u32 v3, v3, 24
	v_mul_hi_u32 v5, v4, 24
	v_mul_lo_u32 v4, v4, 24
	v_add_u32_e32 v5, v5, v3
	s_waitcnt vmcnt(0)
	v_lshl_add_u64 v[4:5], v[10:11], 0, v[4:5]
	global_store_dwordx2 v[4:5], v[8:9], off
	v_mov_b32_e32 v3, v9
	buffer_wbl2 sc0 sc1
	s_waitcnt vmcnt(0)
	global_atomic_cmpswap_x2 v[2:3], v6, v[0:3], s[4:5] offset:24 sc0 sc1
	s_waitcnt vmcnt(0)
	v_cmp_ne_u64_e32 vcc, v[2:3], v[8:9]
	s_and_b64 exec, exec, vcc
	s_cbranch_execz .LBB2_113
.LBB2_112:                              ; =>This Inner Loop Header: Depth=1
	s_sleep 1
	global_store_dwordx2 v[4:5], v[2:3], off
	buffer_wbl2 sc0 sc1
	s_waitcnt vmcnt(0)
	global_atomic_cmpswap_x2 v[8:9], v6, v[0:3], s[4:5] offset:24 sc0 sc1
	s_waitcnt vmcnt(0)
	v_cmp_eq_u64_e32 vcc, v[8:9], v[2:3]
	s_or_b64 s[0:1], vcc, s[0:1]
	v_mov_b64_e32 v[2:3], v[8:9]
	s_andn2_b64 exec, exec, s[0:1]
	s_cbranch_execnz .LBB2_112
.LBB2_113:
	s_or_b64 exec, exec, s[8:9]
	s_or_b64 exec, exec, s[2:3]
	s_waitcnt vmcnt(0) lgkmcnt(0)
	s_setpc_b64 s[30:31]
.Lfunc_end2:
	.size	__ockl_fprintf_append_string_n, .Lfunc_end2-__ockl_fprintf_append_string_n
                                        ; -- End function
	.section	.AMDGPU.csdata,"",@progbits
; Function info:
; codeLenInByte = 4188
; NumSgprs: 38
; NumVgprs: 38
; NumAgprs: 0
; TotalNumVgprs: 38
; ScratchSize: 0
; MemoryBound: 0
	.text
	.p2align	2                               ; -- Begin function __assert_fail
	.type	__assert_fail,@function
__assert_fail:                          ; @__assert_fail
; %bb.0:
	s_waitcnt vmcnt(0) expcnt(0) lgkmcnt(0)
	s_mov_b32 s20, s33
	s_mov_b32 s33, s32
	s_xor_saveexec_b64 s[0:1], -1
	scratch_store_dword off, v39, s33 offset:48 ; 4-byte Folded Spill
	s_mov_b64 exec, s[0:1]
	v_writelane_b32 v39, s30, 0
	s_add_i32 s32, s32, 64
	s_nop 0
	v_writelane_b32 v39, s31, 1
	s_getpc_b64 s[0:1]
	s_add_u32 s0, s0, __const.__assert_fail.fmt@rel32@lo+4
	s_addc_u32 s1, s1, __const.__assert_fail.fmt@rel32@hi+12
	s_load_dwordx4 s[0:3], s[0:1], 0x0
	s_getpc_b64 s[4:5]
	s_add_u32 s4, s4, __const.__assert_fail.fmt@rel32@lo+20
	s_addc_u32 s5, s5, __const.__assert_fail.fmt@rel32@hi+28
	s_load_dwordx4 s[4:7], s[4:5], 0x0
	v_mov_b32_e32 v4, v0
	v_mov_b32_e32 v0, 0xa2e
	;; [unrolled: 1-line block ×3, first 2 shown]
	scratch_store_short off, v0, s33 offset:44
	s_waitcnt lgkmcnt(0)
	v_mov_b64_e32 v[0:1], s[0:1]
	v_mov_b64_e32 v[2:3], s[2:3]
	scratch_store_dwordx4 off, v[0:3], s33
	s_load_dwordx2 s[2:3], s[8:9], 0x50
	v_mov_b32_e32 v8, 0
	v_mov_b64_e32 v[0:1], s[4:5]
	v_mov_b64_e32 v[2:3], s[6:7]
	scratch_store_dwordx4 off, v[0:3], s33 offset:16
	v_mov_b64_e32 v[6:7], 0
	scratch_store_byte off, v8, s33 offset:46
	v_mov_b32_e32 v0, 0x73256020
	v_mov_b32_e32 v1, 0x61662027
	;; [unrolled: 1-line block ×3, first 2 shown]
	scratch_store_dwordx3 off, v[0:2], s33 offset:32
	s_nop 1
	v_mbcnt_lo_u32_b32 v0, -1, 0
	v_mbcnt_hi_u32_b32 v38, -1, v0
	s_nop 0
	v_readfirstlane_b32 s0, v38
	s_nop 1
	v_cmp_eq_u32_e64 s[0:1], s0, v38
	s_and_saveexec_b64 s[4:5], s[0:1]
	s_cbranch_execz .LBB3_6
; %bb.1:
	s_waitcnt lgkmcnt(0)
	global_load_dwordx2 v[2:3], v8, s[2:3] offset:24 sc0 sc1
	s_waitcnt vmcnt(0)
	buffer_inv sc0 sc1
	global_load_dwordx2 v[0:1], v8, s[2:3] offset:40
	global_load_dwordx2 v[6:7], v8, s[2:3]
	s_waitcnt vmcnt(1)
	v_and_b32_e32 v0, v0, v2
	v_and_b32_e32 v1, v1, v3
	v_mul_lo_u32 v1, v1, 24
	v_mul_hi_u32 v9, v0, 24
	v_add_u32_e32 v1, v9, v1
	v_mul_lo_u32 v0, v0, 24
	s_waitcnt vmcnt(0)
	v_lshl_add_u64 v[0:1], v[6:7], 0, v[0:1]
	global_load_dwordx2 v[0:1], v[0:1], off sc0 sc1
	s_waitcnt vmcnt(0)
	global_atomic_cmpswap_x2 v[6:7], v8, v[0:3], s[2:3] offset:24 sc0 sc1
	s_waitcnt vmcnt(0)
	buffer_inv sc0 sc1
	v_cmp_ne_u64_e32 vcc, v[6:7], v[2:3]
	s_and_saveexec_b64 s[6:7], vcc
	s_cbranch_execz .LBB3_5
; %bb.2:
	s_mov_b64 s[10:11], 0
.LBB3_3:                                ; =>This Inner Loop Header: Depth=1
	s_sleep 1
	global_load_dwordx2 v[0:1], v8, s[2:3] offset:40
	global_load_dwordx2 v[10:11], v8, s[2:3]
	v_mov_b64_e32 v[2:3], v[6:7]
	s_waitcnt vmcnt(1)
	v_and_b32_e32 v0, v0, v2
	v_and_b32_e32 v7, v1, v3
	s_waitcnt vmcnt(0)
	v_mad_u64_u32 v[0:1], s[12:13], v0, 24, v[10:11]
	v_mov_b32_e32 v6, v1
	v_mad_u64_u32 v[6:7], s[12:13], v7, 24, v[6:7]
	v_mov_b32_e32 v1, v6
	global_load_dwordx2 v[0:1], v[0:1], off sc0 sc1
	s_waitcnt vmcnt(0)
	global_atomic_cmpswap_x2 v[6:7], v8, v[0:3], s[2:3] offset:24 sc0 sc1
	s_waitcnt vmcnt(0)
	buffer_inv sc0 sc1
	v_cmp_eq_u64_e32 vcc, v[6:7], v[2:3]
	s_or_b64 s[10:11], vcc, s[10:11]
	s_andn2_b64 exec, exec, s[10:11]
	s_cbranch_execnz .LBB3_3
; %bb.4:
	s_or_b64 exec, exec, s[10:11]
.LBB3_5:
	s_or_b64 exec, exec, s[6:7]
.LBB3_6:
	s_or_b64 exec, exec, s[4:5]
	s_waitcnt lgkmcnt(0)
	global_load_dwordx2 v[10:11], v8, s[2:3] offset:40
	global_load_dwordx4 v[0:3], v8, s[2:3]
	v_readfirstlane_b32 s4, v6
	v_readfirstlane_b32 s5, v7
	s_mov_b64 s[6:7], exec
	s_waitcnt vmcnt(1)
	v_readfirstlane_b32 s10, v10
	v_readfirstlane_b32 s11, v11
	s_and_b64 s[10:11], s[4:5], s[10:11]
	s_mul_i32 s12, s11, 24
	s_mul_hi_u32 s13, s10, 24
	s_add_i32 s13, s13, s12
	s_mul_i32 s12, s10, 24
	s_waitcnt vmcnt(0)
	v_lshl_add_u64 v[6:7], v[0:1], 0, s[12:13]
	s_and_saveexec_b64 s[12:13], s[0:1]
	s_cbranch_execz .LBB3_8
; %bb.7:
	v_mov_b64_e32 v[8:9], s[6:7]
	v_mov_b32_e32 v10, 2
	v_mov_b32_e32 v11, 1
	global_store_dwordx4 v[6:7], v[8:11], off offset:8
.LBB3_8:
	s_or_b64 exec, exec, s[12:13]
	s_lshl_b64 s[6:7], s[10:11], 12
	v_lshl_add_u64 v[8:9], v[2:3], 0, s[6:7]
	s_mov_b32 s12, 0
	v_mov_b32_e32 v33, 0
	v_lshlrev_b32_e32 v32, 6, v38
	v_mov_b32_e32 v10, 33
	v_mov_b32_e32 v12, 1
	v_mov_b32_e32 v11, v33
	v_mov_b32_e32 v13, v33
	v_readfirstlane_b32 s6, v8
	v_readfirstlane_b32 s7, v9
	s_mov_b32 s13, s12
	s_mov_b32 s14, s12
	;; [unrolled: 1-line block ×3, first 2 shown]
	s_nop 1
	global_store_dwordx4 v32, v[10:13], s[6:7]
	s_nop 1
	v_mov_b64_e32 v[10:11], s[12:13]
	v_mov_b64_e32 v[12:13], s[14:15]
	global_store_dwordx4 v32, v[10:13], s[6:7] offset:16
	global_store_dwordx4 v32, v[10:13], s[6:7] offset:32
	;; [unrolled: 1-line block ×3, first 2 shown]
	s_and_saveexec_b64 s[6:7], s[0:1]
	s_cbranch_execz .LBB3_16
; %bb.9:
	global_load_dwordx2 v[14:15], v33, s[2:3] offset:32 sc0 sc1
	global_load_dwordx2 v[2:3], v33, s[2:3] offset:40
	v_mov_b32_e32 v12, s4
	v_mov_b32_e32 v13, s5
	s_waitcnt vmcnt(0)
	v_and_b32_e32 v2, s4, v2
	v_and_b32_e32 v3, s5, v3
	v_mul_lo_u32 v3, v3, 24
	v_mul_hi_u32 v10, v2, 24
	v_mul_lo_u32 v2, v2, 24
	v_add_u32_e32 v3, v10, v3
	v_lshl_add_u64 v[10:11], v[0:1], 0, v[2:3]
	global_store_dwordx2 v[10:11], v[14:15], off
	buffer_wbl2 sc0 sc1
	s_waitcnt vmcnt(0)
	global_atomic_cmpswap_x2 v[2:3], v33, v[12:15], s[2:3] offset:32 sc0 sc1
	s_waitcnt vmcnt(0)
	v_cmp_ne_u64_e32 vcc, v[2:3], v[14:15]
	s_and_saveexec_b64 s[10:11], vcc
	s_cbranch_execz .LBB3_12
; %bb.10:
	s_mov_b64 s[12:13], 0
.LBB3_11:                               ; =>This Inner Loop Header: Depth=1
	s_sleep 1
	global_store_dwordx2 v[10:11], v[2:3], off
	v_mov_b32_e32 v0, s4
	v_mov_b32_e32 v1, s5
	buffer_wbl2 sc0 sc1
	s_waitcnt vmcnt(0)
	global_atomic_cmpswap_x2 v[0:1], v33, v[0:3], s[2:3] offset:32 sc0 sc1
	s_waitcnt vmcnt(0)
	v_cmp_eq_u64_e32 vcc, v[0:1], v[2:3]
	s_or_b64 s[12:13], vcc, s[12:13]
	v_mov_b64_e32 v[2:3], v[0:1]
	s_andn2_b64 exec, exec, s[12:13]
	s_cbranch_execnz .LBB3_11
.LBB3_12:
	s_or_b64 exec, exec, s[10:11]
	v_mov_b32_e32 v3, 0
	global_load_dwordx2 v[0:1], v3, s[2:3] offset:16
	s_mov_b64 s[10:11], exec
	v_mbcnt_lo_u32_b32 v2, s10, 0
	v_mbcnt_hi_u32_b32 v2, s11, v2
	v_cmp_eq_u32_e32 vcc, 0, v2
	s_and_saveexec_b64 s[12:13], vcc
	s_cbranch_execz .LBB3_14
; %bb.13:
	s_bcnt1_i32_b64 s10, s[10:11]
	v_mov_b32_e32 v2, s10
	buffer_wbl2 sc0 sc1
	s_waitcnt vmcnt(0)
	global_atomic_add_x2 v[0:1], v[2:3], off offset:8 sc1
.LBB3_14:
	s_or_b64 exec, exec, s[12:13]
	s_waitcnt vmcnt(0)
	global_load_dwordx2 v[2:3], v[0:1], off offset:16
	s_waitcnt vmcnt(0)
	v_cmp_eq_u64_e32 vcc, 0, v[2:3]
	s_cbranch_vccnz .LBB3_16
; %bb.15:
	global_load_dword v0, v[0:1], off offset:24
	v_mov_b32_e32 v1, 0
	buffer_wbl2 sc0 sc1
	s_waitcnt vmcnt(0)
	global_store_dwordx2 v[2:3], v[0:1], off sc0 sc1
	v_and_b32_e32 v0, 0xffffff, v0
	s_nop 0
	v_readfirstlane_b32 m0, v0
	s_sendmsg sendmsg(MSG_INTERRUPT)
.LBB3_16:
	s_or_b64 exec, exec, s[6:7]
	v_lshl_add_u64 v[0:1], v[8:9], 0, v[32:33]
	s_branch .LBB3_20
.LBB3_17:                               ;   in Loop: Header=BB3_20 Depth=1
	s_or_b64 exec, exec, s[6:7]
	v_readfirstlane_b32 s6, v2
	s_cmp_eq_u32 s6, 0
	s_cbranch_scc1 .LBB3_19
; %bb.18:                               ;   in Loop: Header=BB3_20 Depth=1
	s_sleep 1
	s_cbranch_execnz .LBB3_20
	s_branch .LBB3_22
.LBB3_19:
	s_branch .LBB3_22
.LBB3_20:                               ; =>This Inner Loop Header: Depth=1
	v_mov_b32_e32 v2, 1
	s_and_saveexec_b64 s[6:7], s[0:1]
	s_cbranch_execz .LBB3_17
; %bb.21:                               ;   in Loop: Header=BB3_20 Depth=1
	global_load_dword v2, v[6:7], off offset:20 sc0 sc1
	s_waitcnt vmcnt(0)
	buffer_inv sc0 sc1
	v_and_b32_e32 v2, 1, v2
	s_branch .LBB3_17
.LBB3_22:
	global_load_dwordx2 v[6:7], v[0:1], off
	s_and_saveexec_b64 s[6:7], s[0:1]
	s_cbranch_execz .LBB3_25
; %bb.23:
	v_mov_b32_e32 v10, 0
	global_load_dwordx2 v[8:9], v10, s[2:3] offset:40
	global_load_dwordx2 v[12:13], v10, s[2:3] offset:24 sc0 sc1
	global_load_dwordx2 v[14:15], v10, s[2:3]
	s_mov_b64 s[0:1], 0
	s_waitcnt vmcnt(2)
	v_lshl_add_u64 v[0:1], v[8:9], 0, 1
	v_lshl_add_u64 v[16:17], v[0:1], 0, s[4:5]
	v_cmp_eq_u64_e32 vcc, 0, v[16:17]
	s_waitcnt vmcnt(1)
	v_mov_b32_e32 v2, v12
	v_cndmask_b32_e32 v1, v17, v1, vcc
	v_cndmask_b32_e32 v0, v16, v0, vcc
	v_and_b32_e32 v3, v1, v9
	v_and_b32_e32 v8, v0, v8
	v_mul_lo_u32 v3, v3, 24
	v_mul_hi_u32 v9, v8, 24
	v_mul_lo_u32 v8, v8, 24
	v_add_u32_e32 v9, v9, v3
	s_waitcnt vmcnt(0)
	v_lshl_add_u64 v[8:9], v[14:15], 0, v[8:9]
	global_store_dwordx2 v[8:9], v[12:13], off
	v_mov_b32_e32 v3, v13
	buffer_wbl2 sc0 sc1
	s_waitcnt vmcnt(0)
	global_atomic_cmpswap_x2 v[2:3], v10, v[0:3], s[2:3] offset:24 sc0 sc1
	s_waitcnt vmcnt(0)
	v_cmp_ne_u64_e32 vcc, v[2:3], v[12:13]
	s_and_b64 exec, exec, vcc
	s_cbranch_execz .LBB3_25
.LBB3_24:                               ; =>This Inner Loop Header: Depth=1
	s_sleep 1
	global_store_dwordx2 v[8:9], v[2:3], off
	buffer_wbl2 sc0 sc1
	s_waitcnt vmcnt(0)
	global_atomic_cmpswap_x2 v[12:13], v10, v[0:3], s[2:3] offset:24 sc0 sc1
	s_waitcnt vmcnt(0)
	v_cmp_eq_u64_e32 vcc, v[12:13], v[2:3]
	s_or_b64 s[0:1], vcc, s[0:1]
	v_mov_b64_e32 v[2:3], v[12:13]
	s_andn2_b64 exec, exec, s[0:1]
	s_cbranch_execnz .LBB3_24
.LBB3_25:
	s_or_b64 exec, exec, s[6:7]
	v_mov_b32_e32 v1, s33
	s_mov_b64 s[0:1], 0
.LBB3_26:                               ; =>This Inner Loop Header: Depth=1
	scratch_load_ubyte v2, v1, off
	v_add_u32_e32 v0, 1, v1
	v_mov_b32_e32 v1, v0
	s_waitcnt vmcnt(0)
	v_cmp_eq_u16_e32 vcc, 0, v2
	s_or_b64 s[0:1], vcc, s[0:1]
	s_andn2_b64 exec, exec, s[0:1]
	s_cbranch_execnz .LBB3_26
; %bb.27:
	s_or_b64 exec, exec, s[0:1]
	v_mov_b32_e32 v31, s33
	v_cmp_ne_u32_e32 vcc, -1, v31
	s_cbranch_vccz .LBB3_112
; %bb.28:
	v_subrev_u32_e32 v28, s33, v0
	v_ashrrev_i32_e32 v29, 31, v28
	v_and_b32_e32 v30, 2, v6
	v_mov_b32_e32 v33, 0
	v_and_b32_e32 v0, -3, v6
	v_mov_b32_e32 v1, v7
	s_mov_b64 s[4:5], 0
	s_mov_b32 s16, 0
	s_movk_i32 s17, 0xff1f
	v_mov_b32_e32 v10, 2
	v_mov_b32_e32 v11, 1
	s_branch .LBB3_30
.LBB3_29:                               ;   in Loop: Header=BB3_30 Depth=1
	s_or_b64 exec, exec, s[10:11]
	v_sub_co_u32_e32 v28, vcc, v28, v34
	v_add_u32_e32 v31, v31, v34
	s_nop 0
	v_subb_co_u32_e32 v29, vcc, v29, v35, vcc
	v_cmp_eq_u64_e32 vcc, 0, v[28:29]
	s_or_b64 s[4:5], vcc, s[4:5]
	s_andn2_b64 exec, exec, s[4:5]
	s_cbranch_execz .LBB3_113
.LBB3_30:                               ; =>This Loop Header: Depth=1
                                        ;     Child Loop BB3_33 Depth 2
                                        ;     Child Loop BB3_41 Depth 2
	;; [unrolled: 1-line block ×11, first 2 shown]
	v_cmp_gt_u64_e32 vcc, 56, v[28:29]
                                        ; implicit-def: $vgpr2_vgpr3
                                        ; implicit-def: $sgpr6
	s_nop 1
	v_cndmask_b32_e32 v35, 0, v29, vcc
	v_cndmask_b32_e32 v34, 56, v28, vcc
	v_cmp_gt_u64_e32 vcc, 8, v[28:29]
	s_and_saveexec_b64 s[0:1], vcc
	s_xor_b64 s[0:1], exec, s[0:1]
	s_cbranch_execz .LBB3_36
; %bb.31:                               ;   in Loop: Header=BB3_30 Depth=1
	s_mov_b64 s[10:11], 0
	v_cmp_ne_u64_e32 vcc, 0, v[28:29]
	s_waitcnt vmcnt(0)
	v_mov_b64_e32 v[2:3], 0
	s_and_saveexec_b64 s[6:7], vcc
	s_cbranch_execz .LBB3_35
; %bb.32:                               ;   in Loop: Header=BB3_30 Depth=1
	v_lshlrev_b64 v[8:9], 3, v[34:35]
	v_mov_b64_e32 v[2:3], 0
	s_mov_b64 s[12:13], 0
	v_mov_b32_e32 v9, v31
.LBB3_33:                               ;   Parent Loop BB3_30 Depth=1
                                        ; =>  This Inner Loop Header: Depth=2
	scratch_load_ubyte v12, v9, off
	v_mov_b32_e32 v13, s16
	v_add_u32_e32 v9, 1, v9
	s_waitcnt vmcnt(0)
	v_and_b32_e32 v12, 0xffff, v12
	v_lshlrev_b64 v[12:13], s12, v[12:13]
	s_add_u32 s12, s12, 8
	s_addc_u32 s13, s13, 0
	v_cmp_eq_u32_e32 vcc, s12, v8
	v_or_b32_e32 v3, v13, v3
	s_or_b64 s[10:11], vcc, s[10:11]
	v_or_b32_e32 v2, v12, v2
	s_andn2_b64 exec, exec, s[10:11]
	s_cbranch_execnz .LBB3_33
; %bb.34:                               ;   in Loop: Header=BB3_30 Depth=1
	s_or_b64 exec, exec, s[10:11]
.LBB3_35:                               ;   in Loop: Header=BB3_30 Depth=1
	s_or_b64 exec, exec, s[6:7]
	s_mov_b32 s6, 0
.LBB3_36:                               ;   in Loop: Header=BB3_30 Depth=1
	s_or_saveexec_b64 s[0:1], s[0:1]
	v_mov_b32_e32 v9, s6
	v_mov_b32_e32 v8, v31
	s_xor_b64 exec, exec, s[0:1]
	s_cbranch_execz .LBB3_38
; %bb.37:                               ;   in Loop: Header=BB3_30 Depth=1
	scratch_load_dwordx2 v[2:3], v31, off
	v_add_u32_e32 v9, -8, v34
	s_waitcnt vmcnt(0)
	v_and_b32_e32 v8, 0xff, v3
	v_and_b32_e32 v12, 0xff00, v3
	;; [unrolled: 1-line block ×4, first 2 shown]
	v_or_b32_e32 v8, v8, v12
	v_or3_b32 v2, v2, 0, 0
	v_or3_b32 v3, v8, v13, v3
	v_add_u32_e32 v8, 8, v31
.LBB3_38:                               ;   in Loop: Header=BB3_30 Depth=1
	s_or_b64 exec, exec, s[0:1]
	v_cmp_gt_u32_e32 vcc, 8, v9
                                        ; implicit-def: $vgpr12_vgpr13
                                        ; implicit-def: $sgpr6
	s_and_saveexec_b64 s[0:1], vcc
	s_xor_b64 s[0:1], exec, s[0:1]
	s_cbranch_execz .LBB3_44
; %bb.39:                               ;   in Loop: Header=BB3_30 Depth=1
	v_cmp_ne_u32_e32 vcc, 0, v9
	v_mov_b64_e32 v[12:13], 0
	s_and_saveexec_b64 s[6:7], vcc
	s_cbranch_execz .LBB3_43
; %bb.40:                               ;   in Loop: Header=BB3_30 Depth=1
	s_mov_b32 s14, 0
	s_mov_b64 s[10:11], 0
	v_mov_b64_e32 v[12:13], 0
	s_mov_b64 s[12:13], 0
.LBB3_41:                               ;   Parent Loop BB3_30 Depth=1
                                        ; =>  This Inner Loop Header: Depth=2
	v_add_u32_e32 v14, s14, v8
	scratch_load_ubyte v14, v14, off
	v_mov_b32_e32 v15, s16
	s_add_i32 s14, s14, 1
	v_cmp_eq_u32_e32 vcc, s14, v9
	s_waitcnt vmcnt(0)
	v_and_b32_e32 v14, 0xffff, v14
	v_lshlrev_b64 v[14:15], s12, v[14:15]
	s_add_u32 s12, s12, 8
	s_addc_u32 s13, s13, 0
	v_or_b32_e32 v13, v15, v13
	s_or_b64 s[10:11], vcc, s[10:11]
	v_or_b32_e32 v12, v14, v12
	s_andn2_b64 exec, exec, s[10:11]
	s_cbranch_execnz .LBB3_41
; %bb.42:                               ;   in Loop: Header=BB3_30 Depth=1
	s_or_b64 exec, exec, s[10:11]
.LBB3_43:                               ;   in Loop: Header=BB3_30 Depth=1
	s_or_b64 exec, exec, s[6:7]
	s_mov_b32 s6, 0
                                        ; implicit-def: $vgpr9
.LBB3_44:                               ;   in Loop: Header=BB3_30 Depth=1
	s_or_saveexec_b64 s[0:1], s[0:1]
	v_mov_b32_e32 v16, s6
	s_xor_b64 exec, exec, s[0:1]
	s_cbranch_execz .LBB3_46
; %bb.45:                               ;   in Loop: Header=BB3_30 Depth=1
	scratch_load_dwordx2 v[12:13], v8, off
	v_add_u32_e32 v16, -8, v9
	v_add_u32_e32 v8, 8, v8
	s_waitcnt vmcnt(0)
	v_and_b32_e32 v9, 0xff, v13
	v_and_b32_e32 v14, 0xff00, v13
	;; [unrolled: 1-line block ×4, first 2 shown]
	v_or_b32_e32 v9, v9, v14
	v_or3_b32 v12, v12, 0, 0
	v_or3_b32 v13, v9, v15, v13
.LBB3_46:                               ;   in Loop: Header=BB3_30 Depth=1
	s_or_b64 exec, exec, s[0:1]
	v_cmp_gt_u32_e32 vcc, 8, v16
                                        ; implicit-def: $sgpr6
	s_and_saveexec_b64 s[0:1], vcc
	s_xor_b64 s[0:1], exec, s[0:1]
	s_cbranch_execz .LBB3_52
; %bb.47:                               ;   in Loop: Header=BB3_30 Depth=1
	v_cmp_ne_u32_e32 vcc, 0, v16
	v_mov_b64_e32 v[14:15], 0
	s_and_saveexec_b64 s[6:7], vcc
	s_cbranch_execz .LBB3_51
; %bb.48:                               ;   in Loop: Header=BB3_30 Depth=1
	s_mov_b32 s14, 0
	s_mov_b64 s[10:11], 0
	v_mov_b64_e32 v[14:15], 0
	s_mov_b64 s[12:13], 0
.LBB3_49:                               ;   Parent Loop BB3_30 Depth=1
                                        ; =>  This Inner Loop Header: Depth=2
	v_add_u32_e32 v9, s14, v8
	scratch_load_ubyte v9, v9, off
	v_mov_b32_e32 v19, s16
	s_add_i32 s14, s14, 1
	v_cmp_eq_u32_e32 vcc, s14, v16
	s_waitcnt vmcnt(0)
	v_and_b32_e32 v18, 0xffff, v9
	v_lshlrev_b64 v[18:19], s12, v[18:19]
	s_add_u32 s12, s12, 8
	s_addc_u32 s13, s13, 0
	v_or_b32_e32 v15, v19, v15
	s_or_b64 s[10:11], vcc, s[10:11]
	v_or_b32_e32 v14, v18, v14
	s_andn2_b64 exec, exec, s[10:11]
	s_cbranch_execnz .LBB3_49
; %bb.50:                               ;   in Loop: Header=BB3_30 Depth=1
	s_or_b64 exec, exec, s[10:11]
.LBB3_51:                               ;   in Loop: Header=BB3_30 Depth=1
	s_or_b64 exec, exec, s[6:7]
	s_mov_b32 s6, 0
                                        ; implicit-def: $vgpr16
.LBB3_52:                               ;   in Loop: Header=BB3_30 Depth=1
	s_or_saveexec_b64 s[0:1], s[0:1]
	v_mov_b32_e32 v9, s6
	s_xor_b64 exec, exec, s[0:1]
	s_cbranch_execz .LBB3_54
; %bb.53:                               ;   in Loop: Header=BB3_30 Depth=1
	scratch_load_dwordx2 v[14:15], v8, off
	v_add_u32_e32 v9, -8, v16
	v_add_u32_e32 v8, 8, v8
	s_waitcnt vmcnt(0)
	v_and_b32_e32 v16, 0xff, v15
	v_and_b32_e32 v17, 0xff00, v15
	;; [unrolled: 1-line block ×4, first 2 shown]
	v_or_b32_e32 v16, v16, v17
	v_or3_b32 v14, v14, 0, 0
	v_or3_b32 v15, v16, v18, v15
.LBB3_54:                               ;   in Loop: Header=BB3_30 Depth=1
	s_or_b64 exec, exec, s[0:1]
	v_cmp_gt_u32_e32 vcc, 8, v9
                                        ; implicit-def: $vgpr16_vgpr17
                                        ; implicit-def: $sgpr6
	s_and_saveexec_b64 s[0:1], vcc
	s_xor_b64 s[0:1], exec, s[0:1]
	s_cbranch_execz .LBB3_60
; %bb.55:                               ;   in Loop: Header=BB3_30 Depth=1
	v_cmp_ne_u32_e32 vcc, 0, v9
	v_mov_b64_e32 v[16:17], 0
	s_and_saveexec_b64 s[6:7], vcc
	s_cbranch_execz .LBB3_59
; %bb.56:                               ;   in Loop: Header=BB3_30 Depth=1
	s_mov_b32 s14, 0
	s_mov_b64 s[10:11], 0
	v_mov_b64_e32 v[16:17], 0
	s_mov_b64 s[12:13], 0
.LBB3_57:                               ;   Parent Loop BB3_30 Depth=1
                                        ; =>  This Inner Loop Header: Depth=2
	v_add_u32_e32 v18, s14, v8
	scratch_load_ubyte v18, v18, off
	v_mov_b32_e32 v19, s16
	s_add_i32 s14, s14, 1
	v_cmp_eq_u32_e32 vcc, s14, v9
	s_waitcnt vmcnt(0)
	v_and_b32_e32 v18, 0xffff, v18
	v_lshlrev_b64 v[18:19], s12, v[18:19]
	s_add_u32 s12, s12, 8
	s_addc_u32 s13, s13, 0
	v_or_b32_e32 v17, v19, v17
	s_or_b64 s[10:11], vcc, s[10:11]
	v_or_b32_e32 v16, v18, v16
	s_andn2_b64 exec, exec, s[10:11]
	s_cbranch_execnz .LBB3_57
; %bb.58:                               ;   in Loop: Header=BB3_30 Depth=1
	s_or_b64 exec, exec, s[10:11]
.LBB3_59:                               ;   in Loop: Header=BB3_30 Depth=1
	s_or_b64 exec, exec, s[6:7]
	s_mov_b32 s6, 0
                                        ; implicit-def: $vgpr9
.LBB3_60:                               ;   in Loop: Header=BB3_30 Depth=1
	s_or_saveexec_b64 s[0:1], s[0:1]
	v_mov_b32_e32 v20, s6
	s_xor_b64 exec, exec, s[0:1]
	s_cbranch_execz .LBB3_62
; %bb.61:                               ;   in Loop: Header=BB3_30 Depth=1
	scratch_load_dwordx2 v[16:17], v8, off
	v_add_u32_e32 v20, -8, v9
	v_add_u32_e32 v8, 8, v8
	s_waitcnt vmcnt(0)
	v_and_b32_e32 v9, 0xff, v17
	v_and_b32_e32 v18, 0xff00, v17
	;; [unrolled: 1-line block ×4, first 2 shown]
	v_or_b32_e32 v9, v9, v18
	v_or3_b32 v16, v16, 0, 0
	v_or3_b32 v17, v9, v19, v17
.LBB3_62:                               ;   in Loop: Header=BB3_30 Depth=1
	s_or_b64 exec, exec, s[0:1]
	v_cmp_gt_u32_e32 vcc, 8, v20
                                        ; implicit-def: $sgpr6
	s_and_saveexec_b64 s[0:1], vcc
	s_xor_b64 s[0:1], exec, s[0:1]
	s_cbranch_execz .LBB3_68
; %bb.63:                               ;   in Loop: Header=BB3_30 Depth=1
	v_cmp_ne_u32_e32 vcc, 0, v20
	v_mov_b64_e32 v[18:19], 0
	s_and_saveexec_b64 s[6:7], vcc
	s_cbranch_execz .LBB3_67
; %bb.64:                               ;   in Loop: Header=BB3_30 Depth=1
	s_mov_b32 s14, 0
	s_mov_b64 s[10:11], 0
	v_mov_b64_e32 v[18:19], 0
	s_mov_b64 s[12:13], 0
.LBB3_65:                               ;   Parent Loop BB3_30 Depth=1
                                        ; =>  This Inner Loop Header: Depth=2
	v_add_u32_e32 v9, s14, v8
	scratch_load_ubyte v9, v9, off
	v_mov_b32_e32 v23, s16
	s_add_i32 s14, s14, 1
	v_cmp_eq_u32_e32 vcc, s14, v20
	s_waitcnt vmcnt(0)
	v_and_b32_e32 v22, 0xffff, v9
	v_lshlrev_b64 v[22:23], s12, v[22:23]
	s_add_u32 s12, s12, 8
	s_addc_u32 s13, s13, 0
	v_or_b32_e32 v19, v23, v19
	s_or_b64 s[10:11], vcc, s[10:11]
	v_or_b32_e32 v18, v22, v18
	s_andn2_b64 exec, exec, s[10:11]
	s_cbranch_execnz .LBB3_65
; %bb.66:                               ;   in Loop: Header=BB3_30 Depth=1
	s_or_b64 exec, exec, s[10:11]
.LBB3_67:                               ;   in Loop: Header=BB3_30 Depth=1
	s_or_b64 exec, exec, s[6:7]
	s_mov_b32 s6, 0
                                        ; implicit-def: $vgpr20
.LBB3_68:                               ;   in Loop: Header=BB3_30 Depth=1
	s_or_saveexec_b64 s[0:1], s[0:1]
	v_mov_b32_e32 v9, s6
	s_xor_b64 exec, exec, s[0:1]
	s_cbranch_execz .LBB3_70
; %bb.69:                               ;   in Loop: Header=BB3_30 Depth=1
	scratch_load_dwordx2 v[18:19], v8, off
	v_add_u32_e32 v9, -8, v20
	v_add_u32_e32 v8, 8, v8
	s_waitcnt vmcnt(0)
	v_and_b32_e32 v20, 0xff, v19
	v_and_b32_e32 v21, 0xff00, v19
	;; [unrolled: 1-line block ×4, first 2 shown]
	v_or_b32_e32 v20, v20, v21
	v_or3_b32 v18, v18, 0, 0
	v_or3_b32 v19, v20, v22, v19
.LBB3_70:                               ;   in Loop: Header=BB3_30 Depth=1
	s_or_b64 exec, exec, s[0:1]
	v_cmp_gt_u32_e32 vcc, 8, v9
                                        ; implicit-def: $vgpr20_vgpr21
                                        ; implicit-def: $sgpr6
	s_and_saveexec_b64 s[0:1], vcc
	s_xor_b64 s[0:1], exec, s[0:1]
	s_cbranch_execz .LBB3_76
; %bb.71:                               ;   in Loop: Header=BB3_30 Depth=1
	v_cmp_ne_u32_e32 vcc, 0, v9
	v_mov_b64_e32 v[20:21], 0
	s_and_saveexec_b64 s[6:7], vcc
	s_cbranch_execz .LBB3_75
; %bb.72:                               ;   in Loop: Header=BB3_30 Depth=1
	s_mov_b32 s14, 0
	s_mov_b64 s[10:11], 0
	v_mov_b64_e32 v[20:21], 0
	s_mov_b64 s[12:13], 0
.LBB3_73:                               ;   Parent Loop BB3_30 Depth=1
                                        ; =>  This Inner Loop Header: Depth=2
	v_add_u32_e32 v22, s14, v8
	scratch_load_ubyte v22, v22, off
	v_mov_b32_e32 v23, s16
	s_add_i32 s14, s14, 1
	v_cmp_eq_u32_e32 vcc, s14, v9
	s_waitcnt vmcnt(0)
	v_and_b32_e32 v22, 0xffff, v22
	v_lshlrev_b64 v[22:23], s12, v[22:23]
	s_add_u32 s12, s12, 8
	s_addc_u32 s13, s13, 0
	v_or_b32_e32 v21, v23, v21
	s_or_b64 s[10:11], vcc, s[10:11]
	v_or_b32_e32 v20, v22, v20
	s_andn2_b64 exec, exec, s[10:11]
	s_cbranch_execnz .LBB3_73
; %bb.74:                               ;   in Loop: Header=BB3_30 Depth=1
	s_or_b64 exec, exec, s[10:11]
.LBB3_75:                               ;   in Loop: Header=BB3_30 Depth=1
	s_or_b64 exec, exec, s[6:7]
	s_mov_b32 s6, 0
                                        ; implicit-def: $vgpr9
.LBB3_76:                               ;   in Loop: Header=BB3_30 Depth=1
	s_or_saveexec_b64 s[0:1], s[0:1]
	v_mov_b32_e32 v24, s6
	s_xor_b64 exec, exec, s[0:1]
	s_cbranch_execz .LBB3_78
; %bb.77:                               ;   in Loop: Header=BB3_30 Depth=1
	scratch_load_dwordx2 v[20:21], v8, off
	v_add_u32_e32 v24, -8, v9
	v_add_u32_e32 v8, 8, v8
	s_waitcnt vmcnt(0)
	v_and_b32_e32 v9, 0xff, v21
	v_and_b32_e32 v22, 0xff00, v21
	;; [unrolled: 1-line block ×4, first 2 shown]
	v_or_b32_e32 v9, v9, v22
	v_or3_b32 v20, v20, 0, 0
	v_or3_b32 v21, v9, v23, v21
.LBB3_78:                               ;   in Loop: Header=BB3_30 Depth=1
	s_or_b64 exec, exec, s[0:1]
	v_cmp_gt_u32_e32 vcc, 8, v24
	s_and_saveexec_b64 s[0:1], vcc
	s_xor_b64 s[0:1], exec, s[0:1]
	s_cbranch_execz .LBB3_84
; %bb.79:                               ;   in Loop: Header=BB3_30 Depth=1
	v_cmp_ne_u32_e32 vcc, 0, v24
	v_mov_b64_e32 v[22:23], 0
	s_and_saveexec_b64 s[6:7], vcc
	s_cbranch_execz .LBB3_83
; %bb.80:                               ;   in Loop: Header=BB3_30 Depth=1
	s_mov_b64 s[10:11], 0
	v_mov_b64_e32 v[22:23], 0
	s_mov_b64 s[12:13], 0
.LBB3_81:                               ;   Parent Loop BB3_30 Depth=1
                                        ; =>  This Inner Loop Header: Depth=2
	scratch_load_ubyte v9, v8, off
	v_mov_b32_e32 v27, s16
	v_add_u32_e32 v24, -1, v24
	v_cmp_eq_u32_e32 vcc, 0, v24
	v_add_u32_e32 v8, 1, v8
	s_waitcnt vmcnt(0)
	v_and_b32_e32 v26, 0xffff, v9
	v_lshlrev_b64 v[26:27], s12, v[26:27]
	s_add_u32 s12, s12, 8
	s_addc_u32 s13, s13, 0
	v_or_b32_e32 v23, v27, v23
	s_or_b64 s[10:11], vcc, s[10:11]
	v_or_b32_e32 v22, v26, v22
	s_andn2_b64 exec, exec, s[10:11]
	s_cbranch_execnz .LBB3_81
; %bb.82:                               ;   in Loop: Header=BB3_30 Depth=1
	s_or_b64 exec, exec, s[10:11]
.LBB3_83:                               ;   in Loop: Header=BB3_30 Depth=1
	s_or_b64 exec, exec, s[6:7]
                                        ; implicit-def: $vgpr8
.LBB3_84:                               ;   in Loop: Header=BB3_30 Depth=1
	s_andn2_saveexec_b64 s[0:1], s[0:1]
	s_cbranch_execz .LBB3_86
; %bb.85:                               ;   in Loop: Header=BB3_30 Depth=1
	scratch_load_dwordx2 v[8:9], v8, off
	s_waitcnt vmcnt(0)
	v_and_b32_e32 v22, 0xff, v9
	v_and_b32_e32 v23, 0xff00, v9
	;; [unrolled: 1-line block ×4, first 2 shown]
	v_or_b32_e32 v22, v22, v23
	v_or3_b32 v23, v22, v24, v9
	v_or3_b32 v22, v8, 0, 0
.LBB3_86:                               ;   in Loop: Header=BB3_30 Depth=1
	s_or_b64 exec, exec, s[0:1]
	v_readfirstlane_b32 s0, v38
	v_mov_b64_e32 v[8:9], 0
	s_nop 0
	v_cmp_eq_u32_e64 s[0:1], s0, v38
	s_and_saveexec_b64 s[6:7], s[0:1]
	s_cbranch_execz .LBB3_92
; %bb.87:                               ;   in Loop: Header=BB3_30 Depth=1
	global_load_dwordx2 v[26:27], v33, s[2:3] offset:24 sc0 sc1
	s_waitcnt vmcnt(0)
	buffer_inv sc0 sc1
	global_load_dwordx2 v[8:9], v33, s[2:3] offset:40
	global_load_dwordx2 v[24:25], v33, s[2:3]
	s_waitcnt vmcnt(1)
	v_and_b32_e32 v8, v8, v26
	v_and_b32_e32 v9, v9, v27
	v_mul_lo_u32 v9, v9, 24
	v_mul_hi_u32 v36, v8, 24
	v_add_u32_e32 v9, v36, v9
	v_mul_lo_u32 v8, v8, 24
	s_waitcnt vmcnt(0)
	v_lshl_add_u64 v[8:9], v[24:25], 0, v[8:9]
	global_load_dwordx2 v[24:25], v[8:9], off sc0 sc1
	s_waitcnt vmcnt(0)
	global_atomic_cmpswap_x2 v[8:9], v33, v[24:27], s[2:3] offset:24 sc0 sc1
	s_waitcnt vmcnt(0)
	buffer_inv sc0 sc1
	v_cmp_ne_u64_e32 vcc, v[8:9], v[26:27]
	s_and_saveexec_b64 s[10:11], vcc
	s_cbranch_execz .LBB3_91
; %bb.88:                               ;   in Loop: Header=BB3_30 Depth=1
	s_mov_b64 s[12:13], 0
.LBB3_89:                               ;   Parent Loop BB3_30 Depth=1
                                        ; =>  This Inner Loop Header: Depth=2
	s_sleep 1
	global_load_dwordx2 v[24:25], v33, s[2:3] offset:40
	global_load_dwordx2 v[36:37], v33, s[2:3]
	v_mov_b64_e32 v[26:27], v[8:9]
	s_waitcnt vmcnt(1)
	v_and_b32_e32 v8, v24, v26
	s_waitcnt vmcnt(0)
	v_mad_u64_u32 v[8:9], s[14:15], v8, 24, v[36:37]
	v_and_b32_e32 v25, v25, v27
	v_mov_b32_e32 v24, v9
	v_mad_u64_u32 v[24:25], s[14:15], v25, 24, v[24:25]
	v_mov_b32_e32 v9, v24
	global_load_dwordx2 v[24:25], v[8:9], off sc0 sc1
	s_waitcnt vmcnt(0)
	global_atomic_cmpswap_x2 v[8:9], v33, v[24:27], s[2:3] offset:24 sc0 sc1
	s_waitcnt vmcnt(0)
	buffer_inv sc0 sc1
	v_cmp_eq_u64_e32 vcc, v[8:9], v[26:27]
	s_or_b64 s[12:13], vcc, s[12:13]
	s_andn2_b64 exec, exec, s[12:13]
	s_cbranch_execnz .LBB3_89
; %bb.90:                               ;   in Loop: Header=BB3_30 Depth=1
	s_or_b64 exec, exec, s[12:13]
.LBB3_91:                               ;   in Loop: Header=BB3_30 Depth=1
	s_or_b64 exec, exec, s[10:11]
.LBB3_92:                               ;   in Loop: Header=BB3_30 Depth=1
	s_or_b64 exec, exec, s[6:7]
	global_load_dwordx2 v[36:37], v33, s[2:3] offset:40
	global_load_dwordx4 v[24:27], v33, s[2:3]
	v_readfirstlane_b32 s6, v8
	v_readfirstlane_b32 s7, v9
	s_mov_b64 s[10:11], exec
	s_waitcnt vmcnt(1)
	v_readfirstlane_b32 s12, v36
	v_readfirstlane_b32 s13, v37
	s_and_b64 s[12:13], s[6:7], s[12:13]
	s_mul_i32 s14, s13, 24
	s_mul_hi_u32 s15, s12, 24
	s_add_i32 s15, s15, s14
	s_mul_i32 s14, s12, 24
	s_waitcnt vmcnt(0)
	v_lshl_add_u64 v[36:37], v[24:25], 0, s[14:15]
	s_and_saveexec_b64 s[14:15], s[0:1]
	s_cbranch_execz .LBB3_94
; %bb.93:                               ;   in Loop: Header=BB3_30 Depth=1
	v_mov_b64_e32 v[8:9], s[10:11]
	global_store_dwordx4 v[36:37], v[8:11], off offset:8
.LBB3_94:                               ;   in Loop: Header=BB3_30 Depth=1
	s_or_b64 exec, exec, s[14:15]
	s_lshl_b64 s[10:11], s[12:13], 12
	v_lshl_add_u64 v[8:9], v[26:27], 0, s[10:11]
	v_or_b32_e32 v26, 0, v1
	v_cmp_lt_u64_e32 vcc, 56, v[28:29]
	v_or_b32_e32 v27, v0, v30
	v_readfirstlane_b32 s10, v8
	v_cndmask_b32_e32 v1, v26, v1, vcc
	v_lshl_add_u32 v26, v34, 2, 28
	v_cndmask_b32_e32 v0, v27, v0, vcc
	v_and_b32_e32 v26, 0x1e0, v26
	v_and_or_b32 v0, v0, s17, v26
	v_readfirstlane_b32 s11, v9
	s_nop 4
	global_store_dwordx4 v32, v[0:3], s[10:11]
	global_store_dwordx4 v32, v[12:15], s[10:11] offset:16
	global_store_dwordx4 v32, v[16:19], s[10:11] offset:32
	global_store_dwordx4 v32, v[20:23], s[10:11] offset:48
	s_and_saveexec_b64 s[10:11], s[0:1]
	s_cbranch_execz .LBB3_102
; %bb.95:                               ;   in Loop: Header=BB3_30 Depth=1
	global_load_dwordx2 v[16:17], v33, s[2:3] offset:32 sc0 sc1
	global_load_dwordx2 v[0:1], v33, s[2:3] offset:40
	v_mov_b32_e32 v14, s6
	v_mov_b32_e32 v15, s7
	s_waitcnt vmcnt(0)
	v_readfirstlane_b32 s12, v0
	v_readfirstlane_b32 s13, v1
	s_and_b64 s[12:13], s[12:13], s[6:7]
	s_mul_i32 s13, s13, 24
	s_mul_hi_u32 s14, s12, 24
	s_mul_i32 s12, s12, 24
	s_add_i32 s13, s14, s13
	v_lshl_add_u64 v[12:13], v[24:25], 0, s[12:13]
	global_store_dwordx2 v[12:13], v[16:17], off
	buffer_wbl2 sc0 sc1
	s_waitcnt vmcnt(0)
	global_atomic_cmpswap_x2 v[2:3], v33, v[14:17], s[2:3] offset:32 sc0 sc1
	s_waitcnt vmcnt(0)
	v_cmp_ne_u64_e32 vcc, v[2:3], v[16:17]
	s_and_saveexec_b64 s[12:13], vcc
	s_cbranch_execz .LBB3_98
; %bb.96:                               ;   in Loop: Header=BB3_30 Depth=1
	s_mov_b64 s[14:15], 0
.LBB3_97:                               ;   Parent Loop BB3_30 Depth=1
                                        ; =>  This Inner Loop Header: Depth=2
	s_sleep 1
	global_store_dwordx2 v[12:13], v[2:3], off
	v_mov_b32_e32 v0, s6
	v_mov_b32_e32 v1, s7
	buffer_wbl2 sc0 sc1
	s_waitcnt vmcnt(0)
	global_atomic_cmpswap_x2 v[0:1], v33, v[0:3], s[2:3] offset:32 sc0 sc1
	s_waitcnt vmcnt(0)
	v_cmp_eq_u64_e32 vcc, v[0:1], v[2:3]
	s_or_b64 s[14:15], vcc, s[14:15]
	v_mov_b64_e32 v[2:3], v[0:1]
	s_andn2_b64 exec, exec, s[14:15]
	s_cbranch_execnz .LBB3_97
.LBB3_98:                               ;   in Loop: Header=BB3_30 Depth=1
	s_or_b64 exec, exec, s[12:13]
	global_load_dwordx2 v[0:1], v33, s[2:3] offset:16
	s_mov_b64 s[14:15], exec
	v_mbcnt_lo_u32_b32 v2, s14, 0
	v_mbcnt_hi_u32_b32 v2, s15, v2
	v_cmp_eq_u32_e32 vcc, 0, v2
	s_and_saveexec_b64 s[12:13], vcc
	s_cbranch_execz .LBB3_100
; %bb.99:                               ;   in Loop: Header=BB3_30 Depth=1
	s_bcnt1_i32_b64 s14, s[14:15]
	v_mov_b32_e32 v2, s14
	v_mov_b32_e32 v3, v33
	buffer_wbl2 sc0 sc1
	s_waitcnt vmcnt(0)
	global_atomic_add_x2 v[0:1], v[2:3], off offset:8 sc1
.LBB3_100:                              ;   in Loop: Header=BB3_30 Depth=1
	s_or_b64 exec, exec, s[12:13]
	s_waitcnt vmcnt(0)
	global_load_dwordx2 v[2:3], v[0:1], off offset:16
	s_waitcnt vmcnt(0)
	v_cmp_eq_u64_e32 vcc, 0, v[2:3]
	s_cbranch_vccnz .LBB3_102
; %bb.101:                              ;   in Loop: Header=BB3_30 Depth=1
	global_load_dword v0, v[0:1], off offset:24
	v_mov_b32_e32 v1, v33
	buffer_wbl2 sc0 sc1
	s_waitcnt vmcnt(0)
	global_store_dwordx2 v[2:3], v[0:1], off sc0 sc1
	v_and_b32_e32 v0, 0xffffff, v0
	s_nop 0
	v_readfirstlane_b32 m0, v0
	s_sendmsg sendmsg(MSG_INTERRUPT)
.LBB3_102:                              ;   in Loop: Header=BB3_30 Depth=1
	s_or_b64 exec, exec, s[10:11]
	v_lshl_add_u64 v[0:1], v[8:9], 0, v[32:33]
	s_branch .LBB3_106
.LBB3_103:                              ;   in Loop: Header=BB3_106 Depth=2
	s_or_b64 exec, exec, s[10:11]
	v_readfirstlane_b32 s10, v2
	s_cmp_eq_u32 s10, 0
	s_cbranch_scc1 .LBB3_105
; %bb.104:                              ;   in Loop: Header=BB3_106 Depth=2
	s_sleep 1
	s_cbranch_execnz .LBB3_106
	s_branch .LBB3_108
.LBB3_105:                              ;   in Loop: Header=BB3_30 Depth=1
	s_branch .LBB3_108
.LBB3_106:                              ;   Parent Loop BB3_30 Depth=1
                                        ; =>  This Inner Loop Header: Depth=2
	v_mov_b32_e32 v2, 1
	s_and_saveexec_b64 s[10:11], s[0:1]
	s_cbranch_execz .LBB3_103
; %bb.107:                              ;   in Loop: Header=BB3_106 Depth=2
	global_load_dword v2, v[36:37], off offset:20 sc0 sc1
	s_waitcnt vmcnt(0)
	buffer_inv sc0 sc1
	v_and_b32_e32 v2, 1, v2
	s_branch .LBB3_103
.LBB3_108:                              ;   in Loop: Header=BB3_30 Depth=1
	global_load_dwordx4 v[0:3], v[0:1], off
	s_and_saveexec_b64 s[10:11], s[0:1]
	s_cbranch_execz .LBB3_29
; %bb.109:                              ;   in Loop: Header=BB3_30 Depth=1
	global_load_dwordx2 v[2:3], v33, s[2:3] offset:40
	global_load_dwordx2 v[8:9], v33, s[2:3] offset:24 sc0 sc1
	global_load_dwordx2 v[16:17], v33, s[2:3]
	s_waitcnt vmcnt(2)
	v_lshl_add_u64 v[12:13], v[2:3], 0, 1
	v_lshl_add_u64 v[18:19], v[12:13], 0, s[6:7]
	v_cmp_eq_u64_e32 vcc, 0, v[18:19]
	s_waitcnt vmcnt(1)
	v_mov_b32_e32 v14, v8
	v_cndmask_b32_e32 v13, v19, v13, vcc
	v_cndmask_b32_e32 v12, v18, v12, vcc
	v_and_b32_e32 v3, v13, v3
	v_and_b32_e32 v2, v12, v2
	v_mul_lo_u32 v3, v3, 24
	v_mul_hi_u32 v15, v2, 24
	v_mul_lo_u32 v2, v2, 24
	v_add_u32_e32 v3, v15, v3
	s_waitcnt vmcnt(0)
	v_lshl_add_u64 v[2:3], v[16:17], 0, v[2:3]
	global_store_dwordx2 v[2:3], v[8:9], off
	v_mov_b32_e32 v15, v9
	buffer_wbl2 sc0 sc1
	s_waitcnt vmcnt(0)
	global_atomic_cmpswap_x2 v[14:15], v33, v[12:15], s[2:3] offset:24 sc0 sc1
	s_waitcnt vmcnt(0)
	v_cmp_ne_u64_e32 vcc, v[14:15], v[8:9]
	s_and_b64 exec, exec, vcc
	s_cbranch_execz .LBB3_29
; %bb.110:                              ;   in Loop: Header=BB3_30 Depth=1
	s_mov_b64 s[0:1], 0
.LBB3_111:                              ;   Parent Loop BB3_30 Depth=1
                                        ; =>  This Inner Loop Header: Depth=2
	s_sleep 1
	global_store_dwordx2 v[2:3], v[14:15], off
	buffer_wbl2 sc0 sc1
	s_waitcnt vmcnt(0)
	global_atomic_cmpswap_x2 v[8:9], v33, v[12:15], s[2:3] offset:24 sc0 sc1
	s_waitcnt vmcnt(0)
	v_cmp_eq_u64_e32 vcc, v[8:9], v[14:15]
	s_or_b64 s[0:1], vcc, s[0:1]
	v_mov_b64_e32 v[14:15], v[8:9]
	s_andn2_b64 exec, exec, s[0:1]
	s_cbranch_execnz .LBB3_111
	s_branch .LBB3_29
.LBB3_112:
                                        ; implicit-def: $vgpr0_vgpr1
	s_cbranch_execnz .LBB3_114
	s_branch .LBB3_140
.LBB3_113:
	s_or_b64 exec, exec, s[4:5]
	s_branch .LBB3_140
.LBB3_114:
	v_readfirstlane_b32 s0, v38
	v_mov_b64_e32 v[8:9], 0
	s_nop 0
	v_cmp_eq_u32_e64 s[0:1], s0, v38
	s_and_saveexec_b64 s[4:5], s[0:1]
	s_cbranch_execz .LBB3_120
; %bb.115:
	s_waitcnt vmcnt(0)
	v_mov_b32_e32 v0, 0
	global_load_dwordx2 v[10:11], v0, s[2:3] offset:24 sc0 sc1
	s_waitcnt vmcnt(0)
	buffer_inv sc0 sc1
	global_load_dwordx2 v[2:3], v0, s[2:3] offset:40
	global_load_dwordx2 v[8:9], v0, s[2:3]
	s_waitcnt vmcnt(1)
	v_and_b32_e32 v1, v2, v10
	v_and_b32_e32 v2, v3, v11
	v_mul_lo_u32 v2, v2, 24
	v_mul_hi_u32 v3, v1, 24
	v_add_u32_e32 v3, v3, v2
	v_mul_lo_u32 v2, v1, 24
	s_waitcnt vmcnt(0)
	v_lshl_add_u64 v[2:3], v[8:9], 0, v[2:3]
	global_load_dwordx2 v[8:9], v[2:3], off sc0 sc1
	s_waitcnt vmcnt(0)
	global_atomic_cmpswap_x2 v[8:9], v0, v[8:11], s[2:3] offset:24 sc0 sc1
	s_waitcnt vmcnt(0)
	buffer_inv sc0 sc1
	v_cmp_ne_u64_e32 vcc, v[8:9], v[10:11]
	s_and_saveexec_b64 s[6:7], vcc
	s_cbranch_execz .LBB3_119
; %bb.116:
	s_mov_b64 s[10:11], 0
.LBB3_117:                              ; =>This Inner Loop Header: Depth=1
	s_sleep 1
	global_load_dwordx2 v[2:3], v0, s[2:3] offset:40
	global_load_dwordx2 v[12:13], v0, s[2:3]
	v_mov_b64_e32 v[10:11], v[8:9]
	s_waitcnt vmcnt(1)
	v_and_b32_e32 v2, v2, v10
	v_and_b32_e32 v1, v3, v11
	s_waitcnt vmcnt(0)
	v_mad_u64_u32 v[2:3], s[12:13], v2, 24, v[12:13]
	v_mov_b32_e32 v8, v3
	v_mad_u64_u32 v[8:9], s[12:13], v1, 24, v[8:9]
	v_mov_b32_e32 v3, v8
	global_load_dwordx2 v[8:9], v[2:3], off sc0 sc1
	s_waitcnt vmcnt(0)
	global_atomic_cmpswap_x2 v[8:9], v0, v[8:11], s[2:3] offset:24 sc0 sc1
	s_waitcnt vmcnt(0)
	buffer_inv sc0 sc1
	v_cmp_eq_u64_e32 vcc, v[8:9], v[10:11]
	s_or_b64 s[10:11], vcc, s[10:11]
	s_andn2_b64 exec, exec, s[10:11]
	s_cbranch_execnz .LBB3_117
; %bb.118:
	s_or_b64 exec, exec, s[10:11]
.LBB3_119:
	s_or_b64 exec, exec, s[6:7]
.LBB3_120:
	s_or_b64 exec, exec, s[4:5]
	v_mov_b32_e32 v33, 0
	global_load_dwordx2 v[10:11], v33, s[2:3] offset:40
	global_load_dwordx4 v[0:3], v33, s[2:3]
	v_readfirstlane_b32 s4, v8
	v_readfirstlane_b32 s5, v9
	s_mov_b64 s[6:7], exec
	s_waitcnt vmcnt(1)
	v_readfirstlane_b32 s10, v10
	v_readfirstlane_b32 s11, v11
	s_and_b64 s[10:11], s[4:5], s[10:11]
	s_mul_i32 s12, s11, 24
	s_mul_hi_u32 s13, s10, 24
	s_add_i32 s13, s13, s12
	s_mul_i32 s12, s10, 24
	s_waitcnt vmcnt(0)
	v_lshl_add_u64 v[10:11], v[0:1], 0, s[12:13]
	s_and_saveexec_b64 s[12:13], s[0:1]
	s_cbranch_execz .LBB3_122
; %bb.121:
	v_mov_b64_e32 v[12:13], s[6:7]
	v_mov_b32_e32 v14, 2
	v_mov_b32_e32 v15, 1
	global_store_dwordx4 v[10:11], v[12:15], off offset:8
.LBB3_122:
	s_or_b64 exec, exec, s[12:13]
	s_lshl_b64 s[6:7], s[10:11], 12
	v_lshl_add_u64 v[12:13], v[2:3], 0, s[6:7]
	s_movk_i32 s6, 0xff1f
	s_mov_b32 s12, 0
	v_and_or_b32 v6, v6, s6, 32
	v_mov_b32_e32 v8, v33
	v_mov_b32_e32 v9, v33
	v_readfirstlane_b32 s6, v12
	v_readfirstlane_b32 s7, v13
	s_mov_b32 s13, s12
	s_mov_b32 s14, s12
	;; [unrolled: 1-line block ×3, first 2 shown]
	s_nop 1
	global_store_dwordx4 v32, v[6:9], s[6:7]
	s_nop 1
	v_mov_b64_e32 v[6:7], s[12:13]
	v_mov_b64_e32 v[8:9], s[14:15]
	global_store_dwordx4 v32, v[6:9], s[6:7] offset:16
	global_store_dwordx4 v32, v[6:9], s[6:7] offset:32
	;; [unrolled: 1-line block ×3, first 2 shown]
	s_and_saveexec_b64 s[6:7], s[0:1]
	s_cbranch_execz .LBB3_130
; %bb.123:
	v_mov_b32_e32 v8, 0
	global_load_dwordx2 v[16:17], v8, s[2:3] offset:32 sc0 sc1
	global_load_dwordx2 v[2:3], v8, s[2:3] offset:40
	v_mov_b32_e32 v14, s4
	v_mov_b32_e32 v15, s5
	s_waitcnt vmcnt(0)
	v_readfirstlane_b32 s10, v2
	v_readfirstlane_b32 s11, v3
	s_and_b64 s[10:11], s[10:11], s[4:5]
	s_mul_i32 s11, s11, 24
	s_mul_hi_u32 s12, s10, 24
	s_mul_i32 s10, s10, 24
	s_add_i32 s11, s12, s11
	v_lshl_add_u64 v[6:7], v[0:1], 0, s[10:11]
	global_store_dwordx2 v[6:7], v[16:17], off
	buffer_wbl2 sc0 sc1
	s_waitcnt vmcnt(0)
	global_atomic_cmpswap_x2 v[2:3], v8, v[14:17], s[2:3] offset:32 sc0 sc1
	s_waitcnt vmcnt(0)
	v_cmp_ne_u64_e32 vcc, v[2:3], v[16:17]
	s_and_saveexec_b64 s[10:11], vcc
	s_cbranch_execz .LBB3_126
; %bb.124:
	s_mov_b64 s[12:13], 0
.LBB3_125:                              ; =>This Inner Loop Header: Depth=1
	s_sleep 1
	global_store_dwordx2 v[6:7], v[2:3], off
	v_mov_b32_e32 v0, s4
	v_mov_b32_e32 v1, s5
	buffer_wbl2 sc0 sc1
	s_waitcnt vmcnt(0)
	global_atomic_cmpswap_x2 v[0:1], v8, v[0:3], s[2:3] offset:32 sc0 sc1
	s_waitcnt vmcnt(0)
	v_cmp_eq_u64_e32 vcc, v[0:1], v[2:3]
	s_or_b64 s[12:13], vcc, s[12:13]
	v_mov_b64_e32 v[2:3], v[0:1]
	s_andn2_b64 exec, exec, s[12:13]
	s_cbranch_execnz .LBB3_125
.LBB3_126:
	s_or_b64 exec, exec, s[10:11]
	v_mov_b32_e32 v3, 0
	global_load_dwordx2 v[0:1], v3, s[2:3] offset:16
	s_mov_b64 s[10:11], exec
	v_mbcnt_lo_u32_b32 v2, s10, 0
	v_mbcnt_hi_u32_b32 v2, s11, v2
	v_cmp_eq_u32_e32 vcc, 0, v2
	s_and_saveexec_b64 s[12:13], vcc
	s_cbranch_execz .LBB3_128
; %bb.127:
	s_bcnt1_i32_b64 s10, s[10:11]
	v_mov_b32_e32 v2, s10
	buffer_wbl2 sc0 sc1
	s_waitcnt vmcnt(0)
	global_atomic_add_x2 v[0:1], v[2:3], off offset:8 sc1
.LBB3_128:
	s_or_b64 exec, exec, s[12:13]
	s_waitcnt vmcnt(0)
	global_load_dwordx2 v[2:3], v[0:1], off offset:16
	s_waitcnt vmcnt(0)
	v_cmp_eq_u64_e32 vcc, 0, v[2:3]
	s_cbranch_vccnz .LBB3_130
; %bb.129:
	global_load_dword v0, v[0:1], off offset:24
	v_mov_b32_e32 v1, 0
	buffer_wbl2 sc0 sc1
	s_waitcnt vmcnt(0)
	global_store_dwordx2 v[2:3], v[0:1], off sc0 sc1
	v_and_b32_e32 v0, 0xffffff, v0
	s_nop 0
	v_readfirstlane_b32 m0, v0
	s_sendmsg sendmsg(MSG_INTERRUPT)
.LBB3_130:
	s_or_b64 exec, exec, s[6:7]
	v_lshl_add_u64 v[0:1], v[12:13], 0, v[32:33]
	s_branch .LBB3_134
.LBB3_131:                              ;   in Loop: Header=BB3_134 Depth=1
	s_or_b64 exec, exec, s[6:7]
	v_readfirstlane_b32 s6, v2
	s_cmp_eq_u32 s6, 0
	s_cbranch_scc1 .LBB3_133
; %bb.132:                              ;   in Loop: Header=BB3_134 Depth=1
	s_sleep 1
	s_cbranch_execnz .LBB3_134
	s_branch .LBB3_136
.LBB3_133:
	s_branch .LBB3_136
.LBB3_134:                              ; =>This Inner Loop Header: Depth=1
	v_mov_b32_e32 v2, 1
	s_and_saveexec_b64 s[6:7], s[0:1]
	s_cbranch_execz .LBB3_131
; %bb.135:                              ;   in Loop: Header=BB3_134 Depth=1
	global_load_dword v2, v[10:11], off offset:20 sc0 sc1
	s_waitcnt vmcnt(0)
	buffer_inv sc0 sc1
	v_and_b32_e32 v2, 1, v2
	s_branch .LBB3_131
.LBB3_136:
	global_load_dwordx2 v[0:1], v[0:1], off
	s_and_saveexec_b64 s[6:7], s[0:1]
	s_cbranch_execz .LBB3_139
; %bb.137:
	v_mov_b32_e32 v10, 0
	global_load_dwordx2 v[2:3], v10, s[2:3] offset:40
	global_load_dwordx2 v[12:13], v10, s[2:3] offset:24 sc0 sc1
	global_load_dwordx2 v[14:15], v10, s[2:3]
	s_mov_b64 s[0:1], 0
	s_waitcnt vmcnt(2)
	v_lshl_add_u64 v[6:7], v[2:3], 0, 1
	v_lshl_add_u64 v[16:17], v[6:7], 0, s[4:5]
	v_cmp_eq_u64_e32 vcc, 0, v[16:17]
	s_waitcnt vmcnt(1)
	v_mov_b32_e32 v8, v12
	v_cndmask_b32_e32 v7, v17, v7, vcc
	v_cndmask_b32_e32 v6, v16, v6, vcc
	v_and_b32_e32 v3, v7, v3
	v_and_b32_e32 v2, v6, v2
	v_mul_lo_u32 v3, v3, 24
	v_mul_hi_u32 v9, v2, 24
	v_mul_lo_u32 v2, v2, 24
	v_add_u32_e32 v3, v9, v3
	s_waitcnt vmcnt(0)
	v_lshl_add_u64 v[2:3], v[14:15], 0, v[2:3]
	global_store_dwordx2 v[2:3], v[12:13], off
	v_mov_b32_e32 v9, v13
	buffer_wbl2 sc0 sc1
	s_waitcnt vmcnt(0)
	global_atomic_cmpswap_x2 v[8:9], v10, v[6:9], s[2:3] offset:24 sc0 sc1
	s_waitcnt vmcnt(0)
	v_cmp_ne_u64_e32 vcc, v[8:9], v[12:13]
	s_and_b64 exec, exec, vcc
	s_cbranch_execz .LBB3_139
.LBB3_138:                              ; =>This Inner Loop Header: Depth=1
	s_sleep 1
	global_store_dwordx2 v[2:3], v[8:9], off
	buffer_wbl2 sc0 sc1
	s_waitcnt vmcnt(0)
	global_atomic_cmpswap_x2 v[12:13], v10, v[6:9], s[2:3] offset:24 sc0 sc1
	s_waitcnt vmcnt(0)
	v_cmp_eq_u64_e32 vcc, v[12:13], v[8:9]
	s_or_b64 s[0:1], vcc, s[0:1]
	v_mov_b64_e32 v[8:9], v[12:13]
	s_andn2_b64 exec, exec, s[0:1]
	s_cbranch_execnz .LBB3_138
.LBB3_139:
	s_or_b64 exec, exec, s[6:7]
.LBB3_140:
	s_getpc_b64 s[4:5]
	s_add_u32 s4, s4, .str.2@rel32@lo+4
	s_addc_u32 s5, s5, .str.2@rel32@hi+12
	s_cmp_lg_u64 s[4:5], 0
	s_cbranch_scc0 .LBB3_224
; %bb.141:
	s_getpc_b64 s[0:1]
	s_add_u32 s0, s0, .str.2@rel32@lo+80
	s_addc_u32 s1, s1, .str.2@rel32@hi+88
	s_sub_i32 s6, s0, s4
	s_ashr_i32 s7, s6, 31
	s_waitcnt vmcnt(0)
	v_and_b32_e32 v2, 2, v0
	v_mov_b32_e32 v35, 0
	v_and_b32_e32 v6, -3, v0
	v_mov_b32_e32 v7, v1
	v_mov_b32_e32 v10, 2
	;; [unrolled: 1-line block ×3, first 2 shown]
	s_branch .LBB3_143
.LBB3_142:                              ;   in Loop: Header=BB3_143 Depth=1
	s_or_b64 exec, exec, s[14:15]
	s_sub_u32 s6, s6, s10
	s_subb_u32 s7, s7, s11
	s_add_u32 s4, s4, s10
	s_addc_u32 s5, s5, s11
	s_cmp_lg_u64 s[6:7], 0
	s_cbranch_scc0 .LBB3_225
.LBB3_143:                              ; =>This Loop Header: Depth=1
                                        ;     Child Loop BB3_146 Depth 2
                                        ;     Child Loop BB3_153 Depth 2
	;; [unrolled: 1-line block ×11, first 2 shown]
	v_cmp_lt_u64_e64 s[0:1], s[6:7], 56
	s_and_b64 s[0:1], s[0:1], exec
	v_cmp_gt_u64_e64 s[0:1], s[6:7], 7
	s_cselect_b32 s11, s7, 0
	s_cselect_b32 s10, s6, 56
	s_and_b64 vcc, exec, s[0:1]
	s_cbranch_vccnz .LBB3_148
; %bb.144:                              ;   in Loop: Header=BB3_143 Depth=1
	s_mov_b64 s[0:1], 0
	s_cmp_eq_u64 s[6:7], 0
	v_mov_b64_e32 v[14:15], 0
	s_cbranch_scc1 .LBB3_147
; %bb.145:                              ;   in Loop: Header=BB3_143 Depth=1
	s_lshl_b64 s[12:13], s[10:11], 3
	s_mov_b64 s[14:15], 0
	v_mov_b64_e32 v[14:15], 0
	s_mov_b64 s[16:17], s[4:5]
.LBB3_146:                              ;   Parent Loop BB3_143 Depth=1
                                        ; =>  This Inner Loop Header: Depth=2
	global_load_ubyte v3, v35, s[16:17]
	s_waitcnt vmcnt(0)
	v_and_b32_e32 v34, 0xffff, v3
	v_lshlrev_b64 v[8:9], s14, v[34:35]
	s_add_u32 s14, s14, 8
	s_addc_u32 s15, s15, 0
	s_add_u32 s16, s16, 1
	s_addc_u32 s17, s17, 0
	v_or_b32_e32 v14, v8, v14
	s_cmp_lg_u32 s12, s14
	v_or_b32_e32 v15, v9, v15
	s_cbranch_scc1 .LBB3_146
.LBB3_147:                              ;   in Loop: Header=BB3_143 Depth=1
	s_mov_b32 s16, 0
	s_andn2_b64 vcc, exec, s[0:1]
	s_mov_b64 s[0:1], s[4:5]
	s_cbranch_vccz .LBB3_149
	s_branch .LBB3_150
.LBB3_148:                              ;   in Loop: Header=BB3_143 Depth=1
                                        ; implicit-def: $vgpr14_vgpr15
                                        ; implicit-def: $sgpr16
	s_mov_b64 s[0:1], s[4:5]
.LBB3_149:                              ;   in Loop: Header=BB3_143 Depth=1
	global_load_dwordx2 v[14:15], v35, s[4:5]
	s_add_i32 s16, s10, -8
	s_add_u32 s0, s4, 8
	s_addc_u32 s1, s5, 0
.LBB3_150:                              ;   in Loop: Header=BB3_143 Depth=1
	s_cmp_gt_u32 s16, 7
	s_cbranch_scc1 .LBB3_154
; %bb.151:                              ;   in Loop: Header=BB3_143 Depth=1
	s_cmp_eq_u32 s16, 0
	s_cbranch_scc1 .LBB3_155
; %bb.152:                              ;   in Loop: Header=BB3_143 Depth=1
	s_mov_b64 s[12:13], 0
	v_mov_b64_e32 v[16:17], 0
	s_mov_b64 s[14:15], 0
.LBB3_153:                              ;   Parent Loop BB3_143 Depth=1
                                        ; =>  This Inner Loop Header: Depth=2
	s_add_u32 s18, s0, s14
	s_addc_u32 s19, s1, s15
	global_load_ubyte v3, v35, s[18:19]
	s_add_u32 s14, s14, 1
	s_addc_u32 s15, s15, 0
	s_waitcnt vmcnt(0)
	v_and_b32_e32 v34, 0xffff, v3
	v_lshlrev_b64 v[8:9], s12, v[34:35]
	s_add_u32 s12, s12, 8
	s_addc_u32 s13, s13, 0
	v_or_b32_e32 v16, v8, v16
	s_cmp_lg_u32 s16, s14
	v_or_b32_e32 v17, v9, v17
	s_cbranch_scc1 .LBB3_153
	s_branch .LBB3_156
.LBB3_154:                              ;   in Loop: Header=BB3_143 Depth=1
                                        ; implicit-def: $vgpr16_vgpr17
                                        ; implicit-def: $sgpr17
	s_branch .LBB3_157
.LBB3_155:                              ;   in Loop: Header=BB3_143 Depth=1
	v_mov_b64_e32 v[16:17], 0
.LBB3_156:                              ;   in Loop: Header=BB3_143 Depth=1
	s_mov_b32 s17, 0
	s_cbranch_execnz .LBB3_158
.LBB3_157:                              ;   in Loop: Header=BB3_143 Depth=1
	global_load_dwordx2 v[16:17], v35, s[0:1]
	s_add_i32 s17, s16, -8
	s_add_u32 s0, s0, 8
	s_addc_u32 s1, s1, 0
.LBB3_158:                              ;   in Loop: Header=BB3_143 Depth=1
	s_cmp_gt_u32 s17, 7
	s_cbranch_scc1 .LBB3_162
; %bb.159:                              ;   in Loop: Header=BB3_143 Depth=1
	s_cmp_eq_u32 s17, 0
	s_cbranch_scc1 .LBB3_163
; %bb.160:                              ;   in Loop: Header=BB3_143 Depth=1
	s_mov_b64 s[12:13], 0
	v_mov_b64_e32 v[18:19], 0
	s_mov_b64 s[14:15], 0
.LBB3_161:                              ;   Parent Loop BB3_143 Depth=1
                                        ; =>  This Inner Loop Header: Depth=2
	s_add_u32 s18, s0, s14
	s_addc_u32 s19, s1, s15
	global_load_ubyte v3, v35, s[18:19]
	s_add_u32 s14, s14, 1
	s_addc_u32 s15, s15, 0
	s_waitcnt vmcnt(0)
	v_and_b32_e32 v34, 0xffff, v3
	v_lshlrev_b64 v[8:9], s12, v[34:35]
	s_add_u32 s12, s12, 8
	s_addc_u32 s13, s13, 0
	v_or_b32_e32 v18, v8, v18
	s_cmp_lg_u32 s17, s14
	v_or_b32_e32 v19, v9, v19
	s_cbranch_scc1 .LBB3_161
	s_branch .LBB3_164
.LBB3_162:                              ;   in Loop: Header=BB3_143 Depth=1
                                        ; implicit-def: $sgpr16
	s_branch .LBB3_165
.LBB3_163:                              ;   in Loop: Header=BB3_143 Depth=1
	v_mov_b64_e32 v[18:19], 0
.LBB3_164:                              ;   in Loop: Header=BB3_143 Depth=1
	s_mov_b32 s16, 0
	s_cbranch_execnz .LBB3_166
.LBB3_165:                              ;   in Loop: Header=BB3_143 Depth=1
	global_load_dwordx2 v[18:19], v35, s[0:1]
	s_add_i32 s16, s17, -8
	s_add_u32 s0, s0, 8
	s_addc_u32 s1, s1, 0
.LBB3_166:                              ;   in Loop: Header=BB3_143 Depth=1
	s_cmp_gt_u32 s16, 7
	s_cbranch_scc1 .LBB3_170
; %bb.167:                              ;   in Loop: Header=BB3_143 Depth=1
	s_cmp_eq_u32 s16, 0
	s_cbranch_scc1 .LBB3_171
; %bb.168:                              ;   in Loop: Header=BB3_143 Depth=1
	s_mov_b64 s[12:13], 0
	v_mov_b64_e32 v[20:21], 0
	s_mov_b64 s[14:15], 0
.LBB3_169:                              ;   Parent Loop BB3_143 Depth=1
                                        ; =>  This Inner Loop Header: Depth=2
	s_add_u32 s18, s0, s14
	s_addc_u32 s19, s1, s15
	global_load_ubyte v3, v35, s[18:19]
	s_add_u32 s14, s14, 1
	s_addc_u32 s15, s15, 0
	s_waitcnt vmcnt(0)
	v_and_b32_e32 v34, 0xffff, v3
	v_lshlrev_b64 v[8:9], s12, v[34:35]
	s_add_u32 s12, s12, 8
	s_addc_u32 s13, s13, 0
	v_or_b32_e32 v20, v8, v20
	s_cmp_lg_u32 s16, s14
	v_or_b32_e32 v21, v9, v21
	s_cbranch_scc1 .LBB3_169
	s_branch .LBB3_172
.LBB3_170:                              ;   in Loop: Header=BB3_143 Depth=1
                                        ; implicit-def: $vgpr20_vgpr21
                                        ; implicit-def: $sgpr17
	s_branch .LBB3_173
.LBB3_171:                              ;   in Loop: Header=BB3_143 Depth=1
	v_mov_b64_e32 v[20:21], 0
.LBB3_172:                              ;   in Loop: Header=BB3_143 Depth=1
	s_mov_b32 s17, 0
	s_cbranch_execnz .LBB3_174
.LBB3_173:                              ;   in Loop: Header=BB3_143 Depth=1
	global_load_dwordx2 v[20:21], v35, s[0:1]
	s_add_i32 s17, s16, -8
	s_add_u32 s0, s0, 8
	s_addc_u32 s1, s1, 0
.LBB3_174:                              ;   in Loop: Header=BB3_143 Depth=1
	s_cmp_gt_u32 s17, 7
	s_cbranch_scc1 .LBB3_178
; %bb.175:                              ;   in Loop: Header=BB3_143 Depth=1
	s_cmp_eq_u32 s17, 0
	s_cbranch_scc1 .LBB3_179
; %bb.176:                              ;   in Loop: Header=BB3_143 Depth=1
	s_mov_b64 s[12:13], 0
	v_mov_b64_e32 v[22:23], 0
	s_mov_b64 s[14:15], 0
.LBB3_177:                              ;   Parent Loop BB3_143 Depth=1
                                        ; =>  This Inner Loop Header: Depth=2
	s_add_u32 s18, s0, s14
	s_addc_u32 s19, s1, s15
	global_load_ubyte v3, v35, s[18:19]
	s_add_u32 s14, s14, 1
	s_addc_u32 s15, s15, 0
	s_waitcnt vmcnt(0)
	v_and_b32_e32 v34, 0xffff, v3
	v_lshlrev_b64 v[8:9], s12, v[34:35]
	s_add_u32 s12, s12, 8
	s_addc_u32 s13, s13, 0
	v_or_b32_e32 v22, v8, v22
	s_cmp_lg_u32 s17, s14
	v_or_b32_e32 v23, v9, v23
	s_cbranch_scc1 .LBB3_177
	s_branch .LBB3_180
.LBB3_178:                              ;   in Loop: Header=BB3_143 Depth=1
                                        ; implicit-def: $sgpr16
	s_branch .LBB3_181
.LBB3_179:                              ;   in Loop: Header=BB3_143 Depth=1
	v_mov_b64_e32 v[22:23], 0
.LBB3_180:                              ;   in Loop: Header=BB3_143 Depth=1
	s_mov_b32 s16, 0
	s_cbranch_execnz .LBB3_182
.LBB3_181:                              ;   in Loop: Header=BB3_143 Depth=1
	global_load_dwordx2 v[22:23], v35, s[0:1]
	s_add_i32 s16, s17, -8
	s_add_u32 s0, s0, 8
	s_addc_u32 s1, s1, 0
.LBB3_182:                              ;   in Loop: Header=BB3_143 Depth=1
	s_cmp_gt_u32 s16, 7
	s_cbranch_scc1 .LBB3_186
; %bb.183:                              ;   in Loop: Header=BB3_143 Depth=1
	s_cmp_eq_u32 s16, 0
	s_cbranch_scc1 .LBB3_187
; %bb.184:                              ;   in Loop: Header=BB3_143 Depth=1
	s_mov_b64 s[12:13], 0
	v_mov_b64_e32 v[24:25], 0
	s_mov_b64 s[14:15], 0
.LBB3_185:                              ;   Parent Loop BB3_143 Depth=1
                                        ; =>  This Inner Loop Header: Depth=2
	s_add_u32 s18, s0, s14
	s_addc_u32 s19, s1, s15
	global_load_ubyte v3, v35, s[18:19]
	s_add_u32 s14, s14, 1
	s_addc_u32 s15, s15, 0
	s_waitcnt vmcnt(0)
	v_and_b32_e32 v34, 0xffff, v3
	v_lshlrev_b64 v[8:9], s12, v[34:35]
	s_add_u32 s12, s12, 8
	s_addc_u32 s13, s13, 0
	v_or_b32_e32 v24, v8, v24
	s_cmp_lg_u32 s16, s14
	v_or_b32_e32 v25, v9, v25
	s_cbranch_scc1 .LBB3_185
	s_branch .LBB3_188
.LBB3_186:                              ;   in Loop: Header=BB3_143 Depth=1
                                        ; implicit-def: $vgpr24_vgpr25
                                        ; implicit-def: $sgpr17
	s_branch .LBB3_189
.LBB3_187:                              ;   in Loop: Header=BB3_143 Depth=1
	v_mov_b64_e32 v[24:25], 0
.LBB3_188:                              ;   in Loop: Header=BB3_143 Depth=1
	s_mov_b32 s17, 0
	s_cbranch_execnz .LBB3_190
.LBB3_189:                              ;   in Loop: Header=BB3_143 Depth=1
	global_load_dwordx2 v[24:25], v35, s[0:1]
	s_add_i32 s17, s16, -8
	s_add_u32 s0, s0, 8
	s_addc_u32 s1, s1, 0
.LBB3_190:                              ;   in Loop: Header=BB3_143 Depth=1
	s_cmp_gt_u32 s17, 7
	s_cbranch_scc1 .LBB3_194
; %bb.191:                              ;   in Loop: Header=BB3_143 Depth=1
	s_cmp_eq_u32 s17, 0
	s_cbranch_scc1 .LBB3_195
; %bb.192:                              ;   in Loop: Header=BB3_143 Depth=1
	s_mov_b64 s[12:13], 0
	v_mov_b64_e32 v[26:27], 0
	s_mov_b64 s[14:15], s[0:1]
.LBB3_193:                              ;   Parent Loop BB3_143 Depth=1
                                        ; =>  This Inner Loop Header: Depth=2
	global_load_ubyte v3, v35, s[14:15]
	s_add_i32 s17, s17, -1
	s_waitcnt vmcnt(0)
	v_and_b32_e32 v34, 0xffff, v3
	v_lshlrev_b64 v[8:9], s12, v[34:35]
	s_add_u32 s12, s12, 8
	s_addc_u32 s13, s13, 0
	s_add_u32 s14, s14, 1
	s_addc_u32 s15, s15, 0
	v_or_b32_e32 v26, v8, v26
	s_cmp_lg_u32 s17, 0
	v_or_b32_e32 v27, v9, v27
	s_cbranch_scc1 .LBB3_193
	s_branch .LBB3_196
.LBB3_194:                              ;   in Loop: Header=BB3_143 Depth=1
	s_branch .LBB3_197
.LBB3_195:                              ;   in Loop: Header=BB3_143 Depth=1
	v_mov_b64_e32 v[26:27], 0
.LBB3_196:                              ;   in Loop: Header=BB3_143 Depth=1
	s_cbranch_execnz .LBB3_198
.LBB3_197:                              ;   in Loop: Header=BB3_143 Depth=1
	global_load_dwordx2 v[26:27], v35, s[0:1]
.LBB3_198:                              ;   in Loop: Header=BB3_143 Depth=1
	v_readfirstlane_b32 s0, v38
	s_waitcnt vmcnt(0)
	v_mov_b64_e32 v[8:9], 0
	v_cmp_eq_u32_e64 s[0:1], s0, v38
	s_and_saveexec_b64 s[12:13], s[0:1]
	s_cbranch_execz .LBB3_204
; %bb.199:                              ;   in Loop: Header=BB3_143 Depth=1
	global_load_dwordx2 v[30:31], v35, s[2:3] offset:24 sc0 sc1
	s_waitcnt vmcnt(0)
	buffer_inv sc0 sc1
	global_load_dwordx2 v[8:9], v35, s[2:3] offset:40
	global_load_dwordx2 v[12:13], v35, s[2:3]
	s_waitcnt vmcnt(1)
	v_and_b32_e32 v3, v8, v30
	v_and_b32_e32 v8, v9, v31
	v_mul_lo_u32 v8, v8, 24
	v_mul_hi_u32 v9, v3, 24
	v_add_u32_e32 v9, v9, v8
	v_mul_lo_u32 v8, v3, 24
	s_waitcnt vmcnt(0)
	v_lshl_add_u64 v[8:9], v[12:13], 0, v[8:9]
	global_load_dwordx2 v[28:29], v[8:9], off sc0 sc1
	s_waitcnt vmcnt(0)
	global_atomic_cmpswap_x2 v[8:9], v35, v[28:31], s[2:3] offset:24 sc0 sc1
	s_waitcnt vmcnt(0)
	buffer_inv sc0 sc1
	v_cmp_ne_u64_e32 vcc, v[8:9], v[30:31]
	s_and_saveexec_b64 s[14:15], vcc
	s_cbranch_execz .LBB3_203
; %bb.200:                              ;   in Loop: Header=BB3_143 Depth=1
	s_mov_b64 s[16:17], 0
.LBB3_201:                              ;   Parent Loop BB3_143 Depth=1
                                        ; =>  This Inner Loop Header: Depth=2
	s_sleep 1
	global_load_dwordx2 v[12:13], v35, s[2:3] offset:40
	global_load_dwordx2 v[28:29], v35, s[2:3]
	v_mov_b64_e32 v[30:31], v[8:9]
	s_waitcnt vmcnt(1)
	v_and_b32_e32 v8, v12, v30
	s_waitcnt vmcnt(0)
	v_mad_u64_u32 v[8:9], s[18:19], v8, 24, v[28:29]
	v_and_b32_e32 v3, v13, v31
	v_mov_b32_e32 v12, v9
	v_mad_u64_u32 v[12:13], s[18:19], v3, 24, v[12:13]
	v_mov_b32_e32 v9, v12
	global_load_dwordx2 v[28:29], v[8:9], off sc0 sc1
	s_waitcnt vmcnt(0)
	global_atomic_cmpswap_x2 v[8:9], v35, v[28:31], s[2:3] offset:24 sc0 sc1
	s_waitcnt vmcnt(0)
	buffer_inv sc0 sc1
	v_cmp_eq_u64_e32 vcc, v[8:9], v[30:31]
	s_or_b64 s[16:17], vcc, s[16:17]
	s_andn2_b64 exec, exec, s[16:17]
	s_cbranch_execnz .LBB3_201
; %bb.202:                              ;   in Loop: Header=BB3_143 Depth=1
	s_or_b64 exec, exec, s[16:17]
.LBB3_203:                              ;   in Loop: Header=BB3_143 Depth=1
	s_or_b64 exec, exec, s[14:15]
.LBB3_204:                              ;   in Loop: Header=BB3_143 Depth=1
	s_or_b64 exec, exec, s[12:13]
	global_load_dwordx2 v[12:13], v35, s[2:3] offset:40
	global_load_dwordx4 v[28:31], v35, s[2:3]
	v_readfirstlane_b32 s12, v8
	v_readfirstlane_b32 s13, v9
	s_mov_b64 s[14:15], exec
	s_waitcnt vmcnt(1)
	v_readfirstlane_b32 s16, v12
	v_readfirstlane_b32 s17, v13
	s_and_b64 s[16:17], s[12:13], s[16:17]
	s_mul_i32 s18, s17, 24
	s_mul_hi_u32 s19, s16, 24
	s_add_i32 s19, s19, s18
	s_mul_i32 s18, s16, 24
	s_waitcnt vmcnt(0)
	v_lshl_add_u64 v[36:37], v[28:29], 0, s[18:19]
	s_and_saveexec_b64 s[18:19], s[0:1]
	s_cbranch_execz .LBB3_206
; %bb.205:                              ;   in Loop: Header=BB3_143 Depth=1
	v_mov_b64_e32 v[8:9], s[14:15]
	global_store_dwordx4 v[36:37], v[8:11], off offset:8
.LBB3_206:                              ;   in Loop: Header=BB3_143 Depth=1
	s_or_b64 exec, exec, s[18:19]
	s_lshl_b64 s[14:15], s[16:17], 12
	v_lshl_add_u64 v[30:31], v[30:31], 0, s[14:15]
	v_or_b32_e32 v3, 0, v7
	v_or_b32_e32 v8, v6, v2
	v_cmp_gt_u64_e64 vcc, s[6:7], 56
	s_lshl_b32 s14, s10, 2
	s_add_i32 s14, s14, 28
	v_cndmask_b32_e32 v13, v3, v7, vcc
	v_cndmask_b32_e32 v3, v8, v6, vcc
	s_and_b32 s14, s14, 0x1e0
	v_and_b32_e32 v3, 0xffffff1f, v3
	v_or_b32_e32 v12, s14, v3
	v_readfirstlane_b32 s14, v30
	v_readfirstlane_b32 s15, v31
	s_nop 4
	global_store_dwordx4 v32, v[12:15], s[14:15]
	global_store_dwordx4 v32, v[16:19], s[14:15] offset:16
	global_store_dwordx4 v32, v[20:23], s[14:15] offset:32
	;; [unrolled: 1-line block ×3, first 2 shown]
	s_and_saveexec_b64 s[14:15], s[0:1]
	s_cbranch_execz .LBB3_214
; %bb.207:                              ;   in Loop: Header=BB3_143 Depth=1
	global_load_dwordx2 v[16:17], v35, s[2:3] offset:32 sc0 sc1
	global_load_dwordx2 v[6:7], v35, s[2:3] offset:40
	v_mov_b32_e32 v14, s12
	v_mov_b32_e32 v15, s13
	s_waitcnt vmcnt(0)
	v_readfirstlane_b32 s16, v6
	v_readfirstlane_b32 s17, v7
	s_and_b64 s[16:17], s[16:17], s[12:13]
	s_mul_i32 s17, s17, 24
	s_mul_hi_u32 s18, s16, 24
	s_mul_i32 s16, s16, 24
	s_add_i32 s17, s18, s17
	v_lshl_add_u64 v[12:13], v[28:29], 0, s[16:17]
	global_store_dwordx2 v[12:13], v[16:17], off
	buffer_wbl2 sc0 sc1
	s_waitcnt vmcnt(0)
	global_atomic_cmpswap_x2 v[8:9], v35, v[14:17], s[2:3] offset:32 sc0 sc1
	s_waitcnt vmcnt(0)
	v_cmp_ne_u64_e32 vcc, v[8:9], v[16:17]
	s_and_saveexec_b64 s[16:17], vcc
	s_cbranch_execz .LBB3_210
; %bb.208:                              ;   in Loop: Header=BB3_143 Depth=1
	s_mov_b64 s[18:19], 0
.LBB3_209:                              ;   Parent Loop BB3_143 Depth=1
                                        ; =>  This Inner Loop Header: Depth=2
	s_sleep 1
	global_store_dwordx2 v[12:13], v[8:9], off
	v_mov_b32_e32 v6, s12
	v_mov_b32_e32 v7, s13
	buffer_wbl2 sc0 sc1
	s_waitcnt vmcnt(0)
	global_atomic_cmpswap_x2 v[6:7], v35, v[6:9], s[2:3] offset:32 sc0 sc1
	s_waitcnt vmcnt(0)
	v_cmp_eq_u64_e32 vcc, v[6:7], v[8:9]
	s_or_b64 s[18:19], vcc, s[18:19]
	v_mov_b64_e32 v[8:9], v[6:7]
	s_andn2_b64 exec, exec, s[18:19]
	s_cbranch_execnz .LBB3_209
.LBB3_210:                              ;   in Loop: Header=BB3_143 Depth=1
	s_or_b64 exec, exec, s[16:17]
	global_load_dwordx2 v[6:7], v35, s[2:3] offset:16
	s_mov_b64 s[18:19], exec
	v_mbcnt_lo_u32_b32 v3, s18, 0
	v_mbcnt_hi_u32_b32 v3, s19, v3
	v_cmp_eq_u32_e32 vcc, 0, v3
	s_and_saveexec_b64 s[16:17], vcc
	s_cbranch_execz .LBB3_212
; %bb.211:                              ;   in Loop: Header=BB3_143 Depth=1
	s_bcnt1_i32_b64 s18, s[18:19]
	v_mov_b32_e32 v34, s18
	buffer_wbl2 sc0 sc1
	s_waitcnt vmcnt(0)
	global_atomic_add_x2 v[6:7], v[34:35], off offset:8 sc1
.LBB3_212:                              ;   in Loop: Header=BB3_143 Depth=1
	s_or_b64 exec, exec, s[16:17]
	s_waitcnt vmcnt(0)
	global_load_dwordx2 v[8:9], v[6:7], off offset:16
	s_waitcnt vmcnt(0)
	v_cmp_eq_u64_e32 vcc, 0, v[8:9]
	s_cbranch_vccnz .LBB3_214
; %bb.213:                              ;   in Loop: Header=BB3_143 Depth=1
	global_load_dword v34, v[6:7], off offset:24
	s_waitcnt vmcnt(0)
	v_and_b32_e32 v3, 0xffffff, v34
	s_nop 0
	v_readfirstlane_b32 m0, v3
	buffer_wbl2 sc0 sc1
	global_store_dwordx2 v[8:9], v[34:35], off sc0 sc1
	s_sendmsg sendmsg(MSG_INTERRUPT)
.LBB3_214:                              ;   in Loop: Header=BB3_143 Depth=1
	s_or_b64 exec, exec, s[14:15]
	v_mov_b32_e32 v33, v35
	v_lshl_add_u64 v[6:7], v[30:31], 0, v[32:33]
	s_branch .LBB3_218
.LBB3_215:                              ;   in Loop: Header=BB3_218 Depth=2
	s_or_b64 exec, exec, s[14:15]
	v_readfirstlane_b32 s14, v3
	s_cmp_eq_u32 s14, 0
	s_cbranch_scc1 .LBB3_217
; %bb.216:                              ;   in Loop: Header=BB3_218 Depth=2
	s_sleep 1
	s_cbranch_execnz .LBB3_218
	s_branch .LBB3_220
.LBB3_217:                              ;   in Loop: Header=BB3_143 Depth=1
	s_branch .LBB3_220
.LBB3_218:                              ;   Parent Loop BB3_143 Depth=1
                                        ; =>  This Inner Loop Header: Depth=2
	v_mov_b32_e32 v3, 1
	s_and_saveexec_b64 s[14:15], s[0:1]
	s_cbranch_execz .LBB3_215
; %bb.219:                              ;   in Loop: Header=BB3_218 Depth=2
	global_load_dword v3, v[36:37], off offset:20 sc0 sc1
	s_waitcnt vmcnt(0)
	buffer_inv sc0 sc1
	v_and_b32_e32 v3, 1, v3
	s_branch .LBB3_215
.LBB3_220:                              ;   in Loop: Header=BB3_143 Depth=1
	global_load_dwordx4 v[6:9], v[6:7], off
	s_and_saveexec_b64 s[14:15], s[0:1]
	s_cbranch_execz .LBB3_142
; %bb.221:                              ;   in Loop: Header=BB3_143 Depth=1
	global_load_dwordx2 v[8:9], v35, s[2:3] offset:40
	global_load_dwordx2 v[16:17], v35, s[2:3] offset:24 sc0 sc1
	global_load_dwordx2 v[18:19], v35, s[2:3]
	s_waitcnt vmcnt(2)
	v_lshl_add_u64 v[12:13], v[8:9], 0, 1
	v_lshl_add_u64 v[20:21], v[12:13], 0, s[12:13]
	v_cmp_eq_u64_e32 vcc, 0, v[20:21]
	s_waitcnt vmcnt(1)
	v_mov_b32_e32 v14, v16
	v_mov_b32_e32 v15, v17
	v_cndmask_b32_e32 v13, v21, v13, vcc
	v_cndmask_b32_e32 v12, v20, v12, vcc
	v_and_b32_e32 v3, v13, v9
	v_and_b32_e32 v8, v12, v8
	v_mul_lo_u32 v3, v3, 24
	v_mul_hi_u32 v9, v8, 24
	v_mul_lo_u32 v8, v8, 24
	v_add_u32_e32 v9, v9, v3
	s_waitcnt vmcnt(0)
	v_lshl_add_u64 v[8:9], v[18:19], 0, v[8:9]
	global_store_dwordx2 v[8:9], v[16:17], off
	buffer_wbl2 sc0 sc1
	s_waitcnt vmcnt(0)
	global_atomic_cmpswap_x2 v[14:15], v35, v[12:15], s[2:3] offset:24 sc0 sc1
	s_waitcnt vmcnt(0)
	v_cmp_ne_u64_e32 vcc, v[14:15], v[16:17]
	s_and_b64 exec, exec, vcc
	s_cbranch_execz .LBB3_142
; %bb.222:                              ;   in Loop: Header=BB3_143 Depth=1
	s_mov_b64 s[0:1], 0
.LBB3_223:                              ;   Parent Loop BB3_143 Depth=1
                                        ; =>  This Inner Loop Header: Depth=2
	s_sleep 1
	global_store_dwordx2 v[8:9], v[14:15], off
	buffer_wbl2 sc0 sc1
	s_waitcnt vmcnt(0)
	global_atomic_cmpswap_x2 v[16:17], v35, v[12:15], s[2:3] offset:24 sc0 sc1
	s_waitcnt vmcnt(0)
	v_cmp_eq_u64_e32 vcc, v[16:17], v[14:15]
	s_or_b64 s[0:1], vcc, s[0:1]
	v_mov_b64_e32 v[14:15], v[16:17]
	s_andn2_b64 exec, exec, s[0:1]
	s_cbranch_execnz .LBB3_223
	s_branch .LBB3_142
.LBB3_224:
                                        ; implicit-def: $vgpr6_vgpr7
	s_cbranch_execnz .LBB3_226
	s_branch .LBB3_252
.LBB3_225:
	s_branch .LBB3_252
.LBB3_226:
	v_readfirstlane_b32 s0, v38
	s_waitcnt vmcnt(0)
	v_mov_b64_e32 v[2:3], 0
	v_cmp_eq_u32_e64 s[0:1], s0, v38
	s_and_saveexec_b64 s[4:5], s[0:1]
	s_cbranch_execz .LBB3_232
; %bb.227:
	v_mov_b32_e32 v6, 0
	global_load_dwordx2 v[10:11], v6, s[2:3] offset:24 sc0 sc1
	s_waitcnt vmcnt(0)
	buffer_inv sc0 sc1
	global_load_dwordx2 v[2:3], v6, s[2:3] offset:40
	global_load_dwordx2 v[8:9], v6, s[2:3]
	s_waitcnt vmcnt(1)
	v_and_b32_e32 v2, v2, v10
	v_and_b32_e32 v3, v3, v11
	v_mul_lo_u32 v3, v3, 24
	v_mul_hi_u32 v7, v2, 24
	v_add_u32_e32 v3, v7, v3
	v_mul_lo_u32 v2, v2, 24
	s_waitcnt vmcnt(0)
	v_lshl_add_u64 v[2:3], v[8:9], 0, v[2:3]
	global_load_dwordx2 v[8:9], v[2:3], off sc0 sc1
	s_waitcnt vmcnt(0)
	global_atomic_cmpswap_x2 v[2:3], v6, v[8:11], s[2:3] offset:24 sc0 sc1
	s_waitcnt vmcnt(0)
	buffer_inv sc0 sc1
	v_cmp_ne_u64_e32 vcc, v[2:3], v[10:11]
	s_and_saveexec_b64 s[6:7], vcc
	s_cbranch_execz .LBB3_231
; %bb.228:
	s_mov_b64 s[10:11], 0
.LBB3_229:                              ; =>This Inner Loop Header: Depth=1
	s_sleep 1
	global_load_dwordx2 v[8:9], v6, s[2:3] offset:40
	global_load_dwordx2 v[12:13], v6, s[2:3]
	v_mov_b64_e32 v[10:11], v[2:3]
	s_waitcnt vmcnt(1)
	v_and_b32_e32 v2, v8, v10
	s_waitcnt vmcnt(0)
	v_mad_u64_u32 v[2:3], s[12:13], v2, 24, v[12:13]
	v_and_b32_e32 v7, v9, v11
	v_mov_b32_e32 v8, v3
	v_mad_u64_u32 v[8:9], s[12:13], v7, 24, v[8:9]
	v_mov_b32_e32 v3, v8
	global_load_dwordx2 v[8:9], v[2:3], off sc0 sc1
	s_waitcnt vmcnt(0)
	global_atomic_cmpswap_x2 v[2:3], v6, v[8:11], s[2:3] offset:24 sc0 sc1
	s_waitcnt vmcnt(0)
	buffer_inv sc0 sc1
	v_cmp_eq_u64_e32 vcc, v[2:3], v[10:11]
	s_or_b64 s[10:11], vcc, s[10:11]
	s_andn2_b64 exec, exec, s[10:11]
	s_cbranch_execnz .LBB3_229
; %bb.230:
	s_or_b64 exec, exec, s[10:11]
.LBB3_231:
	s_or_b64 exec, exec, s[6:7]
.LBB3_232:
	s_or_b64 exec, exec, s[4:5]
	v_mov_b32_e32 v33, 0
	global_load_dwordx2 v[10:11], v33, s[2:3] offset:40
	global_load_dwordx4 v[6:9], v33, s[2:3]
	v_readfirstlane_b32 s4, v2
	v_readfirstlane_b32 s5, v3
	s_mov_b64 s[6:7], exec
	s_waitcnt vmcnt(1)
	v_readfirstlane_b32 s10, v10
	v_readfirstlane_b32 s11, v11
	s_and_b64 s[10:11], s[4:5], s[10:11]
	s_mul_i32 s12, s11, 24
	s_mul_hi_u32 s13, s10, 24
	s_add_i32 s13, s13, s12
	s_mul_i32 s12, s10, 24
	s_waitcnt vmcnt(0)
	v_lshl_add_u64 v[10:11], v[6:7], 0, s[12:13]
	s_and_saveexec_b64 s[12:13], s[0:1]
	s_cbranch_execz .LBB3_234
; %bb.233:
	v_mov_b64_e32 v[12:13], s[6:7]
	v_mov_b32_e32 v14, 2
	v_mov_b32_e32 v15, 1
	global_store_dwordx4 v[10:11], v[12:15], off offset:8
.LBB3_234:
	s_or_b64 exec, exec, s[12:13]
	s_lshl_b64 s[6:7], s[10:11], 12
	v_lshl_add_u64 v[8:9], v[8:9], 0, s[6:7]
	s_movk_i32 s6, 0xff1f
	s_mov_b32 s12, 0
	v_and_or_b32 v0, v0, s6, 32
	v_mov_b32_e32 v2, v33
	v_mov_b32_e32 v3, v33
	v_readfirstlane_b32 s6, v8
	v_readfirstlane_b32 s7, v9
	s_mov_b32 s13, s12
	s_mov_b32 s14, s12
	;; [unrolled: 1-line block ×3, first 2 shown]
	s_nop 1
	global_store_dwordx4 v32, v[0:3], s[6:7]
	s_nop 1
	v_mov_b64_e32 v[0:1], s[12:13]
	v_mov_b64_e32 v[2:3], s[14:15]
	global_store_dwordx4 v32, v[0:3], s[6:7] offset:16
	global_store_dwordx4 v32, v[0:3], s[6:7] offset:32
	;; [unrolled: 1-line block ×3, first 2 shown]
	s_and_saveexec_b64 s[6:7], s[0:1]
	s_cbranch_execz .LBB3_242
; %bb.235:
	v_mov_b32_e32 v12, 0
	global_load_dwordx2 v[16:17], v12, s[2:3] offset:32 sc0 sc1
	global_load_dwordx2 v[0:1], v12, s[2:3] offset:40
	v_mov_b32_e32 v14, s4
	v_mov_b32_e32 v15, s5
	s_waitcnt vmcnt(0)
	v_readfirstlane_b32 s10, v0
	v_readfirstlane_b32 s11, v1
	s_and_b64 s[10:11], s[10:11], s[4:5]
	s_mul_i32 s11, s11, 24
	s_mul_hi_u32 s12, s10, 24
	s_mul_i32 s10, s10, 24
	s_add_i32 s11, s12, s11
	v_lshl_add_u64 v[6:7], v[6:7], 0, s[10:11]
	global_store_dwordx2 v[6:7], v[16:17], off
	buffer_wbl2 sc0 sc1
	s_waitcnt vmcnt(0)
	global_atomic_cmpswap_x2 v[2:3], v12, v[14:17], s[2:3] offset:32 sc0 sc1
	s_waitcnt vmcnt(0)
	v_cmp_ne_u64_e32 vcc, v[2:3], v[16:17]
	s_and_saveexec_b64 s[10:11], vcc
	s_cbranch_execz .LBB3_238
; %bb.236:
	s_mov_b64 s[12:13], 0
.LBB3_237:                              ; =>This Inner Loop Header: Depth=1
	s_sleep 1
	global_store_dwordx2 v[6:7], v[2:3], off
	v_mov_b32_e32 v0, s4
	v_mov_b32_e32 v1, s5
	buffer_wbl2 sc0 sc1
	s_waitcnt vmcnt(0)
	global_atomic_cmpswap_x2 v[0:1], v12, v[0:3], s[2:3] offset:32 sc0 sc1
	s_waitcnt vmcnt(0)
	v_cmp_eq_u64_e32 vcc, v[0:1], v[2:3]
	s_or_b64 s[12:13], vcc, s[12:13]
	v_mov_b64_e32 v[2:3], v[0:1]
	s_andn2_b64 exec, exec, s[12:13]
	s_cbranch_execnz .LBB3_237
.LBB3_238:
	s_or_b64 exec, exec, s[10:11]
	v_mov_b32_e32 v3, 0
	global_load_dwordx2 v[0:1], v3, s[2:3] offset:16
	s_mov_b64 s[10:11], exec
	v_mbcnt_lo_u32_b32 v2, s10, 0
	v_mbcnt_hi_u32_b32 v2, s11, v2
	v_cmp_eq_u32_e32 vcc, 0, v2
	s_and_saveexec_b64 s[12:13], vcc
	s_cbranch_execz .LBB3_240
; %bb.239:
	s_bcnt1_i32_b64 s10, s[10:11]
	v_mov_b32_e32 v2, s10
	buffer_wbl2 sc0 sc1
	s_waitcnt vmcnt(0)
	global_atomic_add_x2 v[0:1], v[2:3], off offset:8 sc1
.LBB3_240:
	s_or_b64 exec, exec, s[12:13]
	s_waitcnt vmcnt(0)
	global_load_dwordx2 v[2:3], v[0:1], off offset:16
	s_waitcnt vmcnt(0)
	v_cmp_eq_u64_e32 vcc, 0, v[2:3]
	s_cbranch_vccnz .LBB3_242
; %bb.241:
	global_load_dword v0, v[0:1], off offset:24
	v_mov_b32_e32 v1, 0
	buffer_wbl2 sc0 sc1
	s_waitcnt vmcnt(0)
	global_store_dwordx2 v[2:3], v[0:1], off sc0 sc1
	v_and_b32_e32 v0, 0xffffff, v0
	s_nop 0
	v_readfirstlane_b32 m0, v0
	s_sendmsg sendmsg(MSG_INTERRUPT)
.LBB3_242:
	s_or_b64 exec, exec, s[6:7]
	v_lshl_add_u64 v[0:1], v[8:9], 0, v[32:33]
	s_branch .LBB3_246
.LBB3_243:                              ;   in Loop: Header=BB3_246 Depth=1
	s_or_b64 exec, exec, s[6:7]
	v_readfirstlane_b32 s6, v2
	s_cmp_eq_u32 s6, 0
	s_cbranch_scc1 .LBB3_245
; %bb.244:                              ;   in Loop: Header=BB3_246 Depth=1
	s_sleep 1
	s_cbranch_execnz .LBB3_246
	s_branch .LBB3_248
.LBB3_245:
	s_branch .LBB3_248
.LBB3_246:                              ; =>This Inner Loop Header: Depth=1
	v_mov_b32_e32 v2, 1
	s_and_saveexec_b64 s[6:7], s[0:1]
	s_cbranch_execz .LBB3_243
; %bb.247:                              ;   in Loop: Header=BB3_246 Depth=1
	global_load_dword v2, v[10:11], off offset:20 sc0 sc1
	s_waitcnt vmcnt(0)
	buffer_inv sc0 sc1
	v_and_b32_e32 v2, 1, v2
	s_branch .LBB3_243
.LBB3_248:
	global_load_dwordx2 v[6:7], v[0:1], off
	s_and_saveexec_b64 s[6:7], s[0:1]
	s_cbranch_execz .LBB3_251
; %bb.249:
	v_mov_b32_e32 v10, 0
	global_load_dwordx2 v[8:9], v10, s[2:3] offset:40
	global_load_dwordx2 v[12:13], v10, s[2:3] offset:24 sc0 sc1
	global_load_dwordx2 v[14:15], v10, s[2:3]
	s_mov_b64 s[0:1], 0
	s_waitcnt vmcnt(2)
	v_lshl_add_u64 v[0:1], v[8:9], 0, 1
	v_lshl_add_u64 v[16:17], v[0:1], 0, s[4:5]
	v_cmp_eq_u64_e32 vcc, 0, v[16:17]
	s_waitcnt vmcnt(1)
	v_mov_b32_e32 v2, v12
	v_cndmask_b32_e32 v1, v17, v1, vcc
	v_cndmask_b32_e32 v0, v16, v0, vcc
	v_and_b32_e32 v3, v1, v9
	v_and_b32_e32 v8, v0, v8
	v_mul_lo_u32 v3, v3, 24
	v_mul_hi_u32 v9, v8, 24
	v_mul_lo_u32 v8, v8, 24
	v_add_u32_e32 v9, v9, v3
	s_waitcnt vmcnt(0)
	v_lshl_add_u64 v[8:9], v[14:15], 0, v[8:9]
	global_store_dwordx2 v[8:9], v[12:13], off
	v_mov_b32_e32 v3, v13
	buffer_wbl2 sc0 sc1
	s_waitcnt vmcnt(0)
	global_atomic_cmpswap_x2 v[2:3], v10, v[0:3], s[2:3] offset:24 sc0 sc1
	s_waitcnt vmcnt(0)
	v_cmp_ne_u64_e32 vcc, v[2:3], v[12:13]
	s_and_b64 exec, exec, vcc
	s_cbranch_execz .LBB3_251
.LBB3_250:                              ; =>This Inner Loop Header: Depth=1
	s_sleep 1
	global_store_dwordx2 v[8:9], v[2:3], off
	buffer_wbl2 sc0 sc1
	s_waitcnt vmcnt(0)
	global_atomic_cmpswap_x2 v[12:13], v10, v[0:3], s[2:3] offset:24 sc0 sc1
	s_waitcnt vmcnt(0)
	v_cmp_eq_u64_e32 vcc, v[12:13], v[2:3]
	s_or_b64 s[0:1], vcc, s[0:1]
	v_mov_b64_e32 v[2:3], v[12:13]
	s_andn2_b64 exec, exec, s[0:1]
	s_cbranch_execnz .LBB3_250
.LBB3_251:
	s_or_b64 exec, exec, s[6:7]
.LBB3_252:
	v_readfirstlane_b32 s0, v38
	s_waitcnt vmcnt(0)
	v_mov_b64_e32 v[8:9], 0
	v_cmp_eq_u32_e64 s[0:1], s0, v38
	s_and_saveexec_b64 s[4:5], s[0:1]
	s_cbranch_execz .LBB3_258
; %bb.253:
	v_mov_b32_e32 v0, 0
	global_load_dwordx2 v[10:11], v0, s[2:3] offset:24 sc0 sc1
	s_waitcnt vmcnt(0)
	buffer_inv sc0 sc1
	global_load_dwordx2 v[2:3], v0, s[2:3] offset:40
	global_load_dwordx2 v[8:9], v0, s[2:3]
	s_waitcnt vmcnt(1)
	v_and_b32_e32 v1, v2, v10
	v_and_b32_e32 v2, v3, v11
	v_mul_lo_u32 v2, v2, 24
	v_mul_hi_u32 v3, v1, 24
	v_add_u32_e32 v3, v3, v2
	v_mul_lo_u32 v2, v1, 24
	s_waitcnt vmcnt(0)
	v_lshl_add_u64 v[2:3], v[8:9], 0, v[2:3]
	global_load_dwordx2 v[8:9], v[2:3], off sc0 sc1
	s_waitcnt vmcnt(0)
	global_atomic_cmpswap_x2 v[8:9], v0, v[8:11], s[2:3] offset:24 sc0 sc1
	s_waitcnt vmcnt(0)
	buffer_inv sc0 sc1
	v_cmp_ne_u64_e32 vcc, v[8:9], v[10:11]
	s_and_saveexec_b64 s[6:7], vcc
	s_cbranch_execz .LBB3_257
; %bb.254:
	s_mov_b64 s[10:11], 0
.LBB3_255:                              ; =>This Inner Loop Header: Depth=1
	s_sleep 1
	global_load_dwordx2 v[2:3], v0, s[2:3] offset:40
	global_load_dwordx2 v[12:13], v0, s[2:3]
	v_mov_b64_e32 v[10:11], v[8:9]
	s_waitcnt vmcnt(1)
	v_and_b32_e32 v2, v2, v10
	v_and_b32_e32 v1, v3, v11
	s_waitcnt vmcnt(0)
	v_mad_u64_u32 v[2:3], s[12:13], v2, 24, v[12:13]
	v_mov_b32_e32 v8, v3
	v_mad_u64_u32 v[8:9], s[12:13], v1, 24, v[8:9]
	v_mov_b32_e32 v3, v8
	global_load_dwordx2 v[8:9], v[2:3], off sc0 sc1
	s_waitcnt vmcnt(0)
	global_atomic_cmpswap_x2 v[8:9], v0, v[8:11], s[2:3] offset:24 sc0 sc1
	s_waitcnt vmcnt(0)
	buffer_inv sc0 sc1
	v_cmp_eq_u64_e32 vcc, v[8:9], v[10:11]
	s_or_b64 s[10:11], vcc, s[10:11]
	s_andn2_b64 exec, exec, s[10:11]
	s_cbranch_execnz .LBB3_255
; %bb.256:
	s_or_b64 exec, exec, s[10:11]
.LBB3_257:
	s_or_b64 exec, exec, s[6:7]
.LBB3_258:
	s_or_b64 exec, exec, s[4:5]
	v_mov_b32_e32 v33, 0
	global_load_dwordx2 v[10:11], v33, s[2:3] offset:40
	global_load_dwordx4 v[0:3], v33, s[2:3]
	v_readfirstlane_b32 s4, v8
	v_readfirstlane_b32 s5, v9
	s_mov_b64 s[6:7], exec
	s_waitcnt vmcnt(1)
	v_readfirstlane_b32 s10, v10
	v_readfirstlane_b32 s11, v11
	s_and_b64 s[10:11], s[4:5], s[10:11]
	s_mul_i32 s12, s11, 24
	s_mul_hi_u32 s13, s10, 24
	s_add_i32 s13, s13, s12
	s_mul_i32 s12, s10, 24
	s_waitcnt vmcnt(0)
	v_lshl_add_u64 v[10:11], v[0:1], 0, s[12:13]
	s_and_saveexec_b64 s[12:13], s[0:1]
	s_cbranch_execz .LBB3_260
; %bb.259:
	v_mov_b64_e32 v[12:13], s[6:7]
	v_mov_b32_e32 v14, 2
	v_mov_b32_e32 v15, 1
	global_store_dwordx4 v[10:11], v[12:15], off offset:8
.LBB3_260:
	s_or_b64 exec, exec, s[12:13]
	s_lshl_b64 s[6:7], s[10:11], 12
	v_lshl_add_u64 v[12:13], v[2:3], 0, s[6:7]
	s_movk_i32 s6, 0xff1f
	s_mov_b32 s12, 0
	v_and_or_b32 v6, v6, s6, 32
	v_mov_b32_e32 v8, 0x331
	v_mov_b32_e32 v9, v33
	v_readfirstlane_b32 s6, v12
	v_readfirstlane_b32 s7, v13
	s_mov_b32 s13, s12
	s_mov_b32 s14, s12
	;; [unrolled: 1-line block ×3, first 2 shown]
	s_nop 1
	global_store_dwordx4 v32, v[6:9], s[6:7]
	s_nop 1
	v_mov_b64_e32 v[6:7], s[12:13]
	v_mov_b64_e32 v[8:9], s[14:15]
	global_store_dwordx4 v32, v[6:9], s[6:7] offset:16
	global_store_dwordx4 v32, v[6:9], s[6:7] offset:32
	;; [unrolled: 1-line block ×3, first 2 shown]
	s_and_saveexec_b64 s[6:7], s[0:1]
	s_cbranch_execz .LBB3_268
; %bb.261:
	v_mov_b32_e32 v8, 0
	global_load_dwordx2 v[16:17], v8, s[2:3] offset:32 sc0 sc1
	global_load_dwordx2 v[2:3], v8, s[2:3] offset:40
	v_mov_b32_e32 v14, s4
	v_mov_b32_e32 v15, s5
	s_waitcnt vmcnt(0)
	v_readfirstlane_b32 s10, v2
	v_readfirstlane_b32 s11, v3
	s_and_b64 s[10:11], s[10:11], s[4:5]
	s_mul_i32 s11, s11, 24
	s_mul_hi_u32 s12, s10, 24
	s_mul_i32 s10, s10, 24
	s_add_i32 s11, s12, s11
	v_lshl_add_u64 v[6:7], v[0:1], 0, s[10:11]
	global_store_dwordx2 v[6:7], v[16:17], off
	buffer_wbl2 sc0 sc1
	s_waitcnt vmcnt(0)
	global_atomic_cmpswap_x2 v[2:3], v8, v[14:17], s[2:3] offset:32 sc0 sc1
	s_waitcnt vmcnt(0)
	v_cmp_ne_u64_e32 vcc, v[2:3], v[16:17]
	s_and_saveexec_b64 s[10:11], vcc
	s_cbranch_execz .LBB3_264
; %bb.262:
	s_mov_b64 s[12:13], 0
.LBB3_263:                              ; =>This Inner Loop Header: Depth=1
	s_sleep 1
	global_store_dwordx2 v[6:7], v[2:3], off
	v_mov_b32_e32 v0, s4
	v_mov_b32_e32 v1, s5
	buffer_wbl2 sc0 sc1
	s_waitcnt vmcnt(0)
	global_atomic_cmpswap_x2 v[0:1], v8, v[0:3], s[2:3] offset:32 sc0 sc1
	s_waitcnt vmcnt(0)
	v_cmp_eq_u64_e32 vcc, v[0:1], v[2:3]
	s_or_b64 s[12:13], vcc, s[12:13]
	v_mov_b64_e32 v[2:3], v[0:1]
	s_andn2_b64 exec, exec, s[12:13]
	s_cbranch_execnz .LBB3_263
.LBB3_264:
	s_or_b64 exec, exec, s[10:11]
	v_mov_b32_e32 v3, 0
	global_load_dwordx2 v[0:1], v3, s[2:3] offset:16
	s_mov_b64 s[10:11], exec
	v_mbcnt_lo_u32_b32 v2, s10, 0
	v_mbcnt_hi_u32_b32 v2, s11, v2
	v_cmp_eq_u32_e32 vcc, 0, v2
	s_and_saveexec_b64 s[12:13], vcc
	s_cbranch_execz .LBB3_266
; %bb.265:
	s_bcnt1_i32_b64 s10, s[10:11]
	v_mov_b32_e32 v2, s10
	buffer_wbl2 sc0 sc1
	s_waitcnt vmcnt(0)
	global_atomic_add_x2 v[0:1], v[2:3], off offset:8 sc1
.LBB3_266:
	s_or_b64 exec, exec, s[12:13]
	s_waitcnt vmcnt(0)
	global_load_dwordx2 v[2:3], v[0:1], off offset:16
	s_waitcnt vmcnt(0)
	v_cmp_eq_u64_e32 vcc, 0, v[2:3]
	s_cbranch_vccnz .LBB3_268
; %bb.267:
	global_load_dword v0, v[0:1], off offset:24
	v_mov_b32_e32 v1, 0
	buffer_wbl2 sc0 sc1
	s_waitcnt vmcnt(0)
	global_store_dwordx2 v[2:3], v[0:1], off sc0 sc1
	v_and_b32_e32 v0, 0xffffff, v0
	s_nop 0
	v_readfirstlane_b32 m0, v0
	s_sendmsg sendmsg(MSG_INTERRUPT)
.LBB3_268:
	s_or_b64 exec, exec, s[6:7]
	v_lshl_add_u64 v[0:1], v[12:13], 0, v[32:33]
	s_branch .LBB3_272
.LBB3_269:                              ;   in Loop: Header=BB3_272 Depth=1
	s_or_b64 exec, exec, s[6:7]
	v_readfirstlane_b32 s6, v2
	s_cmp_eq_u32 s6, 0
	s_cbranch_scc1 .LBB3_271
; %bb.270:                              ;   in Loop: Header=BB3_272 Depth=1
	s_sleep 1
	s_cbranch_execnz .LBB3_272
	s_branch .LBB3_274
.LBB3_271:
	s_branch .LBB3_274
.LBB3_272:                              ; =>This Inner Loop Header: Depth=1
	v_mov_b32_e32 v2, 1
	s_and_saveexec_b64 s[6:7], s[0:1]
	s_cbranch_execz .LBB3_269
; %bb.273:                              ;   in Loop: Header=BB3_272 Depth=1
	global_load_dword v2, v[10:11], off offset:20 sc0 sc1
	s_waitcnt vmcnt(0)
	buffer_inv sc0 sc1
	v_and_b32_e32 v2, 1, v2
	s_branch .LBB3_269
.LBB3_274:
	global_load_dwordx2 v[0:1], v[0:1], off
	s_and_saveexec_b64 s[6:7], s[0:1]
	s_cbranch_execz .LBB3_277
; %bb.275:
	v_mov_b32_e32 v10, 0
	global_load_dwordx2 v[2:3], v10, s[2:3] offset:40
	global_load_dwordx2 v[12:13], v10, s[2:3] offset:24 sc0 sc1
	global_load_dwordx2 v[14:15], v10, s[2:3]
	s_mov_b64 s[0:1], 0
	s_waitcnt vmcnt(2)
	v_lshl_add_u64 v[6:7], v[2:3], 0, 1
	v_lshl_add_u64 v[16:17], v[6:7], 0, s[4:5]
	v_cmp_eq_u64_e32 vcc, 0, v[16:17]
	s_waitcnt vmcnt(1)
	v_mov_b32_e32 v8, v12
	v_cndmask_b32_e32 v7, v17, v7, vcc
	v_cndmask_b32_e32 v6, v16, v6, vcc
	v_and_b32_e32 v3, v7, v3
	v_and_b32_e32 v2, v6, v2
	v_mul_lo_u32 v3, v3, 24
	v_mul_hi_u32 v9, v2, 24
	v_mul_lo_u32 v2, v2, 24
	v_add_u32_e32 v3, v9, v3
	s_waitcnt vmcnt(0)
	v_lshl_add_u64 v[2:3], v[14:15], 0, v[2:3]
	global_store_dwordx2 v[2:3], v[12:13], off
	v_mov_b32_e32 v9, v13
	buffer_wbl2 sc0 sc1
	s_waitcnt vmcnt(0)
	global_atomic_cmpswap_x2 v[8:9], v10, v[6:9], s[2:3] offset:24 sc0 sc1
	s_waitcnt vmcnt(0)
	v_cmp_ne_u64_e32 vcc, v[8:9], v[12:13]
	s_and_b64 exec, exec, vcc
	s_cbranch_execz .LBB3_277
.LBB3_276:                              ; =>This Inner Loop Header: Depth=1
	s_sleep 1
	global_store_dwordx2 v[2:3], v[8:9], off
	buffer_wbl2 sc0 sc1
	s_waitcnt vmcnt(0)
	global_atomic_cmpswap_x2 v[12:13], v10, v[6:9], s[2:3] offset:24 sc0 sc1
	s_waitcnt vmcnt(0)
	v_cmp_eq_u64_e32 vcc, v[12:13], v[8:9]
	s_or_b64 s[0:1], vcc, s[0:1]
	v_mov_b64_e32 v[8:9], v[12:13]
	s_andn2_b64 exec, exec, s[0:1]
	s_cbranch_execnz .LBB3_276
.LBB3_277:
	s_or_b64 exec, exec, s[6:7]
	s_mov_b64 s[0:1], 0
	v_mov_b64_e32 v[2:3], v[4:5]
.LBB3_278:                              ; =>This Inner Loop Header: Depth=1
	flat_load_ubyte v6, v[2:3]
	v_lshl_add_u64 v[2:3], v[2:3], 0, 1
	s_waitcnt vmcnt(0) lgkmcnt(0)
	v_cmp_eq_u16_e32 vcc, 0, v6
	s_or_b64 s[0:1], vcc, s[0:1]
	s_andn2_b64 exec, exec, s[0:1]
	s_cbranch_execnz .LBB3_278
; %bb.279:
	s_or_b64 exec, exec, s[0:1]
	s_mov_b64 s[4:5], 0
	v_cmp_ne_u64_e32 vcc, 0, v[4:5]
	s_and_saveexec_b64 s[0:1], vcc
	s_xor_b64 s[6:7], exec, s[0:1]
	s_cbranch_execz .LBB3_365
; %bb.280:
	v_sub_u32_e32 v26, v2, v4
	v_ashrrev_i32_e32 v27, 31, v26
	v_and_b32_e32 v28, 2, v0
	v_mov_b32_e32 v33, 0
	v_and_b32_e32 v0, -3, v0
	s_mov_b32 s18, 0
	s_movk_i32 s19, 0xff1f
	v_mov_b32_e32 v8, 2
	v_mov_b32_e32 v9, 1
	s_branch .LBB3_282
.LBB3_281:                              ;   in Loop: Header=BB3_282 Depth=1
	s_or_b64 exec, exec, s[12:13]
	v_sub_co_u32_e32 v26, vcc, v26, v30
	v_lshl_add_u64 v[4:5], v[4:5], 0, v[30:31]
	s_nop 0
	v_subb_co_u32_e32 v27, vcc, v27, v31, vcc
	v_cmp_eq_u64_e32 vcc, 0, v[26:27]
	s_or_b64 s[4:5], vcc, s[4:5]
	s_andn2_b64 exec, exec, s[4:5]
	s_cbranch_execz .LBB3_364
.LBB3_282:                              ; =>This Loop Header: Depth=1
                                        ;     Child Loop BB3_285 Depth 2
                                        ;     Child Loop BB3_293 Depth 2
	;; [unrolled: 1-line block ×11, first 2 shown]
	v_cmp_gt_u64_e32 vcc, 56, v[26:27]
                                        ; implicit-def: $vgpr2_vgpr3
                                        ; implicit-def: $sgpr10
	s_nop 1
	v_cndmask_b32_e32 v31, 0, v27, vcc
	v_cndmask_b32_e32 v30, 56, v26, vcc
	v_cmp_gt_u64_e32 vcc, 8, v[26:27]
	s_and_saveexec_b64 s[0:1], vcc
	s_xor_b64 s[0:1], exec, s[0:1]
	s_cbranch_execz .LBB3_288
; %bb.283:                              ;   in Loop: Header=BB3_282 Depth=1
	s_mov_b64 s[12:13], 0
	v_cmp_ne_u64_e32 vcc, 0, v[26:27]
	s_waitcnt vmcnt(0)
	v_mov_b64_e32 v[2:3], 0
	s_and_saveexec_b64 s[10:11], vcc
	s_cbranch_execz .LBB3_287
; %bb.284:                              ;   in Loop: Header=BB3_282 Depth=1
	v_lshlrev_b64 v[6:7], 3, v[30:31]
	v_mov_b64_e32 v[2:3], 0
	v_mov_b64_e32 v[10:11], v[4:5]
	s_mov_b64 s[14:15], 0
.LBB3_285:                              ;   Parent Loop BB3_282 Depth=1
                                        ; =>  This Inner Loop Header: Depth=2
	flat_load_ubyte v7, v[10:11]
	v_mov_b32_e32 v13, s18
	v_lshl_add_u64 v[10:11], v[10:11], 0, 1
	s_waitcnt vmcnt(0) lgkmcnt(0)
	v_and_b32_e32 v12, 0xffff, v7
	v_lshlrev_b64 v[12:13], s14, v[12:13]
	s_add_u32 s14, s14, 8
	s_addc_u32 s15, s15, 0
	v_cmp_eq_u32_e32 vcc, s14, v6
	v_or_b32_e32 v3, v13, v3
	s_or_b64 s[12:13], vcc, s[12:13]
	v_or_b32_e32 v2, v12, v2
	s_andn2_b64 exec, exec, s[12:13]
	s_cbranch_execnz .LBB3_285
; %bb.286:                              ;   in Loop: Header=BB3_282 Depth=1
	s_or_b64 exec, exec, s[12:13]
.LBB3_287:                              ;   in Loop: Header=BB3_282 Depth=1
	s_or_b64 exec, exec, s[10:11]
	s_mov_b32 s10, 0
.LBB3_288:                              ;   in Loop: Header=BB3_282 Depth=1
	s_or_saveexec_b64 s[0:1], s[0:1]
	v_mov_b32_e32 v12, s10
	v_mov_b64_e32 v[6:7], v[4:5]
	s_xor_b64 exec, exec, s[0:1]
	s_cbranch_execz .LBB3_290
; %bb.289:                              ;   in Loop: Header=BB3_282 Depth=1
	s_waitcnt vmcnt(0)
	flat_load_dwordx2 v[2:3], v[4:5]
	v_add_u32_e32 v12, -8, v30
	s_waitcnt vmcnt(0) lgkmcnt(0)
	v_and_b32_e32 v6, 0xff, v3
	v_and_b32_e32 v7, 0xff00, v3
	;; [unrolled: 1-line block ×4, first 2 shown]
	v_or_b32_e32 v6, v6, v7
	v_or3_b32 v2, v2, 0, 0
	v_or3_b32 v3, v6, v10, v3
	v_lshl_add_u64 v[6:7], v[4:5], 0, 8
.LBB3_290:                              ;   in Loop: Header=BB3_282 Depth=1
	s_or_b64 exec, exec, s[0:1]
	v_cmp_gt_u32_e32 vcc, 8, v12
                                        ; implicit-def: $vgpr10_vgpr11
                                        ; implicit-def: $sgpr10
	s_and_saveexec_b64 s[0:1], vcc
	s_xor_b64 s[0:1], exec, s[0:1]
	s_cbranch_execz .LBB3_296
; %bb.291:                              ;   in Loop: Header=BB3_282 Depth=1
	v_cmp_ne_u32_e32 vcc, 0, v12
	v_mov_b64_e32 v[10:11], 0
	s_and_saveexec_b64 s[10:11], vcc
	s_cbranch_execz .LBB3_295
; %bb.292:                              ;   in Loop: Header=BB3_282 Depth=1
	s_mov_b64 s[12:13], 0
	v_mov_b64_e32 v[10:11], 0
	s_mov_b64 s[14:15], 0
	s_mov_b64 s[16:17], 0
.LBB3_293:                              ;   Parent Loop BB3_282 Depth=1
                                        ; =>  This Inner Loop Header: Depth=2
	v_lshl_add_u64 v[14:15], v[6:7], 0, s[16:17]
	flat_load_ubyte v13, v[14:15]
	s_add_u32 s16, s16, 1
	v_mov_b32_e32 v15, s18
	s_addc_u32 s17, s17, 0
	v_cmp_eq_u32_e32 vcc, s16, v12
	s_waitcnt vmcnt(0) lgkmcnt(0)
	v_and_b32_e32 v14, 0xffff, v13
	v_lshlrev_b64 v[14:15], s14, v[14:15]
	s_add_u32 s14, s14, 8
	s_addc_u32 s15, s15, 0
	v_or_b32_e32 v11, v15, v11
	s_or_b64 s[12:13], vcc, s[12:13]
	v_or_b32_e32 v10, v14, v10
	s_andn2_b64 exec, exec, s[12:13]
	s_cbranch_execnz .LBB3_293
; %bb.294:                              ;   in Loop: Header=BB3_282 Depth=1
	s_or_b64 exec, exec, s[12:13]
.LBB3_295:                              ;   in Loop: Header=BB3_282 Depth=1
	s_or_b64 exec, exec, s[10:11]
	s_mov_b32 s10, 0
                                        ; implicit-def: $vgpr12
.LBB3_296:                              ;   in Loop: Header=BB3_282 Depth=1
	s_or_saveexec_b64 s[0:1], s[0:1]
	v_mov_b32_e32 v14, s10
	s_xor_b64 exec, exec, s[0:1]
	s_cbranch_execz .LBB3_298
; %bb.297:                              ;   in Loop: Header=BB3_282 Depth=1
	flat_load_dwordx2 v[10:11], v[6:7]
	v_add_u32_e32 v14, -8, v12
	v_lshl_add_u64 v[6:7], v[6:7], 0, 8
	s_waitcnt vmcnt(0) lgkmcnt(0)
	v_and_b32_e32 v12, 0xff, v11
	v_and_b32_e32 v13, 0xff00, v11
	;; [unrolled: 1-line block ×4, first 2 shown]
	v_or_b32_e32 v12, v12, v13
	v_or3_b32 v10, v10, 0, 0
	v_or3_b32 v11, v12, v15, v11
.LBB3_298:                              ;   in Loop: Header=BB3_282 Depth=1
	s_or_b64 exec, exec, s[0:1]
	v_cmp_gt_u32_e32 vcc, 8, v14
                                        ; implicit-def: $sgpr10
	s_and_saveexec_b64 s[0:1], vcc
	s_xor_b64 s[0:1], exec, s[0:1]
	s_cbranch_execz .LBB3_304
; %bb.299:                              ;   in Loop: Header=BB3_282 Depth=1
	v_cmp_ne_u32_e32 vcc, 0, v14
	v_mov_b64_e32 v[12:13], 0
	s_and_saveexec_b64 s[10:11], vcc
	s_cbranch_execz .LBB3_303
; %bb.300:                              ;   in Loop: Header=BB3_282 Depth=1
	s_mov_b64 s[12:13], 0
	v_mov_b64_e32 v[12:13], 0
	s_mov_b64 s[14:15], 0
	s_mov_b64 s[16:17], 0
.LBB3_301:                              ;   Parent Loop BB3_282 Depth=1
                                        ; =>  This Inner Loop Header: Depth=2
	v_lshl_add_u64 v[16:17], v[6:7], 0, s[16:17]
	flat_load_ubyte v15, v[16:17]
	s_add_u32 s16, s16, 1
	v_mov_b32_e32 v17, s18
	s_addc_u32 s17, s17, 0
	v_cmp_eq_u32_e32 vcc, s16, v14
	s_waitcnt vmcnt(0) lgkmcnt(0)
	v_and_b32_e32 v16, 0xffff, v15
	v_lshlrev_b64 v[16:17], s14, v[16:17]
	s_add_u32 s14, s14, 8
	s_addc_u32 s15, s15, 0
	v_or_b32_e32 v13, v17, v13
	s_or_b64 s[12:13], vcc, s[12:13]
	v_or_b32_e32 v12, v16, v12
	s_andn2_b64 exec, exec, s[12:13]
	s_cbranch_execnz .LBB3_301
; %bb.302:                              ;   in Loop: Header=BB3_282 Depth=1
	s_or_b64 exec, exec, s[12:13]
.LBB3_303:                              ;   in Loop: Header=BB3_282 Depth=1
	s_or_b64 exec, exec, s[10:11]
	s_mov_b32 s10, 0
                                        ; implicit-def: $vgpr14
.LBB3_304:                              ;   in Loop: Header=BB3_282 Depth=1
	s_or_saveexec_b64 s[0:1], s[0:1]
	v_mov_b32_e32 v16, s10
	s_xor_b64 exec, exec, s[0:1]
	s_cbranch_execz .LBB3_306
; %bb.305:                              ;   in Loop: Header=BB3_282 Depth=1
	flat_load_dwordx2 v[12:13], v[6:7]
	v_add_u32_e32 v16, -8, v14
	v_lshl_add_u64 v[6:7], v[6:7], 0, 8
	s_waitcnt vmcnt(0) lgkmcnt(0)
	v_and_b32_e32 v14, 0xff, v13
	v_and_b32_e32 v15, 0xff00, v13
	v_and_b32_e32 v17, 0xff0000, v13
	v_and_b32_e32 v13, 0xff000000, v13
	v_or_b32_e32 v14, v14, v15
	v_or3_b32 v12, v12, 0, 0
	v_or3_b32 v13, v14, v17, v13
.LBB3_306:                              ;   in Loop: Header=BB3_282 Depth=1
	s_or_b64 exec, exec, s[0:1]
	v_cmp_gt_u32_e32 vcc, 8, v16
                                        ; implicit-def: $vgpr14_vgpr15
                                        ; implicit-def: $sgpr10
	s_and_saveexec_b64 s[0:1], vcc
	s_xor_b64 s[0:1], exec, s[0:1]
	s_cbranch_execz .LBB3_312
; %bb.307:                              ;   in Loop: Header=BB3_282 Depth=1
	v_cmp_ne_u32_e32 vcc, 0, v16
	v_mov_b64_e32 v[14:15], 0
	s_and_saveexec_b64 s[10:11], vcc
	s_cbranch_execz .LBB3_311
; %bb.308:                              ;   in Loop: Header=BB3_282 Depth=1
	s_mov_b64 s[12:13], 0
	v_mov_b64_e32 v[14:15], 0
	s_mov_b64 s[14:15], 0
	s_mov_b64 s[16:17], 0
.LBB3_309:                              ;   Parent Loop BB3_282 Depth=1
                                        ; =>  This Inner Loop Header: Depth=2
	v_lshl_add_u64 v[18:19], v[6:7], 0, s[16:17]
	flat_load_ubyte v17, v[18:19]
	s_add_u32 s16, s16, 1
	v_mov_b32_e32 v19, s18
	s_addc_u32 s17, s17, 0
	v_cmp_eq_u32_e32 vcc, s16, v16
	s_waitcnt vmcnt(0) lgkmcnt(0)
	v_and_b32_e32 v18, 0xffff, v17
	v_lshlrev_b64 v[18:19], s14, v[18:19]
	s_add_u32 s14, s14, 8
	s_addc_u32 s15, s15, 0
	v_or_b32_e32 v15, v19, v15
	s_or_b64 s[12:13], vcc, s[12:13]
	v_or_b32_e32 v14, v18, v14
	s_andn2_b64 exec, exec, s[12:13]
	s_cbranch_execnz .LBB3_309
; %bb.310:                              ;   in Loop: Header=BB3_282 Depth=1
	s_or_b64 exec, exec, s[12:13]
.LBB3_311:                              ;   in Loop: Header=BB3_282 Depth=1
	s_or_b64 exec, exec, s[10:11]
	s_mov_b32 s10, 0
                                        ; implicit-def: $vgpr16
.LBB3_312:                              ;   in Loop: Header=BB3_282 Depth=1
	s_or_saveexec_b64 s[0:1], s[0:1]
	v_mov_b32_e32 v18, s10
	s_xor_b64 exec, exec, s[0:1]
	s_cbranch_execz .LBB3_314
; %bb.313:                              ;   in Loop: Header=BB3_282 Depth=1
	flat_load_dwordx2 v[14:15], v[6:7]
	v_add_u32_e32 v18, -8, v16
	v_lshl_add_u64 v[6:7], v[6:7], 0, 8
	s_waitcnt vmcnt(0) lgkmcnt(0)
	v_and_b32_e32 v16, 0xff, v15
	v_and_b32_e32 v17, 0xff00, v15
	;; [unrolled: 1-line block ×4, first 2 shown]
	v_or_b32_e32 v16, v16, v17
	v_or3_b32 v14, v14, 0, 0
	v_or3_b32 v15, v16, v19, v15
.LBB3_314:                              ;   in Loop: Header=BB3_282 Depth=1
	s_or_b64 exec, exec, s[0:1]
	v_cmp_gt_u32_e32 vcc, 8, v18
                                        ; implicit-def: $sgpr10
	s_and_saveexec_b64 s[0:1], vcc
	s_xor_b64 s[0:1], exec, s[0:1]
	s_cbranch_execz .LBB3_320
; %bb.315:                              ;   in Loop: Header=BB3_282 Depth=1
	v_cmp_ne_u32_e32 vcc, 0, v18
	v_mov_b64_e32 v[16:17], 0
	s_and_saveexec_b64 s[10:11], vcc
	s_cbranch_execz .LBB3_319
; %bb.316:                              ;   in Loop: Header=BB3_282 Depth=1
	s_mov_b64 s[12:13], 0
	v_mov_b64_e32 v[16:17], 0
	s_mov_b64 s[14:15], 0
	s_mov_b64 s[16:17], 0
.LBB3_317:                              ;   Parent Loop BB3_282 Depth=1
                                        ; =>  This Inner Loop Header: Depth=2
	v_lshl_add_u64 v[20:21], v[6:7], 0, s[16:17]
	flat_load_ubyte v19, v[20:21]
	s_add_u32 s16, s16, 1
	v_mov_b32_e32 v21, s18
	s_addc_u32 s17, s17, 0
	v_cmp_eq_u32_e32 vcc, s16, v18
	s_waitcnt vmcnt(0) lgkmcnt(0)
	v_and_b32_e32 v20, 0xffff, v19
	v_lshlrev_b64 v[20:21], s14, v[20:21]
	s_add_u32 s14, s14, 8
	s_addc_u32 s15, s15, 0
	v_or_b32_e32 v17, v21, v17
	s_or_b64 s[12:13], vcc, s[12:13]
	v_or_b32_e32 v16, v20, v16
	s_andn2_b64 exec, exec, s[12:13]
	s_cbranch_execnz .LBB3_317
; %bb.318:                              ;   in Loop: Header=BB3_282 Depth=1
	s_or_b64 exec, exec, s[12:13]
.LBB3_319:                              ;   in Loop: Header=BB3_282 Depth=1
	s_or_b64 exec, exec, s[10:11]
	s_mov_b32 s10, 0
                                        ; implicit-def: $vgpr18
.LBB3_320:                              ;   in Loop: Header=BB3_282 Depth=1
	s_or_saveexec_b64 s[0:1], s[0:1]
	v_mov_b32_e32 v20, s10
	s_xor_b64 exec, exec, s[0:1]
	s_cbranch_execz .LBB3_322
; %bb.321:                              ;   in Loop: Header=BB3_282 Depth=1
	flat_load_dwordx2 v[16:17], v[6:7]
	v_add_u32_e32 v20, -8, v18
	v_lshl_add_u64 v[6:7], v[6:7], 0, 8
	s_waitcnt vmcnt(0) lgkmcnt(0)
	v_and_b32_e32 v18, 0xff, v17
	v_and_b32_e32 v19, 0xff00, v17
	;; [unrolled: 1-line block ×4, first 2 shown]
	v_or_b32_e32 v18, v18, v19
	v_or3_b32 v16, v16, 0, 0
	v_or3_b32 v17, v18, v21, v17
.LBB3_322:                              ;   in Loop: Header=BB3_282 Depth=1
	s_or_b64 exec, exec, s[0:1]
	v_cmp_gt_u32_e32 vcc, 8, v20
                                        ; implicit-def: $vgpr18_vgpr19
                                        ; implicit-def: $sgpr10
	s_and_saveexec_b64 s[0:1], vcc
	s_xor_b64 s[0:1], exec, s[0:1]
	s_cbranch_execz .LBB3_328
; %bb.323:                              ;   in Loop: Header=BB3_282 Depth=1
	v_cmp_ne_u32_e32 vcc, 0, v20
	v_mov_b64_e32 v[18:19], 0
	s_and_saveexec_b64 s[10:11], vcc
	s_cbranch_execz .LBB3_327
; %bb.324:                              ;   in Loop: Header=BB3_282 Depth=1
	s_mov_b64 s[12:13], 0
	v_mov_b64_e32 v[18:19], 0
	s_mov_b64 s[14:15], 0
	s_mov_b64 s[16:17], 0
.LBB3_325:                              ;   Parent Loop BB3_282 Depth=1
                                        ; =>  This Inner Loop Header: Depth=2
	v_lshl_add_u64 v[22:23], v[6:7], 0, s[16:17]
	flat_load_ubyte v21, v[22:23]
	s_add_u32 s16, s16, 1
	v_mov_b32_e32 v23, s18
	s_addc_u32 s17, s17, 0
	v_cmp_eq_u32_e32 vcc, s16, v20
	s_waitcnt vmcnt(0) lgkmcnt(0)
	v_and_b32_e32 v22, 0xffff, v21
	v_lshlrev_b64 v[22:23], s14, v[22:23]
	s_add_u32 s14, s14, 8
	s_addc_u32 s15, s15, 0
	v_or_b32_e32 v19, v23, v19
	s_or_b64 s[12:13], vcc, s[12:13]
	v_or_b32_e32 v18, v22, v18
	s_andn2_b64 exec, exec, s[12:13]
	s_cbranch_execnz .LBB3_325
; %bb.326:                              ;   in Loop: Header=BB3_282 Depth=1
	s_or_b64 exec, exec, s[12:13]
.LBB3_327:                              ;   in Loop: Header=BB3_282 Depth=1
	s_or_b64 exec, exec, s[10:11]
	s_mov_b32 s10, 0
                                        ; implicit-def: $vgpr20
.LBB3_328:                              ;   in Loop: Header=BB3_282 Depth=1
	s_or_saveexec_b64 s[0:1], s[0:1]
	v_mov_b32_e32 v22, s10
	s_xor_b64 exec, exec, s[0:1]
	s_cbranch_execz .LBB3_330
; %bb.329:                              ;   in Loop: Header=BB3_282 Depth=1
	flat_load_dwordx2 v[18:19], v[6:7]
	v_add_u32_e32 v22, -8, v20
	v_lshl_add_u64 v[6:7], v[6:7], 0, 8
	s_waitcnt vmcnt(0) lgkmcnt(0)
	v_and_b32_e32 v20, 0xff, v19
	v_and_b32_e32 v21, 0xff00, v19
	;; [unrolled: 1-line block ×4, first 2 shown]
	v_or_b32_e32 v20, v20, v21
	v_or3_b32 v18, v18, 0, 0
	v_or3_b32 v19, v20, v23, v19
.LBB3_330:                              ;   in Loop: Header=BB3_282 Depth=1
	s_or_b64 exec, exec, s[0:1]
	v_cmp_gt_u32_e32 vcc, 8, v22
	s_and_saveexec_b64 s[0:1], vcc
	s_xor_b64 s[0:1], exec, s[0:1]
	s_cbranch_execz .LBB3_336
; %bb.331:                              ;   in Loop: Header=BB3_282 Depth=1
	v_cmp_ne_u32_e32 vcc, 0, v22
	v_mov_b64_e32 v[20:21], 0
	s_and_saveexec_b64 s[10:11], vcc
	s_cbranch_execz .LBB3_335
; %bb.332:                              ;   in Loop: Header=BB3_282 Depth=1
	s_mov_b64 s[12:13], 0
	v_mov_b64_e32 v[20:21], 0
	s_mov_b64 s[14:15], 0
.LBB3_333:                              ;   Parent Loop BB3_282 Depth=1
                                        ; =>  This Inner Loop Header: Depth=2
	flat_load_ubyte v23, v[6:7]
	v_mov_b32_e32 v25, s18
	v_add_u32_e32 v22, -1, v22
	v_cmp_eq_u32_e32 vcc, 0, v22
	v_lshl_add_u64 v[6:7], v[6:7], 0, 1
	s_waitcnt vmcnt(0) lgkmcnt(0)
	v_and_b32_e32 v24, 0xffff, v23
	v_lshlrev_b64 v[24:25], s14, v[24:25]
	s_add_u32 s14, s14, 8
	s_addc_u32 s15, s15, 0
	v_or_b32_e32 v21, v25, v21
	s_or_b64 s[12:13], vcc, s[12:13]
	v_or_b32_e32 v20, v24, v20
	s_andn2_b64 exec, exec, s[12:13]
	s_cbranch_execnz .LBB3_333
; %bb.334:                              ;   in Loop: Header=BB3_282 Depth=1
	s_or_b64 exec, exec, s[12:13]
.LBB3_335:                              ;   in Loop: Header=BB3_282 Depth=1
	s_or_b64 exec, exec, s[10:11]
                                        ; implicit-def: $vgpr6_vgpr7
.LBB3_336:                              ;   in Loop: Header=BB3_282 Depth=1
	s_andn2_saveexec_b64 s[0:1], s[0:1]
	s_cbranch_execz .LBB3_338
; %bb.337:                              ;   in Loop: Header=BB3_282 Depth=1
	flat_load_dwordx2 v[6:7], v[6:7]
	s_waitcnt vmcnt(0) lgkmcnt(0)
	v_and_b32_e32 v20, 0xff, v7
	v_and_b32_e32 v21, 0xff00, v7
	;; [unrolled: 1-line block ×4, first 2 shown]
	v_or_b32_e32 v20, v20, v21
	v_or3_b32 v21, v20, v22, v7
	v_or3_b32 v20, v6, 0, 0
.LBB3_338:                              ;   in Loop: Header=BB3_282 Depth=1
	s_or_b64 exec, exec, s[0:1]
	v_readfirstlane_b32 s0, v38
	v_mov_b64_e32 v[6:7], 0
	s_nop 0
	v_cmp_eq_u32_e64 s[0:1], s0, v38
	s_and_saveexec_b64 s[10:11], s[0:1]
	s_cbranch_execz .LBB3_344
; %bb.339:                              ;   in Loop: Header=BB3_282 Depth=1
	global_load_dwordx2 v[24:25], v33, s[2:3] offset:24 sc0 sc1
	s_waitcnt vmcnt(0)
	buffer_inv sc0 sc1
	global_load_dwordx2 v[6:7], v33, s[2:3] offset:40
	global_load_dwordx2 v[22:23], v33, s[2:3]
	s_waitcnt vmcnt(1)
	v_and_b32_e32 v6, v6, v24
	v_and_b32_e32 v7, v7, v25
	v_mul_lo_u32 v7, v7, 24
	v_mul_hi_u32 v29, v6, 24
	v_add_u32_e32 v7, v29, v7
	v_mul_lo_u32 v6, v6, 24
	s_waitcnt vmcnt(0)
	v_lshl_add_u64 v[6:7], v[22:23], 0, v[6:7]
	global_load_dwordx2 v[22:23], v[6:7], off sc0 sc1
	s_waitcnt vmcnt(0)
	global_atomic_cmpswap_x2 v[6:7], v33, v[22:25], s[2:3] offset:24 sc0 sc1
	s_waitcnt vmcnt(0)
	buffer_inv sc0 sc1
	v_cmp_ne_u64_e32 vcc, v[6:7], v[24:25]
	s_and_saveexec_b64 s[12:13], vcc
	s_cbranch_execz .LBB3_343
; %bb.340:                              ;   in Loop: Header=BB3_282 Depth=1
	s_mov_b64 s[14:15], 0
.LBB3_341:                              ;   Parent Loop BB3_282 Depth=1
                                        ; =>  This Inner Loop Header: Depth=2
	s_sleep 1
	global_load_dwordx2 v[22:23], v33, s[2:3] offset:40
	global_load_dwordx2 v[34:35], v33, s[2:3]
	v_mov_b64_e32 v[24:25], v[6:7]
	s_waitcnt vmcnt(1)
	v_and_b32_e32 v6, v22, v24
	s_waitcnt vmcnt(0)
	v_mad_u64_u32 v[6:7], s[16:17], v6, 24, v[34:35]
	v_and_b32_e32 v23, v23, v25
	v_mov_b32_e32 v22, v7
	v_mad_u64_u32 v[22:23], s[16:17], v23, 24, v[22:23]
	v_mov_b32_e32 v7, v22
	global_load_dwordx2 v[22:23], v[6:7], off sc0 sc1
	s_waitcnt vmcnt(0)
	global_atomic_cmpswap_x2 v[6:7], v33, v[22:25], s[2:3] offset:24 sc0 sc1
	s_waitcnt vmcnt(0)
	buffer_inv sc0 sc1
	v_cmp_eq_u64_e32 vcc, v[6:7], v[24:25]
	s_or_b64 s[14:15], vcc, s[14:15]
	s_andn2_b64 exec, exec, s[14:15]
	s_cbranch_execnz .LBB3_341
; %bb.342:                              ;   in Loop: Header=BB3_282 Depth=1
	s_or_b64 exec, exec, s[14:15]
.LBB3_343:                              ;   in Loop: Header=BB3_282 Depth=1
	s_or_b64 exec, exec, s[12:13]
.LBB3_344:                              ;   in Loop: Header=BB3_282 Depth=1
	s_or_b64 exec, exec, s[10:11]
	global_load_dwordx2 v[34:35], v33, s[2:3] offset:40
	global_load_dwordx4 v[22:25], v33, s[2:3]
	v_readfirstlane_b32 s10, v6
	v_readfirstlane_b32 s11, v7
	s_mov_b64 s[12:13], exec
	s_waitcnt vmcnt(1)
	v_readfirstlane_b32 s14, v34
	v_readfirstlane_b32 s15, v35
	s_and_b64 s[14:15], s[10:11], s[14:15]
	s_mul_i32 s16, s15, 24
	s_mul_hi_u32 s17, s14, 24
	s_add_i32 s17, s17, s16
	s_mul_i32 s16, s14, 24
	s_waitcnt vmcnt(0)
	v_lshl_add_u64 v[34:35], v[22:23], 0, s[16:17]
	s_and_saveexec_b64 s[16:17], s[0:1]
	s_cbranch_execz .LBB3_346
; %bb.345:                              ;   in Loop: Header=BB3_282 Depth=1
	v_mov_b64_e32 v[6:7], s[12:13]
	global_store_dwordx4 v[34:35], v[6:9], off offset:8
.LBB3_346:                              ;   in Loop: Header=BB3_282 Depth=1
	s_or_b64 exec, exec, s[16:17]
	s_lshl_b64 s[12:13], s[14:15], 12
	v_lshl_add_u64 v[6:7], v[24:25], 0, s[12:13]
	v_or_b32_e32 v24, 0, v1
	v_cmp_lt_u64_e32 vcc, 56, v[26:27]
	v_or_b32_e32 v25, v0, v28
	v_readfirstlane_b32 s12, v6
	v_cndmask_b32_e32 v1, v24, v1, vcc
	v_lshl_add_u32 v24, v30, 2, 28
	v_cndmask_b32_e32 v0, v25, v0, vcc
	v_and_b32_e32 v24, 0x1e0, v24
	v_and_or_b32 v0, v0, s19, v24
	v_readfirstlane_b32 s13, v7
	s_nop 4
	global_store_dwordx4 v32, v[0:3], s[12:13]
	global_store_dwordx4 v32, v[10:13], s[12:13] offset:16
	global_store_dwordx4 v32, v[14:17], s[12:13] offset:32
	;; [unrolled: 1-line block ×3, first 2 shown]
	s_and_saveexec_b64 s[12:13], s[0:1]
	s_cbranch_execz .LBB3_354
; %bb.347:                              ;   in Loop: Header=BB3_282 Depth=1
	global_load_dwordx2 v[14:15], v33, s[2:3] offset:32 sc0 sc1
	global_load_dwordx2 v[0:1], v33, s[2:3] offset:40
	v_mov_b32_e32 v12, s10
	v_mov_b32_e32 v13, s11
	s_waitcnt vmcnt(0)
	v_readfirstlane_b32 s14, v0
	v_readfirstlane_b32 s15, v1
	s_and_b64 s[14:15], s[14:15], s[10:11]
	s_mul_i32 s15, s15, 24
	s_mul_hi_u32 s16, s14, 24
	s_mul_i32 s14, s14, 24
	s_add_i32 s15, s16, s15
	v_lshl_add_u64 v[10:11], v[22:23], 0, s[14:15]
	global_store_dwordx2 v[10:11], v[14:15], off
	buffer_wbl2 sc0 sc1
	s_waitcnt vmcnt(0)
	global_atomic_cmpswap_x2 v[2:3], v33, v[12:15], s[2:3] offset:32 sc0 sc1
	s_waitcnt vmcnt(0)
	v_cmp_ne_u64_e32 vcc, v[2:3], v[14:15]
	s_and_saveexec_b64 s[14:15], vcc
	s_cbranch_execz .LBB3_350
; %bb.348:                              ;   in Loop: Header=BB3_282 Depth=1
	s_mov_b64 s[16:17], 0
.LBB3_349:                              ;   Parent Loop BB3_282 Depth=1
                                        ; =>  This Inner Loop Header: Depth=2
	s_sleep 1
	global_store_dwordx2 v[10:11], v[2:3], off
	v_mov_b32_e32 v0, s10
	v_mov_b32_e32 v1, s11
	buffer_wbl2 sc0 sc1
	s_waitcnt vmcnt(0)
	global_atomic_cmpswap_x2 v[0:1], v33, v[0:3], s[2:3] offset:32 sc0 sc1
	s_waitcnt vmcnt(0)
	v_cmp_eq_u64_e32 vcc, v[0:1], v[2:3]
	s_or_b64 s[16:17], vcc, s[16:17]
	v_mov_b64_e32 v[2:3], v[0:1]
	s_andn2_b64 exec, exec, s[16:17]
	s_cbranch_execnz .LBB3_349
.LBB3_350:                              ;   in Loop: Header=BB3_282 Depth=1
	s_or_b64 exec, exec, s[14:15]
	global_load_dwordx2 v[0:1], v33, s[2:3] offset:16
	s_mov_b64 s[16:17], exec
	v_mbcnt_lo_u32_b32 v2, s16, 0
	v_mbcnt_hi_u32_b32 v2, s17, v2
	v_cmp_eq_u32_e32 vcc, 0, v2
	s_and_saveexec_b64 s[14:15], vcc
	s_cbranch_execz .LBB3_352
; %bb.351:                              ;   in Loop: Header=BB3_282 Depth=1
	s_bcnt1_i32_b64 s16, s[16:17]
	v_mov_b32_e32 v2, s16
	v_mov_b32_e32 v3, v33
	buffer_wbl2 sc0 sc1
	s_waitcnt vmcnt(0)
	global_atomic_add_x2 v[0:1], v[2:3], off offset:8 sc1
.LBB3_352:                              ;   in Loop: Header=BB3_282 Depth=1
	s_or_b64 exec, exec, s[14:15]
	s_waitcnt vmcnt(0)
	global_load_dwordx2 v[2:3], v[0:1], off offset:16
	s_waitcnt vmcnt(0)
	v_cmp_eq_u64_e32 vcc, 0, v[2:3]
	s_cbranch_vccnz .LBB3_354
; %bb.353:                              ;   in Loop: Header=BB3_282 Depth=1
	global_load_dword v0, v[0:1], off offset:24
	v_mov_b32_e32 v1, v33
	buffer_wbl2 sc0 sc1
	s_waitcnt vmcnt(0)
	global_store_dwordx2 v[2:3], v[0:1], off sc0 sc1
	v_and_b32_e32 v0, 0xffffff, v0
	s_nop 0
	v_readfirstlane_b32 m0, v0
	s_sendmsg sendmsg(MSG_INTERRUPT)
.LBB3_354:                              ;   in Loop: Header=BB3_282 Depth=1
	s_or_b64 exec, exec, s[12:13]
	v_lshl_add_u64 v[0:1], v[6:7], 0, v[32:33]
	s_branch .LBB3_358
.LBB3_355:                              ;   in Loop: Header=BB3_358 Depth=2
	s_or_b64 exec, exec, s[12:13]
	v_readfirstlane_b32 s12, v2
	s_cmp_eq_u32 s12, 0
	s_cbranch_scc1 .LBB3_357
; %bb.356:                              ;   in Loop: Header=BB3_358 Depth=2
	s_sleep 1
	s_cbranch_execnz .LBB3_358
	s_branch .LBB3_360
.LBB3_357:                              ;   in Loop: Header=BB3_282 Depth=1
	s_branch .LBB3_360
.LBB3_358:                              ;   Parent Loop BB3_282 Depth=1
                                        ; =>  This Inner Loop Header: Depth=2
	v_mov_b32_e32 v2, 1
	s_and_saveexec_b64 s[12:13], s[0:1]
	s_cbranch_execz .LBB3_355
; %bb.359:                              ;   in Loop: Header=BB3_358 Depth=2
	global_load_dword v2, v[34:35], off offset:20 sc0 sc1
	s_waitcnt vmcnt(0)
	buffer_inv sc0 sc1
	v_and_b32_e32 v2, 1, v2
	s_branch .LBB3_355
.LBB3_360:                              ;   in Loop: Header=BB3_282 Depth=1
	global_load_dwordx4 v[0:3], v[0:1], off
	s_and_saveexec_b64 s[12:13], s[0:1]
	s_cbranch_execz .LBB3_281
; %bb.361:                              ;   in Loop: Header=BB3_282 Depth=1
	global_load_dwordx2 v[2:3], v33, s[2:3] offset:40
	global_load_dwordx2 v[6:7], v33, s[2:3] offset:24 sc0 sc1
	global_load_dwordx2 v[14:15], v33, s[2:3]
	s_waitcnt vmcnt(2)
	v_lshl_add_u64 v[10:11], v[2:3], 0, 1
	v_lshl_add_u64 v[16:17], v[10:11], 0, s[10:11]
	v_cmp_eq_u64_e32 vcc, 0, v[16:17]
	s_waitcnt vmcnt(1)
	v_mov_b32_e32 v12, v6
	v_cndmask_b32_e32 v11, v17, v11, vcc
	v_cndmask_b32_e32 v10, v16, v10, vcc
	v_and_b32_e32 v3, v11, v3
	v_and_b32_e32 v2, v10, v2
	v_mul_lo_u32 v3, v3, 24
	v_mul_hi_u32 v13, v2, 24
	v_mul_lo_u32 v2, v2, 24
	v_add_u32_e32 v3, v13, v3
	s_waitcnt vmcnt(0)
	v_lshl_add_u64 v[2:3], v[14:15], 0, v[2:3]
	global_store_dwordx2 v[2:3], v[6:7], off
	v_mov_b32_e32 v13, v7
	buffer_wbl2 sc0 sc1
	s_waitcnt vmcnt(0)
	global_atomic_cmpswap_x2 v[12:13], v33, v[10:13], s[2:3] offset:24 sc0 sc1
	s_waitcnt vmcnt(0)
	v_cmp_ne_u64_e32 vcc, v[12:13], v[6:7]
	s_and_b64 exec, exec, vcc
	s_cbranch_execz .LBB3_281
; %bb.362:                              ;   in Loop: Header=BB3_282 Depth=1
	s_mov_b64 s[0:1], 0
.LBB3_363:                              ;   Parent Loop BB3_282 Depth=1
                                        ; =>  This Inner Loop Header: Depth=2
	s_sleep 1
	global_store_dwordx2 v[2:3], v[12:13], off
	buffer_wbl2 sc0 sc1
	s_waitcnt vmcnt(0)
	global_atomic_cmpswap_x2 v[6:7], v33, v[10:13], s[2:3] offset:24 sc0 sc1
	s_waitcnt vmcnt(0)
	v_cmp_eq_u64_e32 vcc, v[6:7], v[12:13]
	s_or_b64 s[0:1], vcc, s[0:1]
	v_mov_b64_e32 v[12:13], v[6:7]
	s_andn2_b64 exec, exec, s[0:1]
	s_cbranch_execnz .LBB3_363
	s_branch .LBB3_281
.LBB3_364:
	s_or_b64 exec, exec, s[4:5]
                                        ; implicit-def: $vgpr32
                                        ; implicit-def: $vgpr38
.LBB3_365:
	s_andn2_saveexec_b64 s[4:5], s[6:7]
	s_cbranch_execz .LBB3_392
; %bb.366:
	v_readfirstlane_b32 s0, v38
	s_waitcnt vmcnt(0)
	v_mov_b64_e32 v[2:3], 0
	v_cmp_eq_u32_e64 s[0:1], s0, v38
	s_and_saveexec_b64 s[6:7], s[0:1]
	s_cbranch_execz .LBB3_372
; %bb.367:
	v_mov_b32_e32 v4, 0
	global_load_dwordx2 v[8:9], v4, s[2:3] offset:24 sc0 sc1
	s_waitcnt vmcnt(0)
	buffer_inv sc0 sc1
	global_load_dwordx2 v[2:3], v4, s[2:3] offset:40
	global_load_dwordx2 v[6:7], v4, s[2:3]
	s_waitcnt vmcnt(1)
	v_and_b32_e32 v2, v2, v8
	v_and_b32_e32 v3, v3, v9
	v_mul_lo_u32 v3, v3, 24
	v_mul_hi_u32 v5, v2, 24
	v_add_u32_e32 v3, v5, v3
	v_mul_lo_u32 v2, v2, 24
	s_waitcnt vmcnt(0)
	v_lshl_add_u64 v[2:3], v[6:7], 0, v[2:3]
	global_load_dwordx2 v[6:7], v[2:3], off sc0 sc1
	s_waitcnt vmcnt(0)
	global_atomic_cmpswap_x2 v[2:3], v4, v[6:9], s[2:3] offset:24 sc0 sc1
	s_waitcnt vmcnt(0)
	buffer_inv sc0 sc1
	v_cmp_ne_u64_e32 vcc, v[2:3], v[8:9]
	s_and_saveexec_b64 s[10:11], vcc
	s_cbranch_execz .LBB3_371
; %bb.368:
	s_mov_b64 s[12:13], 0
.LBB3_369:                              ; =>This Inner Loop Header: Depth=1
	s_sleep 1
	global_load_dwordx2 v[6:7], v4, s[2:3] offset:40
	global_load_dwordx2 v[10:11], v4, s[2:3]
	v_mov_b64_e32 v[8:9], v[2:3]
	s_waitcnt vmcnt(1)
	v_and_b32_e32 v2, v6, v8
	s_waitcnt vmcnt(0)
	v_mad_u64_u32 v[2:3], s[14:15], v2, 24, v[10:11]
	v_and_b32_e32 v5, v7, v9
	v_mov_b32_e32 v6, v3
	v_mad_u64_u32 v[6:7], s[14:15], v5, 24, v[6:7]
	v_mov_b32_e32 v3, v6
	global_load_dwordx2 v[6:7], v[2:3], off sc0 sc1
	s_waitcnt vmcnt(0)
	global_atomic_cmpswap_x2 v[2:3], v4, v[6:9], s[2:3] offset:24 sc0 sc1
	s_waitcnt vmcnt(0)
	buffer_inv sc0 sc1
	v_cmp_eq_u64_e32 vcc, v[2:3], v[8:9]
	s_or_b64 s[12:13], vcc, s[12:13]
	s_andn2_b64 exec, exec, s[12:13]
	s_cbranch_execnz .LBB3_369
; %bb.370:
	s_or_b64 exec, exec, s[12:13]
.LBB3_371:
	s_or_b64 exec, exec, s[10:11]
.LBB3_372:
	s_or_b64 exec, exec, s[6:7]
	v_mov_b32_e32 v33, 0
	global_load_dwordx2 v[8:9], v33, s[2:3] offset:40
	global_load_dwordx4 v[4:7], v33, s[2:3]
	v_readfirstlane_b32 s6, v2
	v_readfirstlane_b32 s7, v3
	s_mov_b64 s[10:11], exec
	s_waitcnt vmcnt(1)
	v_readfirstlane_b32 s12, v8
	v_readfirstlane_b32 s13, v9
	s_and_b64 s[12:13], s[6:7], s[12:13]
	s_mul_i32 s14, s13, 24
	s_mul_hi_u32 s15, s12, 24
	s_add_i32 s15, s15, s14
	s_mul_i32 s14, s12, 24
	s_waitcnt vmcnt(0)
	v_lshl_add_u64 v[8:9], v[4:5], 0, s[14:15]
	s_and_saveexec_b64 s[14:15], s[0:1]
	s_cbranch_execz .LBB3_374
; %bb.373:
	v_mov_b64_e32 v[10:11], s[10:11]
	v_mov_b32_e32 v12, 2
	v_mov_b32_e32 v13, 1
	global_store_dwordx4 v[8:9], v[10:13], off offset:8
.LBB3_374:
	s_or_b64 exec, exec, s[14:15]
	s_lshl_b64 s[10:11], s[12:13], 12
	v_lshl_add_u64 v[6:7], v[6:7], 0, s[10:11]
	s_movk_i32 s10, 0xff1f
	s_mov_b32 s12, 0
	v_and_or_b32 v0, v0, s10, 32
	v_mov_b32_e32 v2, v33
	v_mov_b32_e32 v3, v33
	v_readfirstlane_b32 s10, v6
	v_readfirstlane_b32 s11, v7
	s_mov_b32 s13, s12
	s_mov_b32 s14, s12
	;; [unrolled: 1-line block ×3, first 2 shown]
	s_nop 1
	global_store_dwordx4 v32, v[0:3], s[10:11]
	s_nop 1
	v_mov_b64_e32 v[0:1], s[12:13]
	v_mov_b64_e32 v[2:3], s[14:15]
	global_store_dwordx4 v32, v[0:3], s[10:11] offset:16
	global_store_dwordx4 v32, v[0:3], s[10:11] offset:32
	;; [unrolled: 1-line block ×3, first 2 shown]
	s_and_saveexec_b64 s[10:11], s[0:1]
	s_cbranch_execz .LBB3_382
; %bb.375:
	v_mov_b32_e32 v10, 0
	global_load_dwordx2 v[14:15], v10, s[2:3] offset:32 sc0 sc1
	global_load_dwordx2 v[0:1], v10, s[2:3] offset:40
	v_mov_b32_e32 v12, s6
	v_mov_b32_e32 v13, s7
	s_waitcnt vmcnt(0)
	v_readfirstlane_b32 s12, v0
	v_readfirstlane_b32 s13, v1
	s_and_b64 s[12:13], s[12:13], s[6:7]
	s_mul_i32 s13, s13, 24
	s_mul_hi_u32 s14, s12, 24
	s_mul_i32 s12, s12, 24
	s_add_i32 s13, s14, s13
	v_lshl_add_u64 v[4:5], v[4:5], 0, s[12:13]
	global_store_dwordx2 v[4:5], v[14:15], off
	buffer_wbl2 sc0 sc1
	s_waitcnt vmcnt(0)
	global_atomic_cmpswap_x2 v[2:3], v10, v[12:15], s[2:3] offset:32 sc0 sc1
	s_waitcnt vmcnt(0)
	v_cmp_ne_u64_e32 vcc, v[2:3], v[14:15]
	s_and_saveexec_b64 s[12:13], vcc
	s_cbranch_execz .LBB3_378
; %bb.376:
	s_mov_b64 s[14:15], 0
.LBB3_377:                              ; =>This Inner Loop Header: Depth=1
	s_sleep 1
	global_store_dwordx2 v[4:5], v[2:3], off
	v_mov_b32_e32 v0, s6
	v_mov_b32_e32 v1, s7
	buffer_wbl2 sc0 sc1
	s_waitcnt vmcnt(0)
	global_atomic_cmpswap_x2 v[0:1], v10, v[0:3], s[2:3] offset:32 sc0 sc1
	s_waitcnt vmcnt(0)
	v_cmp_eq_u64_e32 vcc, v[0:1], v[2:3]
	s_or_b64 s[14:15], vcc, s[14:15]
	v_mov_b64_e32 v[2:3], v[0:1]
	s_andn2_b64 exec, exec, s[14:15]
	s_cbranch_execnz .LBB3_377
.LBB3_378:
	s_or_b64 exec, exec, s[12:13]
	v_mov_b32_e32 v3, 0
	global_load_dwordx2 v[0:1], v3, s[2:3] offset:16
	s_mov_b64 s[12:13], exec
	v_mbcnt_lo_u32_b32 v2, s12, 0
	v_mbcnt_hi_u32_b32 v2, s13, v2
	v_cmp_eq_u32_e32 vcc, 0, v2
	s_and_saveexec_b64 s[14:15], vcc
	s_cbranch_execz .LBB3_380
; %bb.379:
	s_bcnt1_i32_b64 s12, s[12:13]
	v_mov_b32_e32 v2, s12
	buffer_wbl2 sc0 sc1
	s_waitcnt vmcnt(0)
	global_atomic_add_x2 v[0:1], v[2:3], off offset:8 sc1
.LBB3_380:
	s_or_b64 exec, exec, s[14:15]
	s_waitcnt vmcnt(0)
	global_load_dwordx2 v[2:3], v[0:1], off offset:16
	s_waitcnt vmcnt(0)
	v_cmp_eq_u64_e32 vcc, 0, v[2:3]
	s_cbranch_vccnz .LBB3_382
; %bb.381:
	global_load_dword v0, v[0:1], off offset:24
	v_mov_b32_e32 v1, 0
	buffer_wbl2 sc0 sc1
	s_waitcnt vmcnt(0)
	global_store_dwordx2 v[2:3], v[0:1], off sc0 sc1
	v_and_b32_e32 v0, 0xffffff, v0
	s_nop 0
	v_readfirstlane_b32 m0, v0
	s_sendmsg sendmsg(MSG_INTERRUPT)
.LBB3_382:
	s_or_b64 exec, exec, s[10:11]
	v_lshl_add_u64 v[0:1], v[6:7], 0, v[32:33]
	s_branch .LBB3_386
.LBB3_383:                              ;   in Loop: Header=BB3_386 Depth=1
	s_or_b64 exec, exec, s[10:11]
	v_readfirstlane_b32 s10, v2
	s_cmp_eq_u32 s10, 0
	s_cbranch_scc1 .LBB3_385
; %bb.384:                              ;   in Loop: Header=BB3_386 Depth=1
	s_sleep 1
	s_cbranch_execnz .LBB3_386
	s_branch .LBB3_388
.LBB3_385:
	s_branch .LBB3_388
.LBB3_386:                              ; =>This Inner Loop Header: Depth=1
	v_mov_b32_e32 v2, 1
	s_and_saveexec_b64 s[10:11], s[0:1]
	s_cbranch_execz .LBB3_383
; %bb.387:                              ;   in Loop: Header=BB3_386 Depth=1
	global_load_dword v2, v[8:9], off offset:20 sc0 sc1
	s_waitcnt vmcnt(0)
	buffer_inv sc0 sc1
	v_and_b32_e32 v2, 1, v2
	s_branch .LBB3_383
.LBB3_388:
	global_load_dwordx2 v[0:1], v[0:1], off
	s_and_saveexec_b64 s[10:11], s[0:1]
	s_cbranch_execz .LBB3_391
; %bb.389:
	v_mov_b32_e32 v8, 0
	global_load_dwordx2 v[6:7], v8, s[2:3] offset:40
	global_load_dwordx2 v[10:11], v8, s[2:3] offset:24 sc0 sc1
	global_load_dwordx2 v[12:13], v8, s[2:3]
	s_mov_b64 s[0:1], 0
	s_waitcnt vmcnt(2)
	v_lshl_add_u64 v[2:3], v[6:7], 0, 1
	v_lshl_add_u64 v[14:15], v[2:3], 0, s[6:7]
	v_cmp_eq_u64_e32 vcc, 0, v[14:15]
	s_waitcnt vmcnt(1)
	v_mov_b32_e32 v4, v10
	v_cndmask_b32_e32 v3, v15, v3, vcc
	v_cndmask_b32_e32 v2, v14, v2, vcc
	v_and_b32_e32 v5, v3, v7
	v_and_b32_e32 v6, v2, v6
	v_mul_lo_u32 v5, v5, 24
	v_mul_hi_u32 v7, v6, 24
	v_mul_lo_u32 v6, v6, 24
	v_add_u32_e32 v7, v7, v5
	s_waitcnt vmcnt(0)
	v_lshl_add_u64 v[6:7], v[12:13], 0, v[6:7]
	global_store_dwordx2 v[6:7], v[10:11], off
	v_mov_b32_e32 v5, v11
	buffer_wbl2 sc0 sc1
	s_waitcnt vmcnt(0)
	global_atomic_cmpswap_x2 v[4:5], v8, v[2:5], s[2:3] offset:24 sc0 sc1
	s_waitcnt vmcnt(0)
	v_cmp_ne_u64_e32 vcc, v[4:5], v[10:11]
	s_and_b64 exec, exec, vcc
	s_cbranch_execz .LBB3_391
.LBB3_390:                              ; =>This Inner Loop Header: Depth=1
	s_sleep 1
	global_store_dwordx2 v[6:7], v[4:5], off
	buffer_wbl2 sc0 sc1
	s_waitcnt vmcnt(0)
	global_atomic_cmpswap_x2 v[10:11], v8, v[2:5], s[2:3] offset:24 sc0 sc1
	s_waitcnt vmcnt(0)
	v_cmp_eq_u64_e32 vcc, v[10:11], v[4:5]
	s_or_b64 s[0:1], vcc, s[0:1]
	v_mov_b64_e32 v[4:5], v[10:11]
	s_andn2_b64 exec, exec, s[0:1]
	s_cbranch_execnz .LBB3_390
.LBB3_391:
	s_or_b64 exec, exec, s[10:11]
.LBB3_392:
	s_or_b64 exec, exec, s[4:5]
	s_getpc_b64 s[0:1]
	s_add_u32 s0, s0, .str.1@rel32@lo+4
	s_addc_u32 s1, s1, .str.1@rel32@hi+12
	s_getpc_b64 s[2:3]
	s_add_u32 s2, s2, .str.1@rel32@lo+32
	s_addc_u32 s3, s3, .str.1@rel32@hi+40
	s_sub_i32 s4, s2, s0
	s_ashr_i32 s5, s4, 31
	s_waitcnt vmcnt(0)
	v_mov_b32_e32 v2, s0
	v_mov_b32_e32 v3, s1
	;; [unrolled: 1-line block ×5, first 2 shown]
	s_getpc_b64 s[2:3]
	s_add_u32 s2, s2, __ockl_fprintf_append_string_n@rel32@lo+4
	s_addc_u32 s3, s3, __ockl_fprintf_append_string_n@rel32@hi+12
	s_swappc_b64 s[30:31], s[2:3]
	s_trap 2
.Lfunc_end3:
	.size	__assert_fail, .Lfunc_end3-__assert_fail
                                        ; -- End function
	.section	.AMDGPU.csdata,"",@progbits
; Function info:
; codeLenInByte = 14360
; NumSgprs: 40
; NumVgprs: 40
; NumAgprs: 0
; TotalNumVgprs: 40
; ScratchSize: 64
; MemoryBound: 0
	.text
	.p2align	2                               ; -- Begin function _ZN12_GLOBAL__N_17runRingIa7FuncSumIaE11ProtoSimpleILi1ELi4ELi0ELi1ELi0ELi0EELi0ELi1ELi0ELb0EEEviiP15ncclDevWorkColl
	.type	_ZN12_GLOBAL__N_17runRingIa7FuncSumIaE11ProtoSimpleILi1ELi4ELi0ELi1ELi0ELi0EELi0ELi1ELi0ELb0EEEviiP15ncclDevWorkColl,@function
_ZN12_GLOBAL__N_17runRingIa7FuncSumIaE11ProtoSimpleILi1ELi4ELi0ELi1ELi0ELi0EELi0ELi1ELi0ELb0EEEviiP15ncclDevWorkColl: ; @_ZN12_GLOBAL__N_17runRingIa7FuncSumIaE11ProtoSimpleILi1ELi4ELi0ELi1ELi0ELi0EELi0ELi1ELi0ELb0EEEviiP15ncclDevWorkColl
; %bb.0:
	s_waitcnt vmcnt(0) expcnt(0) lgkmcnt(0)
	s_mov_b32 s0, s33
	s_mov_b32 s33, s32
	s_or_saveexec_b64 s[2:3], -1
	scratch_store_dword off, v63, s33 offset:72 ; 4-byte Folded Spill
	s_mov_b64 exec, s[2:3]
	v_writelane_b32 v63, s0, 49
	s_addk_i32 s32, 0x50
	scratch_store_dword off, v40, s33 offset:68 ; 4-byte Folded Spill
	scratch_store_dword off, v41, s33 offset:64 ; 4-byte Folded Spill
	;; [unrolled: 1-line block ×17, first 2 shown]
	scratch_store_dword off, a34, s33       ; 4-byte Folded Spill
	v_writelane_b32 v63, s34, 0
	v_writelane_b32 v63, s35, 1
	;; [unrolled: 1-line block ×48, first 2 shown]
	s_nop 1
	v_writelane_b32 v63, s31, 48
	s_trap 2
	flat_load_dword v5, v[2:3]
	flat_load_dwordx4 v[32:35], v[2:3] offset:72
	flat_load_dwordx2 v[12:13], v[2:3] offset:88
	v_mov_b32_e32 v16, v1
	ds_read_b32 v1, v0
	ds_read_b64 v[18:19], v0
	v_mov_b32_e32 v47, v0
                                        ; implicit-def: $vgpr22_vgpr23
                                        ; implicit-def: $agpr8_agpr9
	s_waitcnt lgkmcnt(0)
	v_readfirstlane_b32 s74, v1
	s_waitcnt vmcnt(0)
	v_not_b32_sdwa v4, v5 dst_sel:DWORD dst_unused:UNUSED_PAD src0_sel:BYTE_0
	v_add_u32_sdwa v0, v5, v4 dst_sel:DWORD dst_unused:UNUSED_PAD src0_sel:BYTE_1 src1_sel:DWORD
	v_ashrrev_i32_e32 v6, 31, v0
	v_mul_lo_u32 v7, v35, v0
	v_mad_u64_u32 v[14:15], s[0:1], v34, v0, 0
	v_mul_lo_u32 v0, v34, v6
	v_add3_u32 v15, v15, v0, v7
	v_cmp_ne_u32_sdwa s[0:1], v5, v1 src0_sel:BYTE_0 src1_sel:DWORD
	s_and_saveexec_b64 s[2:3], s[0:1]
	s_xor_b64 s[0:1], exec, s[2:3]
	s_cbranch_execz .LBB4_6
; %bb.1:
	v_cmp_ne_u32_sdwa s[2:3], v5, v1 src0_sel:BYTE_1 src1_sel:DWORD
                                        ; implicit-def: $vgpr22_vgpr23
                                        ; implicit-def: $agpr8_agpr9
	s_and_saveexec_b64 s[4:5], s[2:3]
	s_xor_b64 s[2:3], exec, s[4:5]
	s_cbranch_execz .LBB4_3
; %bb.2:
	flat_load_dwordx2 v[6:7], v[2:3] offset:96
	v_add_u32_e32 v0, v1, v4
	v_ashrrev_i32_e32 v1, 31, v0
	v_mul_lo_u32 v1, v34, v1
	v_mul_lo_u32 v4, v35, v0
	v_mad_u64_u32 v[8:9], s[4:5], v34, v0, v[32:33]
	v_add3_u32 v9, v4, v9, v1
	v_accvgpr_write_b32 a8, v8
	v_accvgpr_write_b32 a9, v9
	s_waitcnt vmcnt(0) lgkmcnt(0)
	v_lshrrev_b64 v[22:23], 21, v[6:7]
.LBB4_3:
	s_andn2_saveexec_b64 s[2:3], s[2:3]
	s_cbranch_execz .LBB4_5
; %bb.4:
	flat_load_dword v0, v[2:3] offset:100
	v_lshl_add_u64 v[4:5], v[14:15], 0, v[32:33]
	v_accvgpr_write_b32 a9, v5
	v_accvgpr_write_b32 a8, v4
	v_mov_b64_e32 v[34:35], v[12:13]
	s_waitcnt vmcnt(0) lgkmcnt(0)
	v_lshrrev_b32_e32 v22, 10, v0
.LBB4_5:
	s_or_b64 exec, exec, s[2:3]
.LBB4_6:
	s_andn2_saveexec_b64 s[0:1], s[0:1]
	s_cbranch_execz .LBB4_8
; %bb.7:
	flat_load_dwordx2 v[22:23], v[2:3] offset:96
	v_mov_b64_e32 v[0:1], 0
	v_accvgpr_write_b32 a9, v1
	v_accvgpr_write_b32 a8, v0
	v_mov_b64_e32 v[34:35], v[32:33]
.LBB4_8:
	s_or_b64 exec, exec, s[0:1]
	flat_load_dwordx4 v[48:51], v[2:3] offset:16
	v_lshl_add_u64 v[0:1], v[12:13], 0, v[32:33]
	v_lshl_add_u64 v[20:21], v[0:1], 0, v[14:15]
	v_cmp_ge_i32_e32 vcc, v47, v16
	s_and_saveexec_b64 s[0:1], vcc
	s_xor_b64 s[0:1], exec, s[0:1]
	s_cbranch_execz .LBB4_41
; %bb.9:
	flat_load_dword v1, v[18:19]
	s_waitcnt vmcnt(0) lgkmcnt(0)
	v_ashrrev_i32_e32 v0, 31, v1
	v_mul_lo_u32 v2, v21, v1
	v_mul_lo_u32 v3, v20, v0
	v_mad_u64_u32 v[4:5], s[2:3], v20, v1, v[48:49]
	v_add3_u32 v5, v2, v5, v3
	v_cmp_ne_u64_e32 vcc, v[50:51], v[4:5]
	s_and_saveexec_b64 s[2:3], vcc
	s_cbranch_execz .LBB4_40
; %bb.10:
	v_accvgpr_read_b32 v4, a8
	v_mad_u64_u32 v[0:1], s[4:5], v20, v1, 0
	v_accvgpr_read_b32 v5, a9
	v_add3_u32 v1, v1, v3, v2
	v_lshl_add_u64 v[2:3], v[50:51], 0, v[4:5]
	v_lshl_add_u64 v[4:5], v[48:49], 0, v[4:5]
	v_lshl_add_u64 v[4:5], v[4:5], 0, v[0:1]
	v_sub_u32_e32 v1, v47, v16
	v_ashrrev_i32_e32 v0, 31, v1
	v_lshrrev_b32_e32 v0, 26, v0
	v_add_u32_e32 v0, v1, v0
	v_and_b32_e32 v6, 0xffffffc0, v0
	v_sub_u32_e32 v20, v1, v6
	v_cmp_gt_i32_e32 vcc, 1, v20
	v_mov_b32_e32 v1, 0
	s_and_saveexec_b64 s[4:5], vcc
; %bb.11:
	v_or_b32_e32 v1, v2, v4
	v_and_b32_e32 v1, 15, v1
	v_cmp_ne_u32_e32 vcc, 0, v1
	s_nop 1
	v_cndmask_b32_e64 v1, 0, 1, vcc
; %bb.12:
	s_or_b64 exec, exec, s[4:5]
	v_ashrrev_i32_e32 v21, 6, v0
	;;#ASMSTART
	;;#ASMEND
	s_nop 0
	v_cmp_ne_u32_e32 vcc, 0, v1
	s_cbranch_vccz .LBB4_14
; %bb.13:
	s_mov_b64 s[14:15], -1
	s_mov_b64 s[10:11], 0
	v_mov_b64_e32 v[10:11], 0
	s_mov_b64 s[4:5], 0
                                        ; implicit-def: $vgpr8_vgpr9
                                        ; implicit-def: $vgpr0_vgpr1
	v_mov_b32_e32 v17, v20
	v_mov_b32_e32 v6, v21
	s_and_saveexec_b64 s[6:7], s[14:15]
	s_cbranch_execnz .LBB4_25
	s_branch .LBB4_34
.LBB4_14:
	v_ashrrev_i32_e32 v0, 31, v35
	v_lshrrev_b32_e32 v0, 21, v0
	v_mov_b32_e32 v1, 0
	v_lshl_add_u64 v[0:1], v[34:35], 0, v[0:1]
	v_ashrrev_i64 v[12:13], 11, v[0:1]
	v_ashrrev_i32_e32 v0, 31, v21
	v_sub_co_u32_e32 v16, vcc, v12, v21
	s_mov_b64 s[14:15], 0
	s_nop 0
	v_subb_co_u32_e32 v17, vcc, v13, v0, vcc
	v_cmp_gt_i64_e32 vcc, 1, v[16:17]
	s_mov_b64 s[4:5], -1
	v_mov_b64_e32 v[10:11], 0
	s_mov_b64 s[10:11], 0
                                        ; implicit-def: $vgpr8_vgpr9
                                        ; implicit-def: $vgpr0_vgpr1
                                        ; implicit-def: $vgpr17
                                        ; implicit-def: $vgpr6
	s_and_saveexec_b64 s[6:7], vcc
	s_cbranch_execz .LBB4_24
; %bb.15:
	v_lshlrev_b64 v[0:1], 11, v[12:13]
	v_cmp_ne_u64_e32 vcc, v[34:35], v[0:1]
	v_mov_b64_e32 v[10:11], 0
                                        ; implicit-def: $vgpr8_vgpr9
                                        ; implicit-def: $vgpr17
                                        ; implicit-def: $vgpr6
	s_and_saveexec_b64 s[4:5], vcc
	s_cbranch_execz .LBB4_23
; %bb.16:
	v_sub_co_u32_e32 v10, vcc, v34, v0
	v_mov_b32_e32 v9, 0
	s_nop 0
	v_subb_co_u32_e32 v11, vcc, v35, v1, vcc
	v_ashrrev_i32_e32 v6, 31, v11
	v_lshrrev_b32_e32 v8, 22, v6
	v_lshl_add_u64 v[6:7], v[10:11], 0, v[8:9]
	v_ashrrev_i64 v[18:19], 10, v[6:7]
	v_and_b32_e32 v6, 0xfffffc00, v6
	v_sub_co_u32_e32 v12, vcc, v10, v6
	v_lshl_add_u64 v[14:15], v[6:7], 0, v[0:1]
	s_nop 0
	v_subb_co_u32_e32 v13, vcc, v11, v7, vcc
	v_cmp_lt_i64_e32 vcc, 15, v[12:13]
	s_and_saveexec_b64 s[10:11], vcc
; %bb.17:
	v_and_b32_e32 v8, 15, v34
	v_sub_co_u32_e32 v6, vcc, v12, v8
	v_lshl_add_u64 v[18:19], v[18:19], 0, 1
	s_nop 0
	v_subbrev_co_u32_e32 v7, vcc, 0, v13, vcc
	v_lshl_add_u64 v[14:15], v[6:7], 0, v[14:15]
	v_mov_b64_e32 v[12:13], v[8:9]
; %bb.18:
	s_or_b64 exec, exec, s[10:11]
	v_lshlrev_b32_e32 v6, 6, v16
	v_sub_u32_e32 v6, v20, v6
	v_ashrrev_i32_e32 v7, 31, v6
	v_lshrrev_b32_e32 v7, 26, v7
	v_add_u32_e32 v8, v6, v7
	v_ashrrev_i32_e32 v7, 6, v8
	v_and_b32_e32 v8, 0xffffffc0, v8
	v_sub_u32_e32 v16, v6, v8
	v_lshlrev_b32_e32 v6, 4, v16
	v_lshl_add_u32 v8, v7, 10, v6
	v_ashrrev_i32_e32 v9, 31, v8
	v_sub_co_u32_e32 v10, vcc, v10, v8
	s_mov_b64 s[16:17], -1
	s_nop 0
	v_subb_co_u32_e32 v11, vcc, v11, v9, vcc
	v_cmp_gt_i64_e32 vcc, 16, v[10:11]
	v_mov_b64_e32 v[10:11], 0
                                        ; implicit-def: $vgpr34_vgpr35
                                        ; implicit-def: $vgpr17
                                        ; implicit-def: $vgpr6
	s_and_saveexec_b64 s[10:11], vcc
	s_cbranch_execz .LBB4_22
; %bb.19:
	v_cmp_ne_u64_e32 vcc, 0, v[12:13]
	v_mov_b64_e32 v[10:11], 0
                                        ; implicit-def: $vgpr17
                                        ; implicit-def: $vgpr6
	s_and_saveexec_b64 s[16:17], vcc
; %bb.20:
	v_sub_u32_e32 v6, v7, v18
	v_lshl_add_u32 v6, v6, 6, v16
	v_ashrrev_i32_e32 v7, 31, v6
	v_lshrrev_b32_e32 v7, 26, v7
	v_add_u32_e32 v7, v6, v7
	v_and_b32_e32 v10, 0xffffffc0, v7
	s_mov_b64 s[14:15], exec
	v_sub_u32_e32 v17, v6, v10
	v_ashrrev_i32_e32 v6, 6, v7
	v_mov_b64_e32 v[10:11], v[14:15]
; %bb.21:
	s_or_b64 exec, exec, s[16:17]
	s_xor_b64 s[16:17], exec, -1
	s_and_b64 s[14:15], s[14:15], exec
	v_mov_b64_e32 v[34:35], v[12:13]
.LBB4_22:
	s_or_b64 exec, exec, s[10:11]
	s_and_b64 s[10:11], s[16:17], exec
	s_and_b64 s[14:15], s[14:15], exec
.LBB4_23:
	s_or_b64 exec, exec, s[4:5]
	s_xor_b64 s[4:5], exec, -1
	s_and_b64 s[10:11], s[10:11], exec
	s_and_b64 s[14:15], s[14:15], exec
.LBB4_24:
	s_or_b64 exec, exec, s[6:7]
	s_and_saveexec_b64 s[6:7], s[14:15]
	s_cbranch_execz .LBB4_34
.LBB4_25:
	v_ashrrev_i32_e32 v7, 31, v35
	v_lshrrev_b32_e32 v12, 23, v7
	v_mov_b32_e32 v13, 0
	v_lshl_add_u64 v[12:13], v[34:35], 0, v[12:13]
	v_ashrrev_i64 v[14:15], 9, v[12:13]
	v_ashrrev_i32_e32 v7, 31, v6
	v_sub_co_u32_e32 v12, vcc, v14, v6
	s_nop 1
	v_subb_co_u32_e32 v13, vcc, v15, v7, vcc
	v_cmp_gt_i64_e32 vcc, 1, v[12:13]
	s_and_saveexec_b64 s[14:15], vcc
	s_xor_b64 s[14:15], exec, s[14:15]
	s_cbranch_execz .LBB4_31
; %bb.26:
	v_lshlrev_b64 v[14:15], 9, v[14:15]
	v_cmp_ne_u64_e32 vcc, v[34:35], v[14:15]
	s_and_saveexec_b64 s[16:17], vcc
	s_cbranch_execz .LBB4_30
; %bb.27:
	v_lshlrev_b32_e32 v6, 6, v12
	v_sub_co_u32_e32 v18, vcc, v34, v14
	v_sub_u32_e32 v6, v17, v6
	s_nop 0
	v_subb_co_u32_e32 v19, vcc, v35, v15, vcc
	v_ashrrev_i32_e32 v7, 31, v6
	v_cmp_gt_i64_e32 vcc, v[18:19], v[6:7]
	s_and_b64 exec, exec, vcc
	s_cbranch_execz .LBB4_30
; %bb.28:
	v_lshl_add_u64 v[10:11], v[14:15], 0, v[10:11]
	v_lshl_add_u64 v[6:7], v[10:11], 0, v[6:7]
	;; [unrolled: 1-line block ×3, first 2 shown]
	flat_load_ubyte v10, v[10:11]
	v_lshl_add_u64 v[6:7], v[6:7], 0, v[4:5]
	s_and_b64 vcc, exec, -1
	s_waitcnt vmcnt(0) lgkmcnt(0)
	flat_store_byte v[6:7], v10 nt
.LBB4_29:                               ; =>This Inner Loop Header: Depth=1
	s_mov_b64 vcc, vcc
	s_cbranch_vccnz .LBB4_29
.LBB4_30:
	s_or_b64 exec, exec, s[16:17]
                                        ; implicit-def: $vgpr6
                                        ; implicit-def: $vgpr17
                                        ; implicit-def: $vgpr10_vgpr11
.LBB4_31:
	s_andn2_saveexec_b64 s[14:15], s[14:15]
	s_cbranch_execz .LBB4_34
; %bb.32:
	v_lshl_add_u32 v6, v6, 9, v17
	v_ashrrev_i32_e32 v7, 31, v6
	v_lshl_add_u64 v[10:11], v[10:11], 0, v[6:7]
	v_lshl_add_u64 v[6:7], v[10:11], 0, v[4:5]
	;; [unrolled: 1-line block ×3, first 2 shown]
	s_and_b64 vcc, exec, 0
.LBB4_33:                               ; =>This Inner Loop Header: Depth=1
	flat_load_ubyte v12, v[10:11] nt
	flat_load_ubyte v13, v[10:11] offset:64 nt
	flat_load_ubyte v14, v[10:11] offset:128 nt
	;; [unrolled: 1-line block ×7, first 2 shown]
	s_waitcnt vmcnt(0) lgkmcnt(0)
	flat_store_byte v[6:7], v12 nt
	flat_store_byte v[6:7], v13 offset:64 nt
	flat_store_byte v[6:7], v14 offset:128 nt
	;; [unrolled: 1-line block ×7, first 2 shown]
	s_mov_b64 vcc, vcc
	s_cbranch_vccz .LBB4_33
.LBB4_34:
	s_or_b64 exec, exec, s[6:7]
	s_and_saveexec_b64 s[6:7], s[10:11]
	s_cbranch_execz .LBB4_37
; %bb.35:
	v_lshl_add_u64 v[6:7], v[0:1], 0, v[8:9]
	v_lshl_add_u64 v[0:1], v[6:7], 0, v[4:5]
	;; [unrolled: 1-line block ×3, first 2 shown]
	s_and_b64 vcc, exec, 0
.LBB4_36:                               ; =>This Inner Loop Header: Depth=1
	global_load_dwordx4 v[8:11], v[6:7], off nt
	s_waitcnt vmcnt(0)
	global_store_dwordx4 v[0:1], v[8:11], off nt
	s_mov_b64 vcc, vcc
	s_cbranch_vccz .LBB4_36
.LBB4_37:
	s_or_b64 exec, exec, s[6:7]
	s_and_saveexec_b64 s[6:7], s[4:5]
	s_xor_b64 s[6:7], exec, s[6:7]
	s_cbranch_execz .LBB4_40
; %bb.38:
	v_lshlrev_b32_e32 v0, 4, v20
	v_lshl_add_u32 v6, v21, 11, v0
	v_ashrrev_i32_e32 v7, 31, v6
	v_lshl_add_u64 v[0:1], v[4:5], 0, v[6:7]
	v_lshl_add_u64 v[2:3], v[2:3], 0, v[6:7]
	s_and_b64 vcc, exec, 0
.LBB4_39:                               ; =>This Inner Loop Header: Depth=1
	global_load_dwordx4 v[4:7], v[2:3], off nt
	global_load_dwordx4 v[8:11], v[2:3], off offset:1024 nt
	s_waitcnt vmcnt(0)
	global_store_dwordx4 v[0:1], v[4:7], off nt
	global_store_dwordx4 v[0:1], v[8:11], off offset:1024 nt
	s_mov_b64 vcc, vcc
	s_cbranch_vccz .LBB4_39
.LBB4_40:
	s_or_b64 exec, exec, s[2:3]
                                        ; implicit-def: $vgpr34_vgpr35
                                        ; implicit-def: $agpr8_agpr9
                                        ; implicit-def: $vgpr22_vgpr23
                                        ; implicit-def: $vgpr20_vgpr21
                                        ; implicit-def: $vgpr47
                                        ; implicit-def: $vgpr16
                                        ; implicit-def: $vgpr18_vgpr19
                                        ; implicit-def: $vgpr31
                                        ; implicit-def: $vgpr50_vgpr51
                                        ; implicit-def: $vgpr2_vgpr3
.LBB4_41:
	s_andn2_saveexec_b64 s[34:35], s[0:1]
	s_cbranch_execz .LBB4_1038
; %bb.42:
	s_trap 2
	ds_read_b64 v[0:1], v0
	s_waitcnt lgkmcnt(0)
	v_cmp_ne_u32_e32 vcc, -1, v0
	s_nop 1
	v_cndmask_b32_e64 v9, 0, 1, vcc
	v_cmp_ne_u32_e32 vcc, -1, v1
	s_nop 1
	v_addc_co_u32_e64 v1, s[0:1], 0, v9, vcc
	v_lshlrev_b32_e32 v0, 1, v1
	v_cmp_le_i32_e64 s[0:1], v0, v16
	s_and_saveexec_b64 s[2:3], s[0:1]
	s_xor_b64 s[36:37], exec, s[2:3]
	s_cbranch_execz .LBB4_1035
; %bb.43:
	flat_load_dwordx2 v[4:5], v[2:3] offset:104
	flat_load_ushort v13, v[2:3] offset:8
	flat_load_dword v12, v[2:3] offset:4
	s_trap 2
	s_load_dword s0, s[8:9], 0x0
	v_mov_b32_e32 v0, 0
	v_mov_b32_e32 v62, 4
	s_waitcnt lgkmcnt(0)
	s_cmp_lt_u32 s12, s0
	s_cselect_b32 s0, 12, 18
	s_add_u32 s0, s8, s0
	s_addc_u32 s1, s9, 0
	global_load_ushort v17, v0, s[0:1]
	ds_read_b32 v0, v0
	v_cmp_ge_i32_e64 s[0:1], v47, v9
	s_waitcnt lgkmcnt(0)
	v_readfirstlane_b32 s14, v0
	s_and_saveexec_b64 s[2:3], s[0:1]
	s_cbranch_execz .LBB4_53
; %bb.44:
	v_cmp_le_u32_e64 s[0:1], v1, v47
                                        ; implicit-def: $vgpr62
	s_and_saveexec_b64 s[4:5], s[0:1]
	s_xor_b64 s[0:1], exec, s[4:5]
	s_cbranch_execz .LBB4_50
; %bb.45:
	v_cndmask_b32_e64 v0, 0, 1, vcc
	v_sub_u32_e32 v0, v16, v0
	v_cmp_ge_u32_e32 vcc, v47, v0
                                        ; implicit-def: $sgpr6
	s_and_saveexec_b64 s[4:5], vcc
	s_xor_b64 s[4:5], exec, s[4:5]
; %bb.46:
	s_mov_b32 s6, 16
                                        ; implicit-def: $vgpr1
; %bb.47:
	s_or_saveexec_b64 s[4:5], s[4:5]
	v_mov_b32_e32 v62, s6
	s_xor_b64 exec, exec, s[4:5]
; %bb.48:
	v_sub_u32_e32 v0, v16, v1
	v_cmp_ge_i32_e32 vcc, v47, v0
	s_nop 1
	v_cndmask_b32_e64 v0, 0, 1, vcc
	v_lshlrev_b32_e32 v62, 5, v0
; %bb.49:
	s_or_b64 exec, exec, s[4:5]
.LBB4_50:
	s_andn2_saveexec_b64 s[0:1], s[0:1]
; %bb.51:
	v_mov_b32_e32 v62, 8
; %bb.52:
	s_or_b64 exec, exec, s[0:1]
.LBB4_53:
	s_or_b64 exec, exec, s[2:3]
	v_and_b32_e32 v0, 36, v62
	v_cmp_ne_u32_e32 vcc, 0, v0
	v_mov_b32_e32 v14, -1
	s_and_saveexec_b64 s[0:1], vcc
	s_cbranch_execz .LBB4_55
; %bb.54:
	s_trap 2
	ds_read_b32 v14, v0
.LBB4_55:
	s_or_b64 exec, exec, s[0:1]
	v_and_b32_e32 v0, 24, v62
	v_cmp_ne_u32_e64 s[0:1], 0, v0
	s_and_saveexec_b64 s[2:3], s[0:1]
	s_cbranch_execz .LBB4_57
; %bb.56:
	s_trap 2
	s_waitcnt lgkmcnt(0)
	ds_read_b32 v14, v0
.LBB4_57:
	s_or_b64 exec, exec, s[2:3]
	v_mov_b64_e32 v[24:25], 0
	s_waitcnt vmcnt(0)
	v_lshrrev_b64 v[0:1], 31, v[12:13]
	v_accvgpr_write_b32 a18, v24
	v_and_b32_e32 v1, 3, v0
	s_waitcnt lgkmcnt(0)
	v_ashrrev_i32_e32 v15, 31, v14
	v_accvgpr_write_b32 a19, v25
                                        ; implicit-def: $agpr14_agpr15
                                        ; implicit-def: $vgpr28
                                        ; implicit-def: $vgpr38_vgpr39
                                        ; implicit-def: $vgpr12_vgpr13
                                        ; implicit-def: $vgpr36_vgpr37
                                        ; implicit-def: $vgpr26_vgpr27
	s_and_saveexec_b64 s[0:1], vcc
	s_cbranch_execz .LBB4_67
; %bb.58:
	s_trap 2
	ds_read_b64 v[6:7], v0
	v_and_b32_e32 v0, 0xffff, v1
	s_movk_i32 s2, 0xa8
                                        ; implicit-def: $agpr14_agpr15
	s_waitcnt lgkmcnt(0)
	v_lshl_add_u64 v[6:7], v[14:15], 3, v[6:7]
	flat_load_dwordx2 v[6:7], v[6:7]
	s_waitcnt vmcnt(0) lgkmcnt(0)
	v_mad_u64_u32 v[6:7], s[2:3], v0, s2, v[6:7]
	flat_load_dword v0, v[6:7] offset:640
	s_mov_b64 s[2:3], 0x1f8
	v_lshl_add_u64 v[24:25], v[6:7], 0, s[2:3]
	s_waitcnt vmcnt(0) lgkmcnt(0)
	v_cmp_eq_u32_e32 vcc, 1, v0
	s_and_saveexec_b64 s[2:3], vcc
	s_cbranch_execz .LBB4_60
; %bb.59:
	flat_load_dwordx2 v[10:11], v[24:25] offset:144
	v_or_b32_e32 v62, 0x2000, v62
	s_waitcnt vmcnt(0) lgkmcnt(0)
	flat_load_dwordx2 v[6:7], v[10:11]
	s_trap 2
	v_accvgpr_write_b32 a15, v11
	v_accvgpr_write_b32 a14, v10
	s_waitcnt vmcnt(0) lgkmcnt(0)
	ds_write_b64 v0, v[6:7]
	flat_load_dwordx2 v[6:7], v[10:11] offset:8
	s_waitcnt vmcnt(0) lgkmcnt(0)
	ds_write_b64 v0, v[6:7]
	flat_load_dwordx2 v[6:7], v[10:11] offset:16
	s_waitcnt vmcnt(0) lgkmcnt(0)
	ds_write_b64 v0, v[6:7]
.LBB4_60:
	s_or_b64 exec, exec, s[2:3]
	flat_load_dwordx2 v[6:7], v[24:25] offset:104
	v_and_b32_e32 v0, 32, v62
	v_cmp_ne_u32_e32 vcc, 0, v0
                                        ; implicit-def: $vgpr26_vgpr27
	s_waitcnt vmcnt(0) lgkmcnt(0)
	v_lshl_add_u64 v[38:39], v[6:7], 0, 3
	v_and_b32_e32 v38, -4, v38
	s_and_saveexec_b64 s[2:3], vcc
	s_cbranch_execz .LBB4_62
; %bb.61:
	flat_load_dwordx2 v[26:27], v[24:25] offset:56
	s_waitcnt vmcnt(0) lgkmcnt(0)
	flat_store_dwordx2 v[26:27], v[38:39] sc0 sc1
.LBB4_62:
	s_or_b64 exec, exec, s[2:3]
	v_mov_b64_e32 v[6:7], 0
	v_and_b32_e32 v0, 4, v62
	v_accvgpr_write_b32 a19, v7
	v_cmp_ne_u32_e32 vcc, 0, v0
	v_accvgpr_write_b32 a18, v6
                                        ; implicit-def: $vgpr28
                                        ; implicit-def: $vgpr12_vgpr13
                                        ; implicit-def: $vgpr36_vgpr37
	s_and_saveexec_b64 s[2:3], vcc
	s_cbranch_execz .LBB4_66
; %bb.63:
	v_and_b32_e32 v0, 0x800, v62
	v_cmp_eq_u32_e32 vcc, 0, v0
	s_and_saveexec_b64 s[4:5], vcc
	s_cbranch_execz .LBB4_65
; %bb.64:
	s_trap 2
	ds_write_b64 v0, v[24:25]
.LBB4_65:
	s_or_b64 exec, exec, s[4:5]
	flat_load_dwordx2 v[26:27], v[24:25] offset:48
	v_or_b32_e32 v0, 0x100, v62
	s_waitcnt vmcnt(0) lgkmcnt(0)
	flat_load_dwordx2 v[36:37], v[26:27] sc0 sc1
	flat_load_dwordx2 v[6:7], v[24:25] offset:96
	flat_load_dword v28, v[24:25] offset:72
	flat_load_dwordx2 v[12:13], v[24:25] offset:16
	s_waitcnt vmcnt(0) lgkmcnt(0)
	v_accvgpr_write_b32 a19, v7
	v_cmp_eq_u64_e32 vcc, 0, v[6:7]
	v_accvgpr_write_b32 a18, v6
	s_nop 0
	v_cndmask_b32_e32 v62, v0, v62, vcc
.LBB4_66:
	s_or_b64 exec, exec, s[2:3]
.LBB4_67:
	s_or_b64 exec, exec, s[0:1]
	v_and_b32_e32 v0, 24, v62
	v_cmp_ne_u32_e32 vcc, 0, v0
                                        ; implicit-def: $agpr22_agpr23
	s_and_saveexec_b64 s[0:1], vcc
	s_cbranch_execz .LBB4_75
; %bb.68:
	s_trap 2
	ds_read_b64 v[6:7], v0
	v_and_b32_e32 v0, 0xffff, v1
	s_movk_i32 s2, 0xa8
                                        ; implicit-def: $agpr22_agpr23
	s_waitcnt lgkmcnt(0)
	v_lshl_add_u64 v[6:7], v[14:15], 3, v[6:7]
	flat_load_dwordx2 v[6:7], v[6:7]
	s_waitcnt vmcnt(0) lgkmcnt(0)
	v_mad_u64_u32 v[24:25], s[2:3], v0, s2, v[6:7]
	flat_load_dwordx4 v[52:55], v[24:25] offset:96
	v_or_b32_e32 v0, 0x100, v62
	s_waitcnt vmcnt(0) lgkmcnt(0)
	v_cmp_eq_u64_e32 vcc, 0, v[52:53]
	s_nop 1
	v_cndmask_b32_e32 v62, v0, v62, vcc
	v_accvgpr_write_b32 a18, v52
	v_and_b32_e32 v0, 16, v62
	v_accvgpr_write_b32 a19, v53
	v_accvgpr_write_b32 a20, v54
	;; [unrolled: 1-line block ×3, first 2 shown]
	v_cmp_ne_u32_e32 vcc, 0, v0
	s_and_saveexec_b64 s[2:3], vcc
	s_cbranch_execz .LBB4_70
; %bb.69:
	flat_load_dwordx2 a[22:23], v[24:25] offset:120
	flat_load_dwordx2 v[26:27], v[24:25] offset:48
	flat_load_dwordx2 v[12:13], v[24:25] offset:16
.LBB4_70:
	s_or_b64 exec, exec, s[2:3]
	v_accvgpr_read_b32 v55, a21
	v_accvgpr_read_b32 v54, a20
	v_lshl_add_u64 v[38:39], v[54:55], 0, 3
	v_and_b32_e32 v0, 8, v62
	v_and_b32_e32 v38, -4, v38
	v_cmp_ne_u32_e32 vcc, 0, v0
	v_accvgpr_read_b32 v53, a19
	v_accvgpr_read_b32 v52, a18
	s_and_saveexec_b64 s[2:3], vcc
	s_cbranch_execz .LBB4_74
; %bb.71:
	v_and_b32_e32 v0, 0x800, v62
	v_cmp_eq_u32_e32 vcc, 0, v0
	s_and_saveexec_b64 s[4:5], vcc
	s_cbranch_execz .LBB4_73
; %bb.72:
	s_trap 2
	ds_write_b64 v0, v[24:25]
.LBB4_73:
	s_or_b64 exec, exec, s[4:5]
	s_waitcnt vmcnt(0) lgkmcnt(0)
	flat_load_dwordx2 v[26:27], v[24:25] offset:56
	s_waitcnt vmcnt(0) lgkmcnt(0)
	flat_load_dwordx2 v[36:37], v[26:27] sc0 sc1
	flat_load_dword v28, v[24:25] offset:72
	flat_load_dwordx2 v[12:13], v[24:25] offset:16
.LBB4_74:
	s_or_b64 exec, exec, s[2:3]
.LBB4_75:
	s_or_b64 exec, exec, s[0:1]
	v_cmp_eq_u32_e64 s[0:1], 0, v47
	s_and_saveexec_b64 s[2:3], s[0:1]
	s_cbranch_execz .LBB4_77
; %bb.76:
	flat_load_dwordx2 v[0:1], v[2:3] offset:32
	v_mov_b32_e32 v6, v50
	v_mov_b32_e32 v7, v51
	;; [unrolled: 1-line block ×4, first 2 shown]
	s_waitcnt vmcnt(0) lgkmcnt(0)
	ds_write2_b64 v0, v[6:7], v[10:11] offset1:1
	s_trap 2
	ds_write_b64 v0, v[0:1]
	ds_write_b64 v0, v[4:5]
.LBB4_77:
	s_or_b64 exec, exec, s[2:3]
	s_mov_b64 s[40:41], 0
	v_cmp_ne_u64_e32 vcc, 0, v[34:35]
	v_mov_b64_e32 v[14:15], 0
	s_and_saveexec_b64 s[38:39], vcc
	s_cbranch_execz .LBB4_999
; %bb.78:
	flat_load_dword v8, v[2:3] offset:4
	s_waitcnt vmcnt(0) lgkmcnt(0)
	v_accvgpr_read_b32 v14, a22
	v_accvgpr_write_b32 a10, v48
	v_lshlrev_b32_e32 v0, 9, v22
	v_accvgpr_read_b32 v15, a23
	v_accvgpr_write_b32 a11, v49
	v_accvgpr_write_b32 a12, v50
	;; [unrolled: 1-line block ×3, first 2 shown]
	v_cvt_f64_u32_e32 v[2:3], 0
	s_ashr_i32 s12, s14, 31
	v_ashrrev_i32_e32 v1, 31, v28
	v_and_b32_e32 v4, 63, v31
	v_lshrrev_b32_e32 v50, 6, v16
	v_mov_b32_e32 v6, 0xfffffe00
	v_mov_b32_e32 v7, 0xfffff800
	v_cmp_eq_u64_e64 s[6:7], 0, v[14:15]
	v_cmp_ne_u64_e64 s[10:11], 0, v[14:15]
	v_and_b32_e32 v14, 0x3ffffe00, v0
	v_accvgpr_write_b32 a21, v1
	v_ashrrev_i32_e32 v5, 31, v47
	v_ldexp_f64 v[0:1], v[2:3], 32
	s_lshr_b32 s15, s12, 26
	v_cmp_eq_u32_e64 s[12:13], 0, v4
	v_lshl_add_u32 v2, v50, 9, v6
	v_lshl_add_u32 v4, v50, 11, v7
	v_cvt_f64_u32_e32 v[6:7], v14
	v_lshrrev_b32_e32 v3, 26, v5
	v_add_f64 v[0:1], v[0:1], v[6:7]
	v_add_u32_e32 v10, v47, v3
	v_accvgpr_write_b32 a29, v1
	s_mov_b64 s[16:17], 0x200
	v_ashrrev_i32_e32 v3, 31, v2
	v_accvgpr_write_b32 a28, v0
	v_ashrrev_i32_e32 v1, 6, v10
	v_and_b32_e32 v0, 0xffffffc0, v10
	v_lshl_add_u64 v[56:57], v[2:3], 0, s[16:17]
	v_sub_u32_e32 v2, v47, v0
	v_sub_u32_e32 v0, 0, v1
	v_accvgpr_write_b32 a31, v0
	v_lshlrev_b32_e32 v0, 11, v1
	v_lshl_add_u32 v0, v2, 4, v0
	v_accvgpr_write_b32 a20, v1
	v_ashrrev_i32_e32 v1, 31, v0
	v_mov_b32_e32 v49, 0
	v_lshlrev_b32_e32 v22, 4, v47
	v_and_b32_e32 v11, 0xffffffc0, v16
	v_lshlrev_b32_e32 v29, 10, v50
	s_add_i32 s14, s14, s15
	v_accvgpr_write_b32 a33, v1
	v_mov_b32_e32 v15, v49
	v_ashrrev_i32_e32 v23, 31, v22
	v_subrev_u32_e32 v42, 64, v11
	v_add_u32_e32 v44, 0xfffffc00, v29
	s_ashr_i32 s78, s14, 6
	v_accvgpr_write_b32 a32, v0
	v_accvgpr_write_b32 a16, v24
	s_mov_b64 s[44:45], 0x400
	s_mov_b64 s[18:19], 0x800
	v_mov_b64_e32 v[54:55], 0
	v_accvgpr_write_b32 a25, v23
	v_accvgpr_write_b32 a27, v15
	v_ashrrev_i32_e32 v43, 31, v42
	v_ashrrev_i32_e32 v5, 31, v4
	;; [unrolled: 1-line block ×3, first 2 shown]
	s_cmp_gt_i32 s74, 2
	v_accvgpr_write_b32 a6, v18
	v_accvgpr_write_b32 a17, v25
	v_cmp_eq_u32_e64 s[2:3], 64, v16
	v_cmp_ne_u32_e64 s[4:5], 64, v16
	v_accvgpr_write_b32 a5, v17
	v_cmp_ne_u32_sdwa s[42:43], v17, v16 src0_sel:WORD_0 src1_sel:DWORD
	v_accvgpr_write_b32 a1, v31
	s_movk_i32 s75, 0xffc0
	v_accvgpr_write_b32 a0, v16
	s_movk_i32 s76, 0x270e
	v_mov_b32_e32 v46, 1
	s_mov_b64 s[46:47], 0x1c0
	s_movk_i32 s77, 0x108
	v_mov_b32_e32 v51, v49
	v_accvgpr_write_b32 a24, v22
	v_and_b32_e32 v0, 1, v8
	v_cmp_eq_u32_e64 s[20:21], 1, v0
	v_accvgpr_write_b32 a26, v14
	v_lshl_add_u64 v[58:59], v[42:43], 0, 64
	v_lshl_add_u64 v[60:61], v[4:5], 0, s[18:19]
	;; [unrolled: 1-line block ×3, first 2 shown]
	v_cmp_gt_i32_e64 s[14:15], 1, v2
	v_cmp_le_i32_e64 s[16:17], v2, v9
	v_accvgpr_write_b32 a30, v2
	v_cmp_lt_i32_e64 s[18:19], v2, v9
	s_cselect_b64 s[48:49], -1, 0
	s_add_i32 s79, s74, -2
	s_xor_b64 s[50:51], s[20:21], -1
	v_mov_b64_e32 v[14:15], v[54:55]
	v_accvgpr_write_b32 a4, v47
	v_accvgpr_write_b32 a7, v19
	s_trap 2
	s_branch .LBB4_81
.LBB4_79:                               ;   in Loop: Header=BB4_81 Depth=1
	s_or_b64 exec, exec, s[22:23]
.LBB4_80:                               ;   in Loop: Header=BB4_81 Depth=1
	s_or_b64 exec, exec, s[24:25]
	v_accvgpr_read_b32 v0, a26
	v_accvgpr_read_b32 v1, a27
	v_lshl_add_u64 v[54:55], v[54:55], 0, v[0:1]
	v_cmp_ge_u64_e32 vcc, v[54:55], v[34:35]
	s_or_b64 s[40:41], vcc, s[40:41]
	s_andn2_b64 exec, exec, s[40:41]
	s_cbranch_execz .LBB4_998
.LBB4_81:                               ; =>This Loop Header: Depth=1
                                        ;     Child Loop BB4_98 Depth 2
                                        ;     Child Loop BB4_129 Depth 2
	;; [unrolled: 1-line block ×4, first 2 shown]
                                        ;       Child Loop BB4_212 Depth 3
                                        ;     Child Loop BB4_218 Depth 2
                                        ;       Child Loop BB4_219 Depth 3
                                        ;     Child Loop BB4_229 Depth 2
                                        ;     Child Loop BB4_234 Depth 2
                                        ;       Child Loop BB4_235 Depth 3
                                        ;     Child Loop BB4_246 Depth 2
                                        ;     Child Loop BB4_251 Depth 2
	;; [unrolled: 1-line block ×25, first 2 shown]
                                        ;       Child Loop BB4_682 Depth 3
                                        ;     Child Loop BB4_688 Depth 2
                                        ;       Child Loop BB4_689 Depth 3
                                        ;     Child Loop BB4_698 Depth 2
                                        ;     Child Loop BB4_703 Depth 2
                                        ;       Child Loop BB4_704 Depth 3
                                        ;     Child Loop BB4_716 Depth 2
                                        ;     Child Loop BB4_721 Depth 2
	;; [unrolled: 1-line block ×21, first 2 shown]
	v_sub_co_u32_e32 v2, vcc, v34, v54
	v_cvt_f64_u32_e32 v[2:3], v2
	s_nop 0
	v_subb_co_u32_e32 v0, vcc, v35, v55, vcc
	v_cvt_f64_u32_e32 v[0:1], v0
	v_ldexp_f64 v[0:1], v[0:1], 32
	v_add_f64 v[0:1], v[0:1], v[2:3]
	v_accvgpr_read_b32 v2, a28
	v_accvgpr_read_b32 v3, a29
	v_max_f64 v[2:3], v[2:3], v[2:3]
	v_min_f64 v[0:1], v[2:3], v[0:1]
	v_cvt_i32_f64_e32 v6, v[0:1]
	v_accvgpr_read_b32 v0, a8
	v_accvgpr_read_b32 v1, a9
	v_lshl_add_u64 v[30:31], v[54:55], 0, v[0:1]
	flat_load_dword v0, v[18:19]
	v_accvgpr_write_b32 a2, v34
	v_accvgpr_write_b32 a3, v35
	v_accvgpr_read_b32 v35, a13
	v_accvgpr_read_b32 v34, a12
	;; [unrolled: 1-line block ×4, first 2 shown]
	v_cmp_lt_i32_e64 s[24:25], 0, v6
	s_mov_b64 s[30:31], 0
	s_mov_b64 s[28:29], 0
	s_waitcnt vmcnt(0) lgkmcnt(0)
	v_ashrrev_i32_e32 v1, 31, v0
	v_mul_lo_u32 v4, v21, v0
	v_mul_lo_u32 v1, v20, v1
	v_mad_u64_u32 v[2:3], s[22:23], v20, v0, v[30:31]
	v_add3_u32 v3, v4, v3, v1
	v_lshl_add_u64 v[0:1], v[34:35], 0, v[30:31]
	v_lshl_add_u64 v[4:5], v[32:33], 0, v[2:3]
	v_cmp_ne_u64_e32 vcc, v[0:1], v[4:5]
	v_max_i32_e32 v0, 0, v6
	v_add_u32_e32 v1, 15, v0
	v_ashrrev_i32_e32 v4, 31, v1
	v_lshrrev_b32_e32 v4, 28, v4
	v_add_u32_e32 v1, v1, v4
	v_and_b32_e32 v1, -16, v1
	v_max_i32_e32 v10, s78, v1
	v_cmp_gt_i32_e64 s[22:23], 1, v6
	s_mov_b64 s[26:27], exec
	s_and_b64 vcc, s[26:27], vcc
	v_accvgpr_read_b32 v33, a23
	s_xor_b64 s[52:53], vcc, s[26:27]
	v_accvgpr_read_b32 v32, a22
	s_mov_b64 exec, vcc
	s_cbranch_execz .LBB4_88
; %bb.82:                               ;   in Loop: Header=BB4_81 Depth=1
	v_mov_b32_e32 v1, 0
	v_mov_b32_e32 v24, v10
	s_and_saveexec_b64 s[54:55], s[24:25]
	s_cbranch_execz .LBB4_387
; %bb.83:                               ;   in Loop: Header=BB4_81 Depth=1
	s_and_saveexec_b64 s[26:27], s[0:1]
	s_cbranch_execz .LBB4_85
; %bb.84:                               ;   in Loop: Header=BB4_81 Depth=1
	s_trap 2
	ds_read2_b64 v[4:7], v0 offset1:1
	ds_read_b64 v[8:9], v0
	s_waitcnt lgkmcnt(1)
	v_lshl_add_u64 v[6:7], v[6:7], 0, v[2:3]
	s_waitcnt lgkmcnt(0)
	v_lshl_add_u64 v[2:3], v[8:9], 0, v[2:3]
	v_cmp_ne_u64_e32 vcc, 0, v[8:9]
	v_lshl_add_u64 v[4:5], v[4:5], 0, v[30:31]
	ds_write_b64 v0, v[4:5]
	ds_write_b64 v0, v[6:7]
	v_cndmask_b32_e32 v3, 0, v3, vcc
	v_cndmask_b32_e32 v2, 0, v2, vcc
	ds_write_b64 v0, v[2:3]
.LBB4_85:                               ;   in Loop: Header=BB4_81 Depth=1
	s_or_b64 exec, exec, s[26:27]
	v_and_b32_e32 v1, 8, v62
	v_cmp_ne_u32_e32 vcc, 0, v1
	s_mov_b64 s[28:29], -1
	s_and_saveexec_b64 s[26:27], vcc
	s_cbranch_execz .LBB4_111
; %bb.86:                               ;   in Loop: Header=BB4_81 Depth=1
	v_lshl_add_u64 v[4:5], v[36:37], 0, 8
	v_lshl_add_u64 v[2:3], v[38:39], 0, 4
	v_cmp_lt_u64_e32 vcc, v[4:5], v[2:3]
	v_mov_b32_e32 v1, 1
	s_and_saveexec_b64 s[28:29], vcc
	s_cbranch_execz .LBB4_110
; %bb.87:                               ;   in Loop: Header=BB4_81 Depth=1
	v_mov_b32_e32 v1, 0
                                        ; implicit-def: $sgpr56_sgpr57
	s_branch .LBB4_98
.LBB4_88:                               ;   in Loop: Header=BB4_81 Depth=1
	s_andn2_saveexec_b64 s[52:53], s[52:53]
	s_cbranch_execz .LBB4_525
.LBB4_89:                               ;   in Loop: Header=BB4_81 Depth=1
	v_mov_b32_e32 v1, 0
	v_mov_b32_e32 v2, v10
	s_and_saveexec_b64 s[54:55], s[24:25]
	s_cbranch_execz .LBB4_433
; %bb.90:                               ;   in Loop: Header=BB4_81 Depth=1
	s_and_saveexec_b64 s[26:27], s[0:1]
	s_cbranch_execz .LBB4_92
; %bb.91:                               ;   in Loop: Header=BB4_81 Depth=1
	s_trap 2
	ds_read_b64 v[2:3], v0
	v_mov_b32_e32 v48, v49
	s_waitcnt lgkmcnt(0)
	v_lshl_add_u64 v[2:3], v[2:3], 0, v[30:31]
	ds_write_b64 v0, v[2:3]
	ds_write_b64 v0, v[48:49]
.LBB4_92:                               ;   in Loop: Header=BB4_81 Depth=1
	s_or_b64 exec, exec, s[26:27]
	v_and_b32_e32 v1, 8, v62
	v_cmp_ne_u32_e32 vcc, 0, v1
	s_mov_b64 s[56:57], -1
	v_lshl_add_u64 v[4:5], v[38:39], 0, 4
	s_and_saveexec_b64 s[26:27], vcc
	s_cbranch_execz .LBB4_135
; %bb.93:                               ;   in Loop: Header=BB4_81 Depth=1
	v_lshl_add_u64 v[6:7], v[36:37], 0, 8
	v_lshl_add_u64 v[2:3], v[38:39], 0, 4
	v_cmp_lt_u64_e32 vcc, v[6:7], v[2:3]
	v_mov_b32_e32 v1, 1
	s_and_saveexec_b64 s[56:57], vcc
	s_cbranch_execz .LBB4_134
; %bb.94:                               ;   in Loop: Header=BB4_81 Depth=1
	s_mov_b64 s[58:59], 0
	v_mov_b32_e32 v1, 0
                                        ; implicit-def: $sgpr60_sgpr61
	s_branch .LBB4_105
.LBB4_95:                               ;   in Loop: Header=BB4_98 Depth=2
	s_or_b64 exec, exec, s[64:65]
	v_mov_b32_e32 v4, 0
	s_orn2_b64 s[62:63], s[62:63], exec
.LBB4_96:                               ;   in Loop: Header=BB4_98 Depth=2
	s_or_b64 exec, exec, s[60:61]
	s_andn2_b64 vcc, s[56:57], exec
	s_and_b64 s[56:57], s[62:63], exec
	s_or_b64 s[56:57], vcc, s[56:57]
	v_mov_b32_e32 v1, v4
.LBB4_97:                               ;   in Loop: Header=BB4_98 Depth=2
	s_or_b64 exec, exec, s[58:59]
	s_waitcnt vmcnt(0) lgkmcnt(0)
	v_lshl_add_u64 v[4:5], v[36:37], 0, 8
	v_cmp_ge_u64_e32 vcc, v[4:5], v[2:3]
	s_xor_b64 s[58:59], s[56:57], -1
	s_or_b64 vcc, s[58:59], vcc
	s_and_b64 vcc, exec, vcc
	s_or_b64 s[30:31], vcc, s[30:31]
	s_andn2_b64 exec, exec, s[30:31]
	s_cbranch_execz .LBB4_109
.LBB4_98:                               ;   Parent Loop BB4_81 Depth=1
                                        ; =>  This Inner Loop Header: Depth=2
	s_sleep 1
	flat_load_dwordx2 v[36:37], v[26:27] sc0 sc1
	v_and_b32_e32 v4, 64, v62
	v_cmp_eq_u32_e32 vcc, 0, v4
	s_andn2_b64 s[56:57], s[56:57], exec
	s_and_saveexec_b64 s[58:59], vcc
	s_cbranch_execz .LBB4_97
; %bb.99:                               ;   in Loop: Header=BB4_98 Depth=2
	v_add_u32_e32 v4, 1, v1
	v_cmp_lt_i32_e32 vcc, s76, v1
	s_mov_b64 s[62:63], -1
	s_and_saveexec_b64 s[60:61], vcc
	s_cbranch_execz .LBB4_96
; %bb.100:                              ;   in Loop: Header=BB4_98 Depth=2
	s_trap 2
	ds_read_b64 v[4:5], v0
	s_waitcnt vmcnt(0) lgkmcnt(0)
	flat_load_dword v1, v[4:5] sc0 sc1
	s_waitcnt vmcnt(0) lgkmcnt(0)
	buffer_inv sc0 sc1
	v_cmp_ne_u32_e32 vcc, 0, v1
	s_and_saveexec_b64 s[64:65], vcc
	s_cbranch_execz .LBB4_95
; %bb.101:                              ;   in Loop: Header=BB4_98 Depth=2
	v_or_b32_e32 v62, 64, v62
	s_xor_b64 s[62:63], exec, -1
	ds_write_b32 v0, v1
	s_trap 2
	s_branch .LBB4_95
.LBB4_102:                              ;   in Loop: Header=BB4_105 Depth=2
	s_or_b64 exec, exec, s[68:69]
	v_mov_b32_e32 v6, 0
	s_orn2_b64 s[66:67], s[66:67], exec
.LBB4_103:                              ;   in Loop: Header=BB4_105 Depth=2
	s_or_b64 exec, exec, s[64:65]
	s_andn2_b64 vcc, s[60:61], exec
	s_and_b64 s[60:61], s[66:67], exec
	s_or_b64 s[60:61], vcc, s[60:61]
	v_mov_b32_e32 v1, v6
.LBB4_104:                              ;   in Loop: Header=BB4_105 Depth=2
	s_or_b64 exec, exec, s[62:63]
	s_waitcnt vmcnt(0) lgkmcnt(0)
	v_lshl_add_u64 v[6:7], v[36:37], 0, 8
	v_cmp_ge_u64_e32 vcc, v[6:7], v[2:3]
	s_xor_b64 s[62:63], s[60:61], -1
	s_or_b64 vcc, s[62:63], vcc
	s_and_b64 vcc, exec, vcc
	s_or_b64 s[58:59], vcc, s[58:59]
	s_andn2_b64 exec, exec, s[58:59]
	s_cbranch_execz .LBB4_133
.LBB4_105:                              ;   Parent Loop BB4_81 Depth=1
                                        ; =>  This Inner Loop Header: Depth=2
	s_sleep 1
	flat_load_dwordx2 v[36:37], v[26:27] sc0 sc1
	v_and_b32_e32 v6, 64, v62
	v_cmp_eq_u32_e32 vcc, 0, v6
	s_andn2_b64 s[60:61], s[60:61], exec
	s_and_saveexec_b64 s[62:63], vcc
	s_cbranch_execz .LBB4_104
; %bb.106:                              ;   in Loop: Header=BB4_105 Depth=2
	v_add_u32_e32 v6, 1, v1
	v_cmp_lt_i32_e32 vcc, s76, v1
	s_mov_b64 s[66:67], -1
	s_and_saveexec_b64 s[64:65], vcc
	s_cbranch_execz .LBB4_103
; %bb.107:                              ;   in Loop: Header=BB4_105 Depth=2
	s_trap 2
	ds_read_b64 v[6:7], v0
	s_waitcnt vmcnt(0) lgkmcnt(0)
	flat_load_dword v1, v[6:7] sc0 sc1
	s_waitcnt vmcnt(0) lgkmcnt(0)
	buffer_inv sc0 sc1
	v_cmp_ne_u32_e32 vcc, 0, v1
	s_and_saveexec_b64 s[68:69], vcc
	s_cbranch_execz .LBB4_102
; %bb.108:                              ;   in Loop: Header=BB4_105 Depth=2
	v_or_b32_e32 v62, 64, v62
	s_xor_b64 s[66:67], exec, -1
	ds_write_b32 v0, v1
	s_trap 2
	s_branch .LBB4_102
.LBB4_109:                              ;   in Loop: Header=BB4_81 Depth=1
	s_or_b64 exec, exec, s[30:31]
	v_and_b32_e32 v1, 8, v62
.LBB4_110:                              ;   in Loop: Header=BB4_81 Depth=1
	s_or_b64 exec, exec, s[28:29]
	v_cmp_eq_u32_e32 vcc, 0, v1
	s_orn2_b64 s[28:29], vcc, exec
	;;#ASMSTART
	s_wakeup
	;;#ASMEND
.LBB4_111:                              ;   in Loop: Header=BB4_81 Depth=1
	s_or_b64 exec, exec, s[26:27]
	s_xor_b64 s[26:27], s[28:29], -1
	v_min_i32_e32 v24, v10, v0
	s_and_saveexec_b64 s[28:29], s[26:27]
	s_cbranch_execz .LBB4_121
; %bb.112:                              ;   in Loop: Header=BB4_81 Depth=1
	v_and_b32_e32 v1, 0x100, v62
	v_cmp_ne_u32_e32 vcc, 0, v1
	v_and_b32_e32 v1, 7, v38
	s_mov_b64 s[26:27], -1
                                        ; implicit-def: $vgpr2_vgpr3
	s_and_saveexec_b64 s[30:31], vcc
	s_cbranch_execz .LBB4_116
; %bb.113:                              ;   in Loop: Header=BB4_81 Depth=1
	v_accvgpr_read_b32 v2, a18
	v_accvgpr_read_b32 v3, a19
	v_mad_u64_u32 v[4:5], s[26:27], v1, 24, v[2:3]
	flat_load_dword v2, v[4:5]
	v_ashrrev_i32_e32 v25, 31, v24
	flat_store_dwordx2 v[4:5], v[24:25] offset:8
	s_waitcnt vmcnt(0) lgkmcnt(0)
	v_cmp_ne_u32_e32 vcc, 1, v2
	v_cmp_eq_u32_e64 s[26:27], 1, v2
                                        ; implicit-def: $vgpr2_vgpr3
	s_and_saveexec_b64 s[56:57], s[26:27]
	s_cbranch_execz .LBB4_115
; %bb.114:                              ;   in Loop: Header=BB4_81 Depth=1
	flat_load_dword v2, v[4:5] offset:4 sc0 sc1
	s_waitcnt vmcnt(0) lgkmcnt(0)
	v_ashrrev_i32_e32 v3, 31, v2
.LBB4_115:                              ;   in Loop: Header=BB4_81 Depth=1
	s_or_b64 exec, exec, s[56:57]
	s_orn2_b64 s[26:27], vcc, exec
.LBB4_116:                              ;   in Loop: Header=BB4_81 Depth=1
	s_or_b64 exec, exec, s[30:31]
	s_and_saveexec_b64 vcc, s[26:27]
; %bb.117:                              ;   in Loop: Header=BB4_81 Depth=1
	v_mad_i64_i32 v[2:3], s[26:27], v1, v28, 0
; %bb.118:                              ;   in Loop: Header=BB4_81 Depth=1
	s_or_b64 exec, exec, vcc
	v_and_b32_e32 v1, 0x2000, v62
	v_lshl_add_u64 v[2:3], v[12:13], 0, v[2:3]
	v_cmp_ne_u32_e32 vcc, 0, v1
	ds_write_b64 v0, v[2:3] offset:792
	s_and_saveexec_b64 s[26:27], vcc
	s_cbranch_execz .LBB4_120
; %bb.119:                              ;   in Loop: Header=BB4_81 Depth=1
	ds_read_b64 v[2:3], v0 offset:584
	s_waitcnt lgkmcnt(0)
	v_lshl_add_u64 v[2:3], v[2:3], 0, 1
	ds_write_b64 v0, v[2:3] offset:584
.LBB4_120:                              ;   in Loop: Header=BB4_81 Depth=1
	s_or_b64 exec, exec, s[26:27]
	v_lshl_add_u64 v[38:39], v[38:39], 0, 4
.LBB4_121:                              ;   in Loop: Header=BB4_81 Depth=1
	s_or_b64 exec, exec, s[28:29]
	s_and_saveexec_b64 s[26:27], s[4:5]
	s_cbranch_execz .LBB4_164
; %bb.122:                              ;   in Loop: Header=BB4_81 Depth=1
	s_and_saveexec_b64 s[28:29], s[42:43]
	s_xor_b64 s[28:29], exec, s[28:29]
	s_cbranch_execz .LBB4_161
; %bb.123:                              ;   in Loop: Header=BB4_81 Depth=1
	s_and_saveexec_b64 s[30:31], s[12:13]
	s_cbranch_execz .LBB4_160
; %bb.124:                              ;   in Loop: Header=BB4_81 Depth=1
	s_mov_b64 s[58:59], exec
	v_mbcnt_lo_u32_b32 v1, s58, 0
	v_mbcnt_hi_u32_b32 v1, s59, v1
	v_cmp_eq_u32_e32 vcc, 0, v1
	s_waitcnt lgkmcnt(0)
	s_and_saveexec_b64 s[56:57], vcc
	s_cbranch_execz .LBB4_126
; %bb.125:                              ;   in Loop: Header=BB4_81 Depth=1
	s_bcnt1_i32_b64 vcc_lo, s[58:59]
	v_mov_b32_e32 v48, vcc_lo
	ds_add_u64 v0, v[48:49]
	s_trap 2
.LBB4_126:                              ;   in Loop: Header=BB4_81 Depth=1
	s_or_b64 exec, exec, s[56:57]
	s_trap 2
	ds_read_b64 v[2:3], v0
	v_lshl_add_u64 v[14:15], v[14:15], 0, v[50:51]
	s_waitcnt lgkmcnt(0)
	v_cmp_lt_u64_e32 vcc, v[2:3], v[14:15]
	s_and_saveexec_b64 s[56:57], vcc
	s_cbranch_execz .LBB4_159
; %bb.127:                              ;   in Loop: Header=BB4_81 Depth=1
	s_mov_b32 s68, 0
	s_mov_b64 s[58:59], 0
                                        ; implicit-def: $sgpr60_sgpr61
                                        ; implicit-def: $sgpr62_sgpr63
	s_branch .LBB4_129
.LBB4_128:                              ;   in Loop: Header=BB4_129 Depth=2
	s_or_b64 exec, exec, s[66:67]
	s_and_b64 vcc, exec, vcc
	s_or_b64 s[58:59], vcc, s[58:59]
	s_andn2_b64 vcc, s[60:61], exec
	s_and_b64 s[60:61], s[62:63], exec
	s_or_b64 s[60:61], vcc, s[60:61]
	s_andn2_b64 exec, exec, s[58:59]
	s_cbranch_execz .LBB4_157
.LBB4_129:                              ;   Parent Loop BB4_81 Depth=1
                                        ; =>  This Inner Loop Header: Depth=2
	s_add_i32 s68, s68, 1
	s_cmpk_lg_i32 s68, 0x2710
	s_cselect_b64 s[64:65], -1, 0
	s_and_b64 vcc, exec, s[64:65]
                                        ; implicit-def: $sgpr66_sgpr67
	s_cbranch_vccnz .LBB4_131
; %bb.130:                              ;   in Loop: Header=BB4_129 Depth=2
	s_trap 2
	ds_read_b64 v[2:3], v0
	s_andn2_b64 s[64:65], s[64:65], exec
	s_mov_b32 s68, 0
	s_mov_b64 s[66:67], -1
	s_waitcnt lgkmcnt(0)
	flat_load_dword v1, v[2:3] sc0 sc1
	s_waitcnt vmcnt(0) lgkmcnt(0)
	buffer_inv sc0 sc1
	v_cmp_eq_u32_e32 vcc, 0, v1
	s_and_b64 vcc, vcc, exec
	s_or_b64 s[64:65], s[64:65], vcc
.LBB4_131:                              ;   in Loop: Header=BB4_129 Depth=2
	s_andn2_b64 s[62:63], s[62:63], exec
	s_and_b64 s[66:67], s[66:67], exec
	s_mov_b64 vcc, -1
	s_or_b64 s[62:63], s[62:63], s[66:67]
	s_and_saveexec_b64 s[66:67], s[64:65]
	s_cbranch_execz .LBB4_128
; %bb.132:                              ;   in Loop: Header=BB4_129 Depth=2
	s_sleep 1
	s_trap 2
	ds_read_b64 v[2:3], v0
	s_andn2_b64 s[62:63], s[62:63], exec
	s_waitcnt lgkmcnt(0)
	v_cmp_ge_u64_e32 vcc, v[2:3], v[14:15]
	s_orn2_b64 vcc, vcc, exec
	s_branch .LBB4_128
.LBB4_133:                              ;   in Loop: Header=BB4_81 Depth=1
	s_or_b64 exec, exec, s[58:59]
	v_and_b32_e32 v1, 8, v62
.LBB4_134:                              ;   in Loop: Header=BB4_81 Depth=1
	s_or_b64 exec, exec, s[56:57]
	v_cmp_eq_u32_e32 vcc, 0, v1
	s_orn2_b64 s[56:57], vcc, exec
	;;#ASMSTART
	s_wakeup
	;;#ASMEND
.LBB4_135:                              ;   in Loop: Header=BB4_81 Depth=1
	s_or_b64 exec, exec, s[26:27]
	s_xor_b64 s[26:27], s[56:57], -1
	v_min_i32_e32 v2, v10, v0
	s_and_saveexec_b64 s[56:57], s[26:27]
	s_cbranch_execz .LBB4_145
; %bb.136:                              ;   in Loop: Header=BB4_81 Depth=1
	v_and_b32_e32 v1, 0x100, v62
	v_cmp_ne_u32_e32 vcc, 0, v1
	v_and_b32_e32 v1, 7, v38
	s_mov_b64 s[26:27], -1
                                        ; implicit-def: $vgpr24_vgpr25
	s_and_saveexec_b64 s[58:59], vcc
	s_cbranch_execz .LBB4_140
; %bb.137:                              ;   in Loop: Header=BB4_81 Depth=1
	v_accvgpr_read_b32 v6, a18
	v_accvgpr_read_b32 v7, a19
	v_mad_u64_u32 v[38:39], s[26:27], v1, 24, v[6:7]
	flat_load_dword v6, v[38:39]
	v_ashrrev_i32_e32 v3, 31, v2
	flat_store_dwordx2 v[38:39], v[2:3] offset:8
                                        ; implicit-def: $vgpr24_vgpr25
	s_waitcnt vmcnt(0) lgkmcnt(0)
	v_cmp_ne_u32_e32 vcc, 1, v6
	v_cmp_eq_u32_e64 s[26:27], 1, v6
	s_and_saveexec_b64 s[60:61], s[26:27]
	s_cbranch_execz .LBB4_139
; %bb.138:                              ;   in Loop: Header=BB4_81 Depth=1
	flat_load_dword v24, v[38:39] offset:4 sc0 sc1
	s_waitcnt vmcnt(0) lgkmcnt(0)
	v_ashrrev_i32_e32 v25, 31, v24
.LBB4_139:                              ;   in Loop: Header=BB4_81 Depth=1
	s_or_b64 exec, exec, s[60:61]
	s_orn2_b64 s[26:27], vcc, exec
.LBB4_140:                              ;   in Loop: Header=BB4_81 Depth=1
	s_or_b64 exec, exec, s[58:59]
	s_and_saveexec_b64 vcc, s[26:27]
; %bb.141:                              ;   in Loop: Header=BB4_81 Depth=1
	v_mad_i64_i32 v[24:25], s[26:27], v1, v28, 0
; %bb.142:                              ;   in Loop: Header=BB4_81 Depth=1
	s_or_b64 exec, exec, vcc
	v_and_b32_e32 v1, 0x2000, v62
	v_lshl_add_u64 v[6:7], v[12:13], 0, v[24:25]
	v_cmp_ne_u32_e32 vcc, 0, v1
	ds_write_b64 v0, v[6:7] offset:784
	s_and_saveexec_b64 s[26:27], vcc
	s_cbranch_execz .LBB4_144
; %bb.143:                              ;   in Loop: Header=BB4_81 Depth=1
	ds_read_b64 v[6:7], v0 offset:584
	s_waitcnt lgkmcnt(0)
	v_lshl_add_u64 v[6:7], v[6:7], 0, 1
	ds_write_b64 v0, v[6:7] offset:584
.LBB4_144:                              ;   in Loop: Header=BB4_81 Depth=1
	s_or_b64 exec, exec, s[26:27]
	v_mov_b64_e32 v[38:39], v[4:5]
.LBB4_145:                              ;   in Loop: Header=BB4_81 Depth=1
	s_or_b64 exec, exec, s[56:57]
	s_and_saveexec_b64 s[26:27], s[4:5]
	s_cbranch_execz .LBB4_183
; %bb.146:                              ;   in Loop: Header=BB4_81 Depth=1
	s_and_saveexec_b64 vcc, s[42:43]
	s_xor_b64 s[56:57], exec, vcc
	s_cbranch_execz .LBB4_180
; %bb.147:                              ;   in Loop: Header=BB4_81 Depth=1
	s_and_saveexec_b64 s[58:59], s[12:13]
	s_cbranch_execz .LBB4_179
; %bb.148:                              ;   in Loop: Header=BB4_81 Depth=1
	s_mov_b64 s[62:63], exec
	v_mbcnt_lo_u32_b32 v1, s62, 0
	v_mbcnt_hi_u32_b32 v1, s63, v1
	v_cmp_eq_u32_e32 vcc, 0, v1
	s_waitcnt lgkmcnt(0)
	s_and_saveexec_b64 s[60:61], vcc
	s_cbranch_execz .LBB4_150
; %bb.149:                              ;   in Loop: Header=BB4_81 Depth=1
	s_bcnt1_i32_b64 vcc_lo, s[62:63]
	v_mov_b32_e32 v48, vcc_lo
	ds_add_u64 v0, v[48:49]
	s_trap 2
.LBB4_150:                              ;   in Loop: Header=BB4_81 Depth=1
	s_or_b64 exec, exec, s[60:61]
	s_trap 2
	ds_read_b64 v[4:5], v0
	v_lshl_add_u64 v[14:15], v[14:15], 0, v[50:51]
	s_waitcnt lgkmcnt(0)
	v_cmp_lt_u64_e32 vcc, v[4:5], v[14:15]
	s_and_saveexec_b64 s[60:61], vcc
	s_cbranch_execz .LBB4_178
; %bb.151:                              ;   in Loop: Header=BB4_81 Depth=1
	s_mov_b32 s72, 0
	s_mov_b64 s[62:63], 0
                                        ; implicit-def: $sgpr64_sgpr65
                                        ; implicit-def: $sgpr66_sgpr67
	s_branch .LBB4_153
.LBB4_152:                              ;   in Loop: Header=BB4_153 Depth=2
	s_or_b64 exec, exec, s[70:71]
	s_and_b64 vcc, exec, vcc
	s_or_b64 s[62:63], vcc, s[62:63]
	s_andn2_b64 vcc, s[64:65], exec
	s_and_b64 s[64:65], s[66:67], exec
	s_or_b64 s[64:65], vcc, s[64:65]
	s_andn2_b64 exec, exec, s[62:63]
	s_cbranch_execz .LBB4_176
.LBB4_153:                              ;   Parent Loop BB4_81 Depth=1
                                        ; =>  This Inner Loop Header: Depth=2
	s_add_i32 s72, s72, 1
	s_cmpk_lg_i32 s72, 0x2710
	s_cselect_b64 s[68:69], -1, 0
	s_and_b64 vcc, exec, s[68:69]
                                        ; implicit-def: $sgpr70_sgpr71
	s_cbranch_vccnz .LBB4_155
; %bb.154:                              ;   in Loop: Header=BB4_153 Depth=2
	s_trap 2
	ds_read_b64 v[4:5], v0
	s_andn2_b64 s[68:69], s[68:69], exec
	s_mov_b32 s72, 0
	s_mov_b64 s[70:71], -1
	s_waitcnt vmcnt(0) lgkmcnt(0)
	flat_load_dword v1, v[4:5] sc0 sc1
	s_waitcnt vmcnt(0) lgkmcnt(0)
	buffer_inv sc0 sc1
	v_cmp_eq_u32_e32 vcc, 0, v1
	s_and_b64 vcc, vcc, exec
	s_or_b64 s[68:69], s[68:69], vcc
.LBB4_155:                              ;   in Loop: Header=BB4_153 Depth=2
	s_andn2_b64 s[66:67], s[66:67], exec
	s_and_b64 s[70:71], s[70:71], exec
	s_mov_b64 vcc, -1
	s_or_b64 s[66:67], s[66:67], s[70:71]
	s_and_saveexec_b64 s[70:71], s[68:69]
	s_cbranch_execz .LBB4_152
; %bb.156:                              ;   in Loop: Header=BB4_153 Depth=2
	s_sleep 1
	s_trap 2
	ds_read_b64 v[4:5], v0
	s_andn2_b64 s[66:67], s[66:67], exec
	s_waitcnt lgkmcnt(0)
	v_cmp_ge_u64_e32 vcc, v[4:5], v[14:15]
	s_orn2_b64 vcc, vcc, exec
	s_branch .LBB4_152
.LBB4_157:                              ;   in Loop: Header=BB4_81 Depth=1
	s_or_b64 exec, exec, s[58:59]
	s_and_saveexec_b64 vcc, s[60:61]
	s_xor_b64 vcc, exec, vcc
	s_cbranch_execz .LBB4_159
; %bb.158:                              ;   in Loop: Header=BB4_81 Depth=1
	ds_write_b32 v0, v46
	s_trap 2
.LBB4_159:                              ;   in Loop: Header=BB4_81 Depth=1
	s_or_b64 exec, exec, s[56:57]
	;;#ASMSTART
	s_wakeup
	;;#ASMEND
.LBB4_160:                              ;   in Loop: Header=BB4_81 Depth=1
	s_or_b64 exec, exec, s[30:31]
.LBB4_161:                              ;   in Loop: Header=BB4_81 Depth=1
	s_andn2_saveexec_b64 s[28:29], s[28:29]
	s_cbranch_execz .LBB4_163
; %bb.162:                              ;   in Loop: Header=BB4_81 Depth=1
	s_waitcnt lgkmcnt(0)
	s_barrier
.LBB4_163:                              ;   in Loop: Header=BB4_81 Depth=1
	s_or_b64 exec, exec, s[28:29]
.LBB4_164:                              ;   in Loop: Header=BB4_81 Depth=1
	s_or_b64 exec, exec, s[26:27]
	s_trap 2
	ds_read_b32 v2, v0
	v_and_b32_e32 v1, 0x4000, v62
	v_cmp_ne_u32_e32 vcc, 0, v1
	s_xor_b64 s[26:27], s[2:3], -1
	s_and_b64 s[28:29], s[26:27], vcc
	s_and_saveexec_b64 s[26:27], s[28:29]
	s_cbranch_execz .LBB4_202
; %bb.165:                              ;   in Loop: Header=BB4_81 Depth=1
	s_and_saveexec_b64 s[28:29], s[42:43]
	s_xor_b64 s[28:29], exec, s[28:29]
	s_cbranch_execz .LBB4_199
; %bb.166:                              ;   in Loop: Header=BB4_81 Depth=1
	s_and_saveexec_b64 s[30:31], s[12:13]
	s_cbranch_execz .LBB4_198
; %bb.167:                              ;   in Loop: Header=BB4_81 Depth=1
	s_mov_b64 s[58:59], exec
	v_mbcnt_lo_u32_b32 v1, s58, 0
	v_mbcnt_hi_u32_b32 v1, s59, v1
	v_cmp_eq_u32_e32 vcc, 0, v1
	s_waitcnt lgkmcnt(0)
	s_and_saveexec_b64 s[56:57], vcc
	s_cbranch_execz .LBB4_169
; %bb.168:                              ;   in Loop: Header=BB4_81 Depth=1
	s_bcnt1_i32_b64 vcc_lo, s[58:59]
	v_mov_b32_e32 v48, vcc_lo
	ds_add_u64 v0, v[48:49]
	s_trap 2
.LBB4_169:                              ;   in Loop: Header=BB4_81 Depth=1
	s_or_b64 exec, exec, s[56:57]
	s_trap 2
	ds_read_b64 v[4:5], v0
	v_lshl_add_u64 v[14:15], v[14:15], 0, v[50:51]
	s_waitcnt lgkmcnt(0)
	v_cmp_lt_u64_e32 vcc, v[4:5], v[14:15]
	s_and_saveexec_b64 s[56:57], vcc
	s_cbranch_execz .LBB4_197
; %bb.170:                              ;   in Loop: Header=BB4_81 Depth=1
	s_mov_b32 s68, 0
	s_mov_b64 s[58:59], 0
                                        ; implicit-def: $sgpr60_sgpr61
                                        ; implicit-def: $sgpr62_sgpr63
	s_branch .LBB4_172
.LBB4_171:                              ;   in Loop: Header=BB4_172 Depth=2
	s_or_b64 exec, exec, s[66:67]
	s_and_b64 vcc, exec, vcc
	s_or_b64 s[58:59], vcc, s[58:59]
	s_andn2_b64 vcc, s[60:61], exec
	s_and_b64 s[60:61], s[62:63], exec
	s_or_b64 s[60:61], vcc, s[60:61]
	s_andn2_b64 exec, exec, s[58:59]
	s_cbranch_execz .LBB4_195
.LBB4_172:                              ;   Parent Loop BB4_81 Depth=1
                                        ; =>  This Inner Loop Header: Depth=2
	s_add_i32 s68, s68, 1
	s_cmpk_lg_i32 s68, 0x2710
	s_cselect_b64 s[64:65], -1, 0
	s_and_b64 vcc, exec, s[64:65]
                                        ; implicit-def: $sgpr66_sgpr67
	s_cbranch_vccnz .LBB4_174
; %bb.173:                              ;   in Loop: Header=BB4_172 Depth=2
	s_trap 2
	ds_read_b64 v[4:5], v0
	s_andn2_b64 s[64:65], s[64:65], exec
	s_mov_b32 s68, 0
	s_mov_b64 s[66:67], -1
	s_waitcnt lgkmcnt(0)
	flat_load_dword v1, v[4:5] sc0 sc1
	s_waitcnt vmcnt(0) lgkmcnt(0)
	buffer_inv sc0 sc1
	v_cmp_eq_u32_e32 vcc, 0, v1
	s_and_b64 vcc, vcc, exec
	s_or_b64 s[64:65], s[64:65], vcc
.LBB4_174:                              ;   in Loop: Header=BB4_172 Depth=2
	s_andn2_b64 s[62:63], s[62:63], exec
	s_and_b64 s[66:67], s[66:67], exec
	s_mov_b64 vcc, -1
	s_or_b64 s[62:63], s[62:63], s[66:67]
	s_and_saveexec_b64 s[66:67], s[64:65]
	s_cbranch_execz .LBB4_171
; %bb.175:                              ;   in Loop: Header=BB4_172 Depth=2
	s_sleep 1
	s_trap 2
	ds_read_b64 v[4:5], v0
	s_andn2_b64 s[62:63], s[62:63], exec
	s_waitcnt lgkmcnt(0)
	v_cmp_ge_u64_e32 vcc, v[4:5], v[14:15]
	s_orn2_b64 vcc, vcc, exec
	s_branch .LBB4_171
.LBB4_176:                              ;   in Loop: Header=BB4_81 Depth=1
	s_or_b64 exec, exec, s[62:63]
	s_and_saveexec_b64 vcc, s[64:65]
	s_xor_b64 vcc, exec, vcc
	s_cbranch_execz .LBB4_178
; %bb.177:                              ;   in Loop: Header=BB4_81 Depth=1
	ds_write_b32 v0, v46
	s_trap 2
.LBB4_178:                              ;   in Loop: Header=BB4_81 Depth=1
	s_or_b64 exec, exec, s[60:61]
	;;#ASMSTART
	s_wakeup
	;;#ASMEND
.LBB4_179:                              ;   in Loop: Header=BB4_81 Depth=1
	s_or_b64 exec, exec, s[58:59]
.LBB4_180:                              ;   in Loop: Header=BB4_81 Depth=1
	s_andn2_saveexec_b64 vcc, s[56:57]
	s_cbranch_execz .LBB4_182
; %bb.181:                              ;   in Loop: Header=BB4_81 Depth=1
	s_waitcnt lgkmcnt(0)
	s_barrier
.LBB4_182:                              ;   in Loop: Header=BB4_81 Depth=1
	s_or_b64 exec, exec, vcc
.LBB4_183:                              ;   in Loop: Header=BB4_81 Depth=1
	s_or_b64 exec, exec, s[26:27]
	s_trap 2
	ds_read_b32 v3, v0
	v_and_b32_e32 v1, 0x4000, v62
	v_cmp_ne_u32_e32 vcc, 0, v1
	s_xor_b64 s[26:27], s[2:3], -1
	s_and_b64 vcc, s[26:27], vcc
	s_and_saveexec_b64 s[26:27], vcc
	s_cbranch_execz .LBB4_287
; %bb.184:                              ;   in Loop: Header=BB4_81 Depth=1
	s_and_saveexec_b64 vcc, s[42:43]
	s_xor_b64 s[56:57], exec, vcc
	s_cbranch_execz .LBB4_284
; %bb.185:                              ;   in Loop: Header=BB4_81 Depth=1
	s_and_saveexec_b64 s[58:59], s[12:13]
	s_cbranch_execz .LBB4_283
; %bb.186:                              ;   in Loop: Header=BB4_81 Depth=1
	s_mov_b64 s[62:63], exec
	v_mbcnt_lo_u32_b32 v1, s62, 0
	v_mbcnt_hi_u32_b32 v1, s63, v1
	v_cmp_eq_u32_e32 vcc, 0, v1
	s_waitcnt lgkmcnt(0)
	s_and_saveexec_b64 s[60:61], vcc
	s_cbranch_execz .LBB4_188
; %bb.187:                              ;   in Loop: Header=BB4_81 Depth=1
	s_bcnt1_i32_b64 vcc_lo, s[62:63]
	v_mov_b32_e32 v48, vcc_lo
	ds_add_u64 v0, v[48:49]
	s_trap 2
.LBB4_188:                              ;   in Loop: Header=BB4_81 Depth=1
	s_or_b64 exec, exec, s[60:61]
	s_trap 2
	ds_read_b64 v[4:5], v0
	v_lshl_add_u64 v[14:15], v[14:15], 0, v[50:51]
	s_waitcnt lgkmcnt(0)
	v_cmp_lt_u64_e32 vcc, v[4:5], v[14:15]
	s_and_saveexec_b64 s[60:61], vcc
	s_cbranch_execz .LBB4_282
; %bb.189:                              ;   in Loop: Header=BB4_81 Depth=1
	s_mov_b32 s72, 0
	s_mov_b64 s[62:63], 0
                                        ; implicit-def: $sgpr64_sgpr65
                                        ; implicit-def: $sgpr66_sgpr67
	s_branch .LBB4_191
.LBB4_190:                              ;   in Loop: Header=BB4_191 Depth=2
	s_or_b64 exec, exec, s[70:71]
	s_and_b64 vcc, exec, vcc
	s_or_b64 s[62:63], vcc, s[62:63]
	s_andn2_b64 vcc, s[64:65], exec
	s_and_b64 s[64:65], s[66:67], exec
	s_or_b64 s[64:65], vcc, s[64:65]
	s_andn2_b64 exec, exec, s[62:63]
	s_cbranch_execz .LBB4_280
.LBB4_191:                              ;   Parent Loop BB4_81 Depth=1
                                        ; =>  This Inner Loop Header: Depth=2
	s_add_i32 s72, s72, 1
	s_cmpk_lg_i32 s72, 0x2710
	s_cselect_b64 s[68:69], -1, 0
	s_and_b64 vcc, exec, s[68:69]
                                        ; implicit-def: $sgpr70_sgpr71
	s_cbranch_vccnz .LBB4_193
; %bb.192:                              ;   in Loop: Header=BB4_191 Depth=2
	s_trap 2
	ds_read_b64 v[4:5], v0
	s_andn2_b64 s[68:69], s[68:69], exec
	s_mov_b32 s72, 0
	s_mov_b64 s[70:71], -1
	s_waitcnt vmcnt(0) lgkmcnt(0)
	flat_load_dword v1, v[4:5] sc0 sc1
	s_waitcnt vmcnt(0) lgkmcnt(0)
	buffer_inv sc0 sc1
	v_cmp_eq_u32_e32 vcc, 0, v1
	s_and_b64 vcc, vcc, exec
	s_or_b64 s[68:69], s[68:69], vcc
.LBB4_193:                              ;   in Loop: Header=BB4_191 Depth=2
	s_andn2_b64 s[66:67], s[66:67], exec
	s_and_b64 s[70:71], s[70:71], exec
	s_mov_b64 vcc, -1
	s_or_b64 s[66:67], s[66:67], s[70:71]
	s_and_saveexec_b64 s[70:71], s[68:69]
	s_cbranch_execz .LBB4_190
; %bb.194:                              ;   in Loop: Header=BB4_191 Depth=2
	s_sleep 1
	s_trap 2
	ds_read_b64 v[4:5], v0
	s_andn2_b64 s[66:67], s[66:67], exec
	s_waitcnt lgkmcnt(0)
	v_cmp_ge_u64_e32 vcc, v[4:5], v[14:15]
	s_orn2_b64 vcc, vcc, exec
	s_branch .LBB4_190
.LBB4_195:                              ;   in Loop: Header=BB4_81 Depth=1
	s_or_b64 exec, exec, s[58:59]
	s_and_saveexec_b64 vcc, s[60:61]
	s_xor_b64 vcc, exec, vcc
	s_cbranch_execz .LBB4_197
; %bb.196:                              ;   in Loop: Header=BB4_81 Depth=1
	ds_write_b32 v0, v46
	s_trap 2
.LBB4_197:                              ;   in Loop: Header=BB4_81 Depth=1
	s_or_b64 exec, exec, s[56:57]
	;;#ASMSTART
	s_wakeup
	;;#ASMEND
.LBB4_198:                              ;   in Loop: Header=BB4_81 Depth=1
	s_or_b64 exec, exec, s[30:31]
.LBB4_199:                              ;   in Loop: Header=BB4_81 Depth=1
	s_andn2_saveexec_b64 s[28:29], s[28:29]
	s_cbranch_execz .LBB4_201
; %bb.200:                              ;   in Loop: Header=BB4_81 Depth=1
	s_waitcnt lgkmcnt(0)
	s_barrier
.LBB4_201:                              ;   in Loop: Header=BB4_81 Depth=1
	s_or_b64 exec, exec, s[28:29]
.LBB4_202:                              ;   in Loop: Header=BB4_81 Depth=1
	s_or_b64 exec, exec, s[26:27]
	s_trap 2
	ds_read_b64 v[4:5], v0
	s_waitcnt lgkmcnt(0)
	v_readfirstlane_b32 s26, v4
	v_readfirstlane_b32 s27, v5
	s_cmp_eq_u64 s[26:27], 0
	s_cselect_b64 s[26:27], -1, 0
	s_or_b64 s[28:29], s[26:27], s[26:27]
	s_mov_b64 s[26:27], 0
	s_and_b64 vcc, exec, s[28:29]
	s_cbranch_vccnz .LBB4_268
; %bb.203:                              ;   in Loop: Header=BB4_81 Depth=1
	s_trap 2
	ds_read_b64 v[4:5], v0
	v_cmp_eq_u32_e64 s[26:27], 0, v2
	s_waitcnt lgkmcnt(0)
	v_cmp_ne_u64_e32 vcc, 0, v[4:5]
	v_cndmask_b32_e64 v18, 0, v24, s[26:27]
	s_mov_b64 s[26:27], -1
	s_cbranch_vccz .LBB4_238
; %bb.204:                              ;   in Loop: Header=BB4_81 Depth=1
	s_and_saveexec_b64 s[28:29], s[14:15]
	s_cbranch_execz .LBB4_206
; %bb.205:                              ;   in Loop: Header=BB4_81 Depth=1
	ds_read_b32 v1, v0 offset:720
	s_waitcnt lgkmcnt(0)
	v_and_b32_e32 v1, 15, v1
	v_cmp_eq_u32_e32 vcc, 0, v1
	s_orn2_b64 s[26:27], vcc, exec
.LBB4_206:                              ;   in Loop: Header=BB4_81 Depth=1
	s_or_b64 exec, exec, s[28:29]
	s_and_saveexec_b64 s[28:29], s[16:17]
	s_cbranch_execz .LBB4_208
; %bb.207:                              ;   in Loop: Header=BB4_81 Depth=1
	ds_read_b32 v1, v0 offset:784
	s_waitcnt lgkmcnt(0)
	v_and_b32_e32 v1, 15, v1
	v_cmp_eq_u32_e32 vcc, 0, v1
	s_and_b64 vcc, s[26:27], vcc
	s_andn2_b64 s[26:27], s[26:27], exec
	s_and_b64 vcc, vcc, exec
	s_or_b64 s[26:27], s[26:27], vcc
.LBB4_208:                              ;   in Loop: Header=BB4_81 Depth=1
	s_or_b64 exec, exec, s[28:29]
	s_xor_b64 s[26:27], s[26:27], -1
	v_cndmask_b32_e64 v1, 0, 1, s[26:27]
	s_mov_b64 s[28:29], -1
	;;#ASMSTART
	;;#ASMEND
	v_mov_b32_e32 v25, 0
	v_cmp_ne_u32_e32 vcc, 0, v1
	v_mov_b32_e32 v48, v18
	v_mov_b32_e32 v52, v47
	v_accvgpr_read_b32 v2, a20
	s_cbranch_vccnz .LBB4_226
; %bb.209:                              ;   in Loop: Header=BB4_81 Depth=1
	v_accvgpr_read_b32 v2, a24
	v_sub_u32_e32 v1, v18, v2
	v_ashrrev_i32_e32 v2, 31, v18
	v_lshrrev_b32_e32 v2, 22, v2
	v_add_u32_e32 v2, v18, v2
	v_and_b32_e32 v6, 0xfffffc00, v2
	v_accvgpr_read_b32 v3, a25
	v_sub_u32_e32 v8, v18, v6
	v_ashrrev_i32_e32 v3, 10, v2
	v_cmp_lt_i32_e64 s[26:27], 15, v8
	v_accvgpr_read_b32 v2, a31
	s_nop 0
	v_addc_co_u32_e64 v7, vcc, v3, v2, s[26:27]
	v_cmp_lt_i32_e32 vcc, 15, v1
	s_and_saveexec_b64 s[56:57], vcc
	s_cbranch_execz .LBB4_215
; %bb.210:                              ;   in Loop: Header=BB4_81 Depth=1
	s_trap 2
	ds_read_b64 v[16:17], v0
	ds_read_b128 v[2:5], v0
	v_accvgpr_read_b32 v35, a25
	v_accvgpr_read_b32 v34, a24
	s_mov_b64 s[58:59], 0
	s_waitcnt lgkmcnt(1)
	v_lshl_add_u64 v[46:47], v[16:17], 0, v[34:35]
	s_waitcnt lgkmcnt(0)
	v_lshl_add_u64 v[40:41], v[2:3], 0, v[34:35]
	v_lshl_add_u64 v[52:53], v[4:5], 0, v[34:35]
.LBB4_211:                              ;   Parent Loop BB4_81 Depth=1
                                        ; =>  This Loop Header: Depth=2
                                        ;       Child Loop BB4_212 Depth 3
	global_load_dwordx4 v[2:5], v[46:47], off nt
	s_mov_b64 s[62:63], -1
	s_mov_b64 s[60:61], 0
	s_waitcnt vmcnt(0)
.LBB4_212:                              ;   Parent Loop BB4_81 Depth=1
                                        ;     Parent Loop BB4_211 Depth=2
                                        ; =>    This Inner Loop Header: Depth=3
	s_cmp_eq_u32 s60, 0
	s_cselect_b64 s[28:29], -1, 0
	s_cmp_eq_u32 s60, 1
	s_cselect_b64 s[30:31], -1, 0
	v_cndmask_b32_e64 v9, 0, 1, s[62:63]
	v_cndmask_b32_e64 v17, v41, v53, s[30:31]
	;; [unrolled: 1-line block ×3, first 2 shown]
	v_cmp_ne_u32_e32 vcc, 1, v9
	global_store_dwordx4 v[16:17], v[2:5], off nt
	v_lshl_add_u64 v[16:17], v[16:17], 0, s[44:45]
	s_mov_b64 s[62:63], 0
	s_mov_b64 s[60:61], 1
	s_and_b64 vcc, exec, vcc
	v_cndmask_b32_e64 v53, v53, v17, s[30:31]
	v_cndmask_b32_e64 v52, v52, v16, s[30:31]
	;; [unrolled: 1-line block ×4, first 2 shown]
	s_cbranch_vccz .LBB4_212
; %bb.213:                              ;   in Loop: Header=BB4_211 Depth=2
	v_sub_u32_e32 v1, v1, v29
	v_cmp_gt_i32_e32 vcc, 16, v1
	v_lshl_add_u64 v[40:41], v[40:41], 0, v[44:45]
	v_lshl_add_u64 v[52:53], v[52:53], 0, v[44:45]
	;; [unrolled: 1-line block ×3, first 2 shown]
	s_or_b64 s[58:59], vcc, s[58:59]
	v_sub_u32_e32 v7, v7, v50
	s_andn2_b64 exec, exec, s[58:59]
	s_cbranch_execnz .LBB4_211
; %bb.214:                              ;   in Loop: Header=BB4_81 Depth=1
	s_or_b64 exec, exec, s[58:59]
	v_accvgpr_read_b32 v47, a4
	v_mov_b32_e32 v46, 1
.LBB4_215:                              ;   in Loop: Header=BB4_81 Depth=1
	s_or_b64 exec, exec, s[56:57]
	v_and_b32_e32 v3, 15, v18
	v_cndmask_b32_e64 v1, v8, v3, s[26:27]
	v_cmp_ne_u32_e32 vcc, 0, v1
	s_mov_b64 s[28:29], 0
	v_mov_b32_e32 v25, 0
                                        ; implicit-def: $vgpr48
                                        ; implicit-def: $vgpr52
                                        ; implicit-def: $vgpr2
	s_and_saveexec_b64 s[56:57], vcc
	s_cbranch_execz .LBB4_225
; %bb.216:                              ;   in Loop: Header=BB4_81 Depth=1
	v_sub_u32_e32 v2, v8, v3
	v_cndmask_b32_e64 v2, 0, v2, s[26:27]
	v_cmp_lt_i32_e32 vcc, 0, v7
	v_add_u32_e32 v9, v2, v6
	v_accvgpr_read_b32 v3, a30
	v_cndmask_b32_e32 v2, 0, v50, vcc
	v_sub_u32_e32 v2, v2, v7
	v_lshl_add_u32 v2, v2, 6, v3
	v_ashrrev_i32_e32 v3, 31, v2
	v_lshrrev_b32_e32 v3, 26, v3
	v_add_u32_e32 v3, v2, v3
	v_ashrrev_i32_e32 v4, 6, v3
	v_and_b32_e32 v3, 0xffffffc0, v3
	v_sub_u32_e32 v16, v2, v3
	v_ashrrev_i32_e32 v3, 31, v1
	v_lshrrev_b32_e32 v3, 22, v3
	v_add_u32_e32 v3, v1, v3
	v_and_b32_e32 v8, 0xfffffc00, v3
	v_lshlrev_b32_e32 v2, 4, v16
	v_sub_u32_e32 v7, v1, v8
	v_lshl_add_u32 v2, v4, 10, v2
	v_ashrrev_i32_e32 v5, 10, v3
	v_cmp_lt_i32_e64 s[26:27], 15, v7
	v_sub_u32_e32 v19, v1, v2
	s_nop 0
	v_addc_co_u32_e64 v3, vcc, 0, v5, s[26:27]
	v_sub_u32_e32 v6, v3, v4
	v_cmp_lt_i32_e32 vcc, 15, v19
	s_and_saveexec_b64 s[58:59], vcc
	s_cbranch_execz .LBB4_222
; %bb.217:                              ;   in Loop: Header=BB4_81 Depth=1
	s_trap 2
	ds_read_b64 v[4:5], v0
	ds_read_b128 v[32:35], v0
	v_add_u32_e32 v2, v2, v9
	v_ashrrev_i32_e32 v3, 31, v2
	v_mov_b32_e32 v48, v16
	v_mov_b32_e32 v25, v9
	s_waitcnt lgkmcnt(1)
	v_lshl_add_u64 v[46:47], v[4:5], 0, v[2:3]
	s_waitcnt lgkmcnt(0)
	v_lshl_add_u64 v[40:41], v[32:33], 0, v[2:3]
	v_lshl_add_u64 v[52:53], v[34:35], 0, v[2:3]
	s_mov_b64 s[60:61], 0
.LBB4_218:                              ;   Parent Loop BB4_81 Depth=1
                                        ; =>  This Loop Header: Depth=2
                                        ;       Child Loop BB4_219 Depth 3
	global_load_dwordx4 v[2:5], v[46:47], off nt
	s_mov_b64 s[64:65], -1
	s_mov_b64 s[62:63], 0
	s_waitcnt vmcnt(0)
.LBB4_219:                              ;   Parent Loop BB4_81 Depth=1
                                        ;     Parent Loop BB4_218 Depth=2
                                        ; =>    This Inner Loop Header: Depth=3
	s_cmp_eq_u32 s62, 0
	s_cselect_b64 s[28:29], -1, 0
	s_cmp_eq_u32 s62, 1
	s_cselect_b64 s[30:31], -1, 0
	v_cndmask_b32_e64 v9, 0, 1, s[64:65]
	v_cndmask_b32_e64 v17, v41, v53, s[30:31]
	;; [unrolled: 1-line block ×3, first 2 shown]
	v_cmp_ne_u32_e32 vcc, 1, v9
	global_store_dwordx4 v[16:17], v[2:5], off nt
	v_lshl_add_u64 v[16:17], v[16:17], 0, s[44:45]
	s_mov_b64 s[64:65], 0
	s_mov_b64 s[62:63], 1
	s_and_b64 vcc, exec, vcc
	v_cndmask_b32_e64 v53, v53, v17, s[30:31]
	v_cndmask_b32_e64 v52, v52, v16, s[30:31]
	;; [unrolled: 1-line block ×4, first 2 shown]
	s_cbranch_vccz .LBB4_219
; %bb.220:                              ;   in Loop: Header=BB4_218 Depth=2
	v_sub_u32_e32 v19, v19, v29
	v_cmp_gt_i32_e32 vcc, 16, v19
	v_lshl_add_u64 v[40:41], v[40:41], 0, v[44:45]
	v_lshl_add_u64 v[52:53], v[52:53], 0, v[44:45]
	;; [unrolled: 1-line block ×3, first 2 shown]
	s_or_b64 s[60:61], vcc, s[60:61]
	v_sub_u32_e32 v6, v6, v50
	s_andn2_b64 exec, exec, s[60:61]
	s_cbranch_execnz .LBB4_218
; %bb.221:                              ;   in Loop: Header=BB4_81 Depth=1
	s_or_b64 exec, exec, s[60:61]
	v_accvgpr_read_b32 v33, a23
	v_accvgpr_read_b32 v47, a4
	;; [unrolled: 1-line block ×3, first 2 shown]
	v_mov_b32_e32 v46, 1
	v_mov_b32_e32 v9, v25
	;; [unrolled: 1-line block ×3, first 2 shown]
.LBB4_222:                              ;   in Loop: Header=BB4_81 Depth=1
	s_or_b64 exec, exec, s[58:59]
	v_and_b32_e32 v1, 15, v1
	v_cndmask_b32_e64 v48, v7, v1, s[26:27]
	v_cmp_ne_u32_e32 vcc, 0, v48
	s_mov_b64 s[28:29], 0
	v_mov_b32_e32 v25, 0
                                        ; implicit-def: $vgpr52
                                        ; implicit-def: $vgpr2
	s_and_saveexec_b64 s[30:31], vcc
	s_cbranch_execz .LBB4_224
; %bb.223:                              ;   in Loop: Header=BB4_81 Depth=1
	v_sub_u32_e32 v1, v7, v1
	v_cndmask_b32_e64 v1, 0, v1, s[26:27]
	v_cmp_lt_i32_e32 vcc, 0, v6
	v_add3_u32 v25, v8, v9, v1
	s_mov_b64 s[28:29], exec
	v_cndmask_b32_e32 v1, 0, v50, vcc
	v_sub_u32_e32 v1, v1, v6
	v_lshl_add_u32 v52, v1, 6, v16
	v_ashrrev_i32_e32 v1, 31, v52
	v_lshrrev_b32_e32 v1, 26, v1
	v_add_u32_e32 v1, v52, v1
	v_ashrrev_i32_e32 v2, 6, v1
.LBB4_224:                              ;   in Loop: Header=BB4_81 Depth=1
	s_or_b64 exec, exec, s[30:31]
	s_and_b64 s[28:29], s[28:29], exec
.LBB4_225:                              ;   in Loop: Header=BB4_81 Depth=1
	s_or_b64 exec, exec, s[56:57]
.LBB4_226:                              ;   in Loop: Header=BB4_81 Depth=1
	s_and_saveexec_b64 s[30:31], s[28:29]
	s_cbranch_execz .LBB4_237
; %bb.227:                              ;   in Loop: Header=BB4_81 Depth=1
	v_ashrrev_i32_e32 v1, 31, v48
	v_lshrrev_b32_e32 v1, 23, v1
	v_add_u32_e32 v1, v48, v1
	v_ashrrev_i32_e32 v8, 9, v1
	v_sub_u32_e32 v1, v8, v2
	v_cmp_lt_i32_e32 vcc, 0, v1
	s_and_saveexec_b64 s[26:27], vcc
	s_cbranch_execz .LBB4_231
; %bb.228:                              ;   in Loop: Header=BB4_81 Depth=1
	v_ashrrev_i32_e32 v3, 31, v52
	v_lshrrev_b32_e32 v3, 26, v3
	s_trap 2
	v_add_u32_e32 v3, v52, v3
	ds_read_b64 v[16:17], v0
	ds_read_b128 v[4:7], v0
	v_and_b32_e32 v3, 0xffffffc0, v3
	v_sub_u32_e32 v3, v52, v3
	v_lshlrev_b32_e32 v2, 9, v2
	v_add3_u32 v32, v25, v3, v2
	v_ashrrev_i32_e32 v33, 31, v32
	s_waitcnt lgkmcnt(0)
	v_lshl_add_u64 v[2:3], v[4:5], 0, v[32:33]
	v_lshl_add_u64 v[4:5], v[6:7], 0, v[32:33]
	;; [unrolled: 1-line block ×4, first 2 shown]
	s_mov_b64 s[28:29], 0
.LBB4_229:                              ;   Parent Loop BB4_81 Depth=1
                                        ; =>  This Inner Loop Header: Depth=2
	v_add_co_u32_e32 v6, vcc, 0xfffffe40, v46
	flat_load_ubyte v9, v[46:47] nt
	s_nop 0
	v_addc_co_u32_e32 v7, vcc, -1, v47, vcc
	v_add_co_u32_e32 v16, vcc, 0xfffffe80, v46
	flat_load_ubyte v19, v[6:7] nt
	s_nop 0
	v_addc_co_u32_e32 v17, vcc, -1, v47, vcc
	;; [unrolled: 4-line block ×7, first 2 shown]
	flat_load_ubyte v6, v[6:7] nt
	v_sub_u32_e32 v1, v1, v50
	v_cmp_gt_i32_e32 vcc, 1, v1
	s_or_b64 s[28:29], vcc, s[28:29]
	v_lshl_add_u64 v[46:47], v[46:47], 0, v[56:57]
	s_waitcnt vmcnt(0) lgkmcnt(0)
	flat_store_byte v[2:3], v9 offset:448 nt
	flat_store_byte v[2:3], v19 nt
	flat_store_byte v[2:3], v32 offset:64 nt
	flat_store_byte v[2:3], v33 offset:128 nt
	flat_store_byte v[2:3], v34 offset:192 nt
	flat_store_byte v[2:3], v35 offset:256 nt
	flat_store_byte v[2:3], v16 offset:320 nt
	flat_store_byte v[2:3], v6 offset:384 nt
	flat_store_byte v[4:5], v19 nt
	flat_store_byte v[4:5], v32 offset:64 nt
	flat_store_byte v[4:5], v33 offset:128 nt
	;; [unrolled: 1-line block ×7, first 2 shown]
	v_lshl_add_u64 v[2:3], v[2:3], 0, v[56:57]
	v_lshl_add_u64 v[4:5], v[4:5], 0, v[56:57]
	s_andn2_b64 exec, exec, s[28:29]
	s_cbranch_execnz .LBB4_229
; %bb.230:                              ;   in Loop: Header=BB4_81 Depth=1
	s_or_b64 exec, exec, s[28:29]
	v_accvgpr_read_b32 v33, a23
	v_accvgpr_read_b32 v47, a4
	;; [unrolled: 1-line block ×3, first 2 shown]
	v_mov_b32_e32 v46, 1
.LBB4_231:                              ;   in Loop: Header=BB4_81 Depth=1
	s_or_b64 exec, exec, s[26:27]
	v_lshlrev_b32_e32 v2, 9, v8
	v_cmp_ne_u32_e32 vcc, v48, v2
	s_and_b64 exec, exec, vcc
	s_cbranch_execz .LBB4_237
; %bb.232:                              ;   in Loop: Header=BB4_81 Depth=1
	v_ashrrev_i32_e32 v3, 31, v52
	v_lshrrev_b32_e32 v3, 26, v3
	v_add_u32_e32 v3, v52, v3
	v_and_b32_e32 v3, 0xffffffc0, v3
	v_sub_u32_e32 v3, v52, v3
	v_lshlrev_b32_e32 v1, 6, v1
	v_sub_u32_e32 v1, v3, v1
	v_add_u32_e32 v2, v2, v1
	v_sub_u32_e32 v1, v48, v2
	v_cmp_lt_i32_e32 vcc, 0, v1
	s_and_b64 exec, exec, vcc
	s_cbranch_execz .LBB4_237
; %bb.233:                              ;   in Loop: Header=BB4_81 Depth=1
	s_trap 2
	ds_read_b64 v[8:9], v0
	ds_read_b128 v[4:7], v0
	v_add_u32_e32 v16, v2, v25
	v_ashrrev_i32_e32 v17, 31, v16
	s_mov_b64 s[56:57], 0
	s_waitcnt lgkmcnt(0)
	v_lshl_add_u64 v[2:3], v[8:9], 0, v[16:17]
	v_lshl_add_u64 v[4:5], v[4:5], 0, v[16:17]
	;; [unrolled: 1-line block ×3, first 2 shown]
.LBB4_234:                              ;   Parent Loop BB4_81 Depth=1
                                        ; =>  This Loop Header: Depth=2
                                        ;       Child Loop BB4_235 Depth 3
	flat_load_ubyte v6, v[2:3] nt
	s_mov_b64 s[58:59], -1
	s_mov_b64 s[60:61], 0
	s_waitcnt vmcnt(0)
.LBB4_235:                              ;   Parent Loop BB4_81 Depth=1
                                        ;     Parent Loop BB4_234 Depth=2
                                        ; =>    This Inner Loop Header: Depth=3
	s_cmp_eq_u32 s60, 1
	s_cselect_b64 vcc, -1, 0
	v_cndmask_b32_e32 v9, v5, v53, vcc
	s_cmp_eq_u32 s60, 0
	v_cndmask_b32_e32 v8, v4, v52, vcc
	s_waitcnt lgkmcnt(0)
	flat_store_byte v[8:9], v6 nt
	v_lshl_add_u64 v[8:9], v[8:9], 0, 64
	s_cselect_b64 s[26:27], -1, 0
	s_and_b64 s[28:29], exec, s[58:59]
	s_mov_b64 s[60:61], 1
	s_mov_b64 s[58:59], 0
	v_cndmask_b32_e32 v53, v53, v9, vcc
	v_cndmask_b32_e32 v52, v52, v8, vcc
	v_cndmask_b32_e64 v5, v5, v9, s[26:27]
	v_cndmask_b32_e64 v4, v4, v8, s[26:27]
	s_mov_b64 vcc, s[28:29]
	s_cbranch_vccnz .LBB4_235
; %bb.236:                              ;   in Loop: Header=BB4_234 Depth=2
	v_sub_u32_e32 v1, v1, v11
	v_cmp_gt_i32_e32 vcc, 1, v1
	v_lshl_add_u64 v[4:5], v[4:5], 0, v[42:43]
	v_lshl_add_u64 v[52:53], v[52:53], 0, v[42:43]
	s_or_b64 s[56:57], vcc, s[56:57]
	v_lshl_add_u64 v[2:3], v[58:59], 0, v[2:3]
	s_andn2_b64 exec, exec, s[56:57]
	s_cbranch_execnz .LBB4_234
.LBB4_237:                              ;   in Loop: Header=BB4_81 Depth=1
	s_or_b64 exec, exec, s[30:31]
	s_mov_b64 s[26:27], 0
.LBB4_238:                              ;   in Loop: Header=BB4_81 Depth=1
	s_and_b64 vcc, exec, s[26:27]
	s_cbranch_vccz .LBB4_267
; %bb.239:                              ;   in Loop: Header=BB4_81 Depth=1
	s_mov_b64 s[26:27], -1
	s_and_saveexec_b64 s[28:29], s[14:15]
	s_cbranch_execz .LBB4_241
; %bb.240:                              ;   in Loop: Header=BB4_81 Depth=1
	ds_read_b32 v1, v0 offset:720
	s_waitcnt lgkmcnt(0)
	v_and_b32_e32 v1, 15, v1
	v_cmp_eq_u32_e32 vcc, 0, v1
	s_orn2_b64 s[26:27], vcc, exec
.LBB4_241:                              ;   in Loop: Header=BB4_81 Depth=1
	s_or_b64 exec, exec, s[28:29]
	s_and_saveexec_b64 s[28:29], s[14:15]
	s_cbranch_execz .LBB4_243
; %bb.242:                              ;   in Loop: Header=BB4_81 Depth=1
	ds_read_b32 v1, v0 offset:784
	s_waitcnt lgkmcnt(0)
	v_and_b32_e32 v1, 15, v1
	v_cmp_eq_u32_e32 vcc, 0, v1
	s_and_b64 vcc, s[26:27], vcc
	s_andn2_b64 s[26:27], s[26:27], exec
	s_and_b64 vcc, vcc, exec
	s_or_b64 s[26:27], s[26:27], vcc
.LBB4_243:                              ;   in Loop: Header=BB4_81 Depth=1
	s_or_b64 exec, exec, s[28:29]
	s_xor_b64 s[26:27], s[26:27], -1
	v_cndmask_b32_e64 v1, 0, 1, s[26:27]
	;;#ASMSTART
	;;#ASMEND
	s_mov_b64 s[30:31], -1
	v_cmp_ne_u32_e32 vcc, 0, v1
	v_mov_b32_e32 v1, 0
	v_mov_b32_e32 v8, v18
	;; [unrolled: 1-line block ×3, first 2 shown]
	v_accvgpr_read_b32 v4, a20
	s_cbranch_vccnz .LBB4_257
; %bb.244:                              ;   in Loop: Header=BB4_81 Depth=1
	v_ashrrev_i32_e32 v1, 31, v18
	v_lshrrev_b32_e32 v1, 21, v1
	v_add_u32_e32 v1, v18, v1
	v_ashrrev_i32_e32 v1, 11, v1
	v_accvgpr_read_b32 v2, a20
	v_sub_u32_e32 v16, v1, v2
	v_cmp_lt_i32_e32 vcc, 0, v16
	s_and_saveexec_b64 s[26:27], vcc
	s_cbranch_execz .LBB4_248
; %bb.245:                              ;   in Loop: Header=BB4_81 Depth=1
	s_trap 2
	ds_read_b64 v[2:3], v0
	v_accvgpr_read_b32 v4, a32
	s_mov_b64 s[28:29], 0
	v_accvgpr_read_b32 v5, a33
.LBB4_246:                              ;   Parent Loop BB4_81 Depth=1
                                        ; =>  This Inner Loop Header: Depth=2
	s_waitcnt lgkmcnt(0)
	v_lshl_add_u64 v[52:53], v[2:3], 0, v[4:5]
	global_load_dwordx4 v[32:35], v[52:53], off nt
	global_load_dwordx4 v[6:9], v[52:53], off offset:1024 nt
	v_sub_u32_e32 v16, v16, v50
	v_cmp_gt_i32_e32 vcc, 1, v16
	v_lshl_add_u64 v[4:5], v[4:5], 0, v[60:61]
	s_or_b64 s[28:29], vcc, s[28:29]
	s_waitcnt vmcnt(0)
	global_store_dwordx4 v[52:53], v[32:35], off nt
	global_store_dwordx4 v[52:53], v[6:9], off offset:1024 nt
	s_andn2_b64 exec, exec, s[28:29]
	s_cbranch_execnz .LBB4_246
; %bb.247:                              ;   in Loop: Header=BB4_81 Depth=1
	s_or_b64 exec, exec, s[28:29]
	v_accvgpr_read_b32 v33, a23
	v_accvgpr_read_b32 v32, a22
.LBB4_248:                              ;   in Loop: Header=BB4_81 Depth=1
	s_or_b64 exec, exec, s[26:27]
	v_lshlrev_b32_e32 v7, 11, v1
	v_cmp_ne_u32_e32 vcc, v18, v7
	s_mov_b64 s[30:31], 0
	v_mov_b32_e32 v1, 0
                                        ; implicit-def: $vgpr8
                                        ; implicit-def: $vgpr6
                                        ; implicit-def: $vgpr4
	s_and_saveexec_b64 s[28:29], vcc
	s_cbranch_execz .LBB4_256
; %bb.249:                              ;   in Loop: Header=BB4_81 Depth=1
	v_lshlrev_b32_e32 v1, 6, v16
	v_accvgpr_read_b32 v3, a30
	v_sub_u32_e32 v1, v3, v1
	v_ashrrev_i32_e32 v3, 31, v1
	v_lshrrev_b32_e32 v3, 26, v3
	v_add_u32_e32 v3, v1, v3
	v_sub_u32_e32 v2, v18, v7
	v_ashrrev_i32_e32 v5, 6, v3
	v_and_b32_e32 v3, 0xffffffc0, v3
	v_sub_u32_e32 v16, v1, v3
	v_ashrrev_i32_e32 v3, 31, v2
	v_lshrrev_b32_e32 v3, 22, v3
	v_add_u32_e32 v3, v2, v3
	v_and_b32_e32 v17, 0xfffffc00, v3
	v_lshlrev_b32_e32 v1, 4, v16
	v_sub_u32_e32 v25, v2, v17
	v_lshl_add_u32 v4, v5, 10, v1
	v_ashrrev_i32_e32 v6, 10, v3
	v_cmp_lt_i32_e32 vcc, 15, v25
	v_sub_u32_e32 v1, v2, v4
	s_nop 0
	v_addc_co_u32_e64 v2, s[26:27], 0, v6, vcc
	v_sub_u32_e32 v19, v2, v5
	v_cmp_lt_i32_e64 s[26:27], 15, v1
	s_and_saveexec_b64 s[30:31], s[26:27]
	s_cbranch_execz .LBB4_253
; %bb.250:                              ;   in Loop: Header=BB4_81 Depth=1
	s_trap 2
	ds_read_b64 v[2:3], v0
	v_add_u32_e32 v4, v4, v7
	v_ashrrev_i32_e32 v5, 31, v4
	s_mov_b64 s[56:57], 0
.LBB4_251:                              ;   Parent Loop BB4_81 Depth=1
                                        ; =>  This Inner Loop Header: Depth=2
	s_waitcnt lgkmcnt(0)
	v_lshl_add_u64 v[8:9], v[2:3], 0, v[4:5]
	global_load_dwordx4 v[32:35], v[8:9], off nt
	v_sub_u32_e32 v1, v1, v29
	v_cmp_gt_i32_e64 s[26:27], 16, v1
	v_sub_u32_e32 v19, v19, v50
	v_lshl_add_u64 v[4:5], v[4:5], 0, v[22:23]
	s_or_b64 s[56:57], s[26:27], s[56:57]
	s_waitcnt vmcnt(0)
	global_store_dwordx4 v[8:9], v[32:35], off nt
	s_andn2_b64 exec, exec, s[56:57]
	s_cbranch_execnz .LBB4_251
; %bb.252:                              ;   in Loop: Header=BB4_81 Depth=1
	s_or_b64 exec, exec, s[56:57]
	v_accvgpr_read_b32 v33, a23
	v_accvgpr_read_b32 v32, a22
.LBB4_253:                              ;   in Loop: Header=BB4_81 Depth=1
	s_or_b64 exec, exec, s[30:31]
	v_and_b32_e32 v2, 15, v18
	v_cndmask_b32_e32 v8, v25, v2, vcc
	v_cmp_ne_u32_e64 s[26:27], 0, v8
	s_mov_b64 s[30:31], 0
	v_mov_b32_e32 v1, 0
                                        ; implicit-def: $vgpr6
                                        ; implicit-def: $vgpr4
	s_and_saveexec_b64 s[56:57], s[26:27]
	s_cbranch_execz .LBB4_255
; %bb.254:                              ;   in Loop: Header=BB4_81 Depth=1
	v_sub_u32_e32 v1, v25, v2
	v_cndmask_b32_e32 v1, 0, v1, vcc
	v_cmp_lt_i32_e32 vcc, 0, v19
	s_mov_b64 s[30:31], exec
	v_add3_u32 v1, v17, v7, v1
	v_cndmask_b32_e32 v2, 0, v50, vcc
	v_sub_u32_e32 v2, v2, v19
	v_lshl_add_u32 v6, v2, 6, v16
	v_ashrrev_i32_e32 v2, 31, v6
	v_lshrrev_b32_e32 v2, 26, v2
	v_add_u32_e32 v2, v6, v2
	v_ashrrev_i32_e32 v4, 6, v2
.LBB4_255:                              ;   in Loop: Header=BB4_81 Depth=1
	s_or_b64 exec, exec, s[56:57]
	s_and_b64 s[30:31], s[30:31], exec
.LBB4_256:                              ;   in Loop: Header=BB4_81 Depth=1
	s_or_b64 exec, exec, s[28:29]
.LBB4_257:                              ;   in Loop: Header=BB4_81 Depth=1
	s_and_saveexec_b64 s[26:27], s[30:31]
	s_cbranch_execz .LBB4_266
; %bb.258:                              ;   in Loop: Header=BB4_81 Depth=1
	v_ashrrev_i32_e32 v2, 31, v8
	v_lshrrev_b32_e32 v2, 23, v2
	v_add_u32_e32 v2, v8, v2
	v_ashrrev_i32_e32 v16, 9, v2
	v_sub_u32_e32 v7, v16, v4
	v_cmp_lt_i32_e32 vcc, 0, v7
	s_and_saveexec_b64 s[28:29], vcc
	s_cbranch_execz .LBB4_262
; %bb.259:                              ;   in Loop: Header=BB4_81 Depth=1
	v_ashrrev_i32_e32 v5, 31, v6
	s_trap 2
	ds_read_b64 v[2:3], v0
	v_lshrrev_b32_e32 v5, 26, v5
	v_add_u32_e32 v5, v6, v5
	v_and_b32_e32 v5, 0xffffffc0, v5
	v_sub_u32_e32 v5, v6, v5
	v_lshlrev_b32_e32 v4, 9, v4
	v_add3_u32 v4, v1, v5, v4
	v_ashrrev_i32_e32 v5, 31, v4
	s_mov_b64 s[30:31], 0
	s_waitcnt lgkmcnt(0)
	v_mov_b64_e32 v[52:53], v[2:3]
.LBB4_260:                              ;   Parent Loop BB4_81 Depth=1
                                        ; =>  This Inner Loop Header: Depth=2
	v_lshl_add_u64 v[32:33], v[4:5], 0, v[52:53]
	flat_load_ubyte v9, v[32:33] nt
	flat_load_ubyte v17, v[32:33] offset:64 nt
	flat_load_ubyte v19, v[32:33] offset:128 nt
	;; [unrolled: 1-line block ×7, first 2 shown]
	v_sub_u32_e32 v7, v7, v50
	v_cmp_gt_i32_e32 vcc, 1, v7
	v_lshl_add_u64 v[32:33], v[4:5], 0, v[2:3]
	v_lshl_add_u64 v[52:53], v[52:53], 0, v[56:57]
	;; [unrolled: 1-line block ×3, first 2 shown]
	s_or_b64 s[30:31], vcc, s[30:31]
	s_waitcnt vmcnt(0) lgkmcnt(0)
	flat_store_byte v[32:33], v9 nt
	flat_store_byte v[32:33], v17 offset:64 nt
	flat_store_byte v[32:33], v19 offset:128 nt
	;; [unrolled: 1-line block ×7, first 2 shown]
	s_andn2_b64 exec, exec, s[30:31]
	s_cbranch_execnz .LBB4_260
; %bb.261:                              ;   in Loop: Header=BB4_81 Depth=1
	s_or_b64 exec, exec, s[30:31]
	v_accvgpr_read_b32 v33, a23
	v_accvgpr_read_b32 v32, a22
.LBB4_262:                              ;   in Loop: Header=BB4_81 Depth=1
	s_or_b64 exec, exec, s[28:29]
	v_lshlrev_b32_e32 v2, 9, v16
	v_cmp_ne_u32_e32 vcc, v8, v2
	s_and_b64 exec, exec, vcc
	s_cbranch_execz .LBB4_266
; %bb.263:                              ;   in Loop: Header=BB4_81 Depth=1
	v_ashrrev_i32_e32 v3, 31, v6
	v_lshrrev_b32_e32 v3, 26, v3
	v_add_u32_e32 v3, v6, v3
	v_and_b32_e32 v3, 0xffffffc0, v3
	v_sub_u32_e32 v3, v6, v3
	v_lshlrev_b32_e32 v4, 6, v7
	v_sub_u32_e32 v3, v3, v4
	v_add_u32_e32 v4, v2, v3
	v_sub_u32_e32 v6, v8, v4
	v_cmp_lt_i32_e32 vcc, 0, v6
	s_and_b64 exec, exec, vcc
	s_cbranch_execz .LBB4_266
; %bb.264:                              ;   in Loop: Header=BB4_81 Depth=1
	s_trap 2
	ds_read_b64 v[2:3], v0
	v_add_u32_e32 v4, v4, v1
	v_ashrrev_i32_e32 v5, 31, v4
	s_mov_b64 s[28:29], 0
.LBB4_265:                              ;   Parent Loop BB4_81 Depth=1
                                        ; =>  This Inner Loop Header: Depth=2
	s_waitcnt lgkmcnt(0)
	v_lshl_add_u64 v[8:9], v[2:3], 0, v[4:5]
	flat_load_ubyte v1, v[8:9] nt
	v_sub_u32_e32 v6, v6, v11
	v_cmp_gt_i32_e32 vcc, 1, v6
	v_lshl_add_u64 v[4:5], v[4:5], 0, v[58:59]
	s_or_b64 s[28:29], vcc, s[28:29]
	s_waitcnt vmcnt(0) lgkmcnt(0)
	flat_store_byte v[8:9], v1 nt
	s_andn2_b64 exec, exec, s[28:29]
	s_cbranch_execnz .LBB4_265
.LBB4_266:                              ;   in Loop: Header=BB4_81 Depth=1
	s_or_b64 exec, exec, s[26:27]
.LBB4_267:                              ;   in Loop: Header=BB4_81 Depth=1
	v_cmp_lt_i32_e64 s[26:27], 0, v18
	v_accvgpr_read_b32 v19, a7
	v_accvgpr_read_b32 v18, a6
.LBB4_268:                              ;   in Loop: Header=BB4_81 Depth=1
	s_and_saveexec_b64 s[28:29], s[4:5]
	s_cbranch_execz .LBB4_335
; %bb.269:                              ;   in Loop: Header=BB4_81 Depth=1
	s_and_saveexec_b64 vcc, s[42:43]
	s_xor_b64 s[30:31], exec, vcc
	s_cbranch_execz .LBB4_332
; %bb.270:                              ;   in Loop: Header=BB4_81 Depth=1
	s_and_saveexec_b64 s[56:57], s[12:13]
	s_cbranch_execz .LBB4_331
; %bb.271:                              ;   in Loop: Header=BB4_81 Depth=1
	s_mov_b64 s[60:61], exec
	v_mbcnt_lo_u32_b32 v1, s60, 0
	v_mbcnt_hi_u32_b32 v1, s61, v1
	v_cmp_eq_u32_e32 vcc, 0, v1
	s_waitcnt lgkmcnt(0)
	s_and_saveexec_b64 s[58:59], vcc
	s_cbranch_execz .LBB4_273
; %bb.272:                              ;   in Loop: Header=BB4_81 Depth=1
	s_bcnt1_i32_b64 vcc_lo, s[60:61]
	v_mov_b32_e32 v48, vcc_lo
	ds_add_u64 v0, v[48:49]
	s_trap 2
.LBB4_273:                              ;   in Loop: Header=BB4_81 Depth=1
	s_or_b64 exec, exec, s[58:59]
	s_trap 2
	ds_read_b64 v[2:3], v0
	v_lshl_add_u64 v[14:15], v[14:15], 0, v[50:51]
	s_waitcnt lgkmcnt(0)
	v_cmp_lt_u64_e32 vcc, v[2:3], v[14:15]
	s_and_saveexec_b64 s[58:59], vcc
	s_cbranch_execz .LBB4_330
; %bb.274:                              ;   in Loop: Header=BB4_81 Depth=1
	s_mov_b32 s70, 0
	s_mov_b64 s[60:61], 0
                                        ; implicit-def: $sgpr62_sgpr63
                                        ; implicit-def: $sgpr64_sgpr65
	s_branch .LBB4_276
.LBB4_275:                              ;   in Loop: Header=BB4_276 Depth=2
	s_or_b64 exec, exec, s[68:69]
	s_and_b64 vcc, exec, vcc
	s_or_b64 s[60:61], vcc, s[60:61]
	s_andn2_b64 vcc, s[62:63], exec
	s_and_b64 s[62:63], s[64:65], exec
	s_or_b64 s[62:63], vcc, s[62:63]
	s_andn2_b64 exec, exec, s[60:61]
	s_cbranch_execz .LBB4_328
.LBB4_276:                              ;   Parent Loop BB4_81 Depth=1
                                        ; =>  This Inner Loop Header: Depth=2
	s_add_i32 s70, s70, 1
	s_cmpk_lg_i32 s70, 0x2710
	s_cselect_b64 s[66:67], -1, 0
	s_and_b64 vcc, exec, s[66:67]
                                        ; implicit-def: $sgpr68_sgpr69
	s_cbranch_vccnz .LBB4_278
; %bb.277:                              ;   in Loop: Header=BB4_276 Depth=2
	s_trap 2
	ds_read_b64 v[2:3], v0
	s_andn2_b64 s[66:67], s[66:67], exec
	s_mov_b32 s70, 0
	s_mov_b64 s[68:69], -1
	s_waitcnt vmcnt(0) lgkmcnt(0)
	flat_load_dword v1, v[2:3] sc0 sc1
	s_waitcnt vmcnt(0) lgkmcnt(0)
	buffer_inv sc0 sc1
	v_cmp_eq_u32_e32 vcc, 0, v1
	s_and_b64 vcc, vcc, exec
	s_or_b64 s[66:67], s[66:67], vcc
.LBB4_278:                              ;   in Loop: Header=BB4_276 Depth=2
	s_andn2_b64 s[64:65], s[64:65], exec
	s_and_b64 s[68:69], s[68:69], exec
	s_mov_b64 vcc, -1
	s_or_b64 s[64:65], s[64:65], s[68:69]
	s_and_saveexec_b64 s[68:69], s[66:67]
	s_cbranch_execz .LBB4_275
; %bb.279:                              ;   in Loop: Header=BB4_276 Depth=2
	s_sleep 1
	s_trap 2
	ds_read_b64 v[2:3], v0
	s_andn2_b64 s[64:65], s[64:65], exec
	s_waitcnt lgkmcnt(0)
	v_cmp_ge_u64_e32 vcc, v[2:3], v[14:15]
	s_orn2_b64 vcc, vcc, exec
	s_branch .LBB4_275
.LBB4_280:                              ;   in Loop: Header=BB4_81 Depth=1
	s_or_b64 exec, exec, s[62:63]
	s_and_saveexec_b64 vcc, s[64:65]
	s_xor_b64 vcc, exec, vcc
	s_cbranch_execz .LBB4_282
; %bb.281:                              ;   in Loop: Header=BB4_81 Depth=1
	ds_write_b32 v0, v46
	s_trap 2
.LBB4_282:                              ;   in Loop: Header=BB4_81 Depth=1
	s_or_b64 exec, exec, s[60:61]
	;;#ASMSTART
	s_wakeup
	;;#ASMEND
.LBB4_283:                              ;   in Loop: Header=BB4_81 Depth=1
	s_or_b64 exec, exec, s[58:59]
.LBB4_284:                              ;   in Loop: Header=BB4_81 Depth=1
	s_andn2_saveexec_b64 vcc, s[56:57]
	s_cbranch_execz .LBB4_286
; %bb.285:                              ;   in Loop: Header=BB4_81 Depth=1
	s_waitcnt lgkmcnt(0)
	s_barrier
.LBB4_286:                              ;   in Loop: Header=BB4_81 Depth=1
	s_or_b64 exec, exec, vcc
.LBB4_287:                              ;   in Loop: Header=BB4_81 Depth=1
	s_or_b64 exec, exec, s[26:27]
	s_trap 2
	ds_read_b64 v[4:5], v0
	s_waitcnt lgkmcnt(0)
	v_readfirstlane_b32 s26, v4
	v_readfirstlane_b32 s27, v5
	s_cmp_eq_u64 s[26:27], 0
	s_cselect_b64 s[26:27], -1, 0
	s_or_b64 vcc, s[26:27], s[26:27]
	s_mov_b64 s[26:27], 0
	s_and_b64 vcc, exec, vcc
	s_cbranch_vccnz .LBB4_316
; %bb.288:                              ;   in Loop: Header=BB4_81 Depth=1
	s_mov_b64 s[26:27], -1
	s_and_saveexec_b64 s[56:57], s[14:15]
	s_cbranch_execz .LBB4_290
; %bb.289:                              ;   in Loop: Header=BB4_81 Depth=1
	ds_read_b32 v1, v0 offset:720
	s_waitcnt lgkmcnt(0)
	v_and_b32_e32 v1, 15, v1
	v_cmp_eq_u32_e32 vcc, 0, v1
	s_orn2_b64 s[26:27], vcc, exec
.LBB4_290:                              ;   in Loop: Header=BB4_81 Depth=1
	s_or_b64 exec, exec, s[56:57]
	s_and_saveexec_b64 s[56:57], s[18:19]
	s_cbranch_execz .LBB4_292
; %bb.291:                              ;   in Loop: Header=BB4_81 Depth=1
	ds_read_b32 v1, v0 offset:784
	s_waitcnt lgkmcnt(0)
	v_and_b32_e32 v1, 15, v1
	v_cmp_eq_u32_e32 vcc, 0, v1
	s_and_b64 vcc, s[26:27], vcc
	s_andn2_b64 s[26:27], s[26:27], exec
	s_and_b64 vcc, vcc, exec
	s_or_b64 s[26:27], s[26:27], vcc
.LBB4_292:                              ;   in Loop: Header=BB4_81 Depth=1
	s_or_b64 exec, exec, s[56:57]
	s_xor_b64 s[26:27], s[26:27], -1
	v_cmp_eq_u32_e32 vcc, 0, v3
	v_cndmask_b32_e64 v1, 0, 1, s[26:27]
	;;#ASMSTART
	;;#ASMEND
	v_mov_b32_e32 v9, 0
	v_cndmask_b32_e32 v3, 0, v2, vcc
	s_mov_b64 s[58:59], -1
	v_cmp_ne_u32_e32 vcc, 0, v1
	v_mov_b32_e32 v1, v3
	v_mov_b32_e32 v6, v47
	v_accvgpr_read_b32 v16, a20
	s_cbranch_vccz .LBB4_294
; %bb.293:                              ;   in Loop: Header=BB4_81 Depth=1
	s_and_saveexec_b64 s[26:27], s[58:59]
	s_cbranch_execnz .LBB4_307
	s_branch .LBB4_315
.LBB4_294:                              ;   in Loop: Header=BB4_81 Depth=1
	v_ashrrev_i32_e32 v1, 31, v3
	v_lshrrev_b32_e32 v1, 21, v1
	v_add_u32_e32 v1, v3, v1
	v_ashrrev_i32_e32 v1, 11, v1
	v_accvgpr_read_b32 v4, a20
	v_sub_u32_e32 v8, v1, v4
	v_cmp_lt_i32_e32 vcc, 0, v8
	s_and_saveexec_b64 s[26:27], vcc
	s_cbranch_execz .LBB4_298
; %bb.295:                              ;   in Loop: Header=BB4_81 Depth=1
	s_trap 2
	ds_read_b64 v[4:5], v0
	v_accvgpr_read_b32 v24, a32
	s_mov_b64 s[56:57], 0
	v_accvgpr_read_b32 v25, a33
.LBB4_296:                              ;   Parent Loop BB4_81 Depth=1
                                        ; =>  This Inner Loop Header: Depth=2
	s_waitcnt lgkmcnt(0)
	v_lshl_add_u64 v[6:7], v[4:5], 0, v[24:25]
	global_load_dwordx4 v[32:35], v[6:7], off nt
	global_load_dwordx4 v[16:19], v[6:7], off offset:1024 nt
	v_sub_u32_e32 v8, v8, v50
	v_cmp_gt_i32_e32 vcc, 1, v8
	v_lshl_add_u64 v[24:25], v[24:25], 0, v[60:61]
	s_or_b64 s[56:57], vcc, s[56:57]
	s_waitcnt vmcnt(0)
	global_store_dwordx4 v[6:7], v[32:35], off nt
	global_store_dwordx4 v[6:7], v[16:19], off offset:1024 nt
	s_andn2_b64 exec, exec, s[56:57]
	s_cbranch_execnz .LBB4_296
; %bb.297:                              ;   in Loop: Header=BB4_81 Depth=1
	s_or_b64 exec, exec, s[56:57]
	v_accvgpr_read_b32 v19, a7
	v_accvgpr_read_b32 v33, a23
	;; [unrolled: 1-line block ×4, first 2 shown]
.LBB4_298:                              ;   in Loop: Header=BB4_81 Depth=1
	s_or_b64 exec, exec, s[26:27]
	v_lshlrev_b32_e32 v7, 11, v1
	v_cmp_ne_u32_e32 vcc, v3, v7
	s_mov_b64 s[58:59], 0
	v_mov_b32_e32 v9, 0
                                        ; implicit-def: $vgpr1
                                        ; implicit-def: $vgpr6
                                        ; implicit-def: $vgpr16
	s_and_saveexec_b64 s[56:57], vcc
	s_cbranch_execz .LBB4_306
; %bb.299:                              ;   in Loop: Header=BB4_81 Depth=1
	v_lshlrev_b32_e32 v1, 6, v8
	v_accvgpr_read_b32 v5, a30
	v_sub_u32_e32 v1, v5, v1
	v_ashrrev_i32_e32 v5, 31, v1
	v_lshrrev_b32_e32 v5, 26, v5
	v_add_u32_e32 v5, v1, v5
	v_sub_u32_e32 v4, v3, v7
	v_ashrrev_i32_e32 v9, 6, v5
	v_and_b32_e32 v5, 0xffffffc0, v5
	v_sub_u32_e32 v8, v1, v5
	v_ashrrev_i32_e32 v5, 31, v4
	v_lshrrev_b32_e32 v5, 22, v5
	v_add_u32_e32 v5, v4, v5
	v_and_b32_e32 v17, 0xfffffc00, v5
	v_lshlrev_b32_e32 v1, 4, v8
	v_sub_u32_e32 v48, v4, v17
	v_lshl_add_u32 v6, v9, 10, v1
	v_ashrrev_i32_e32 v16, 10, v5
	v_cmp_lt_i32_e32 vcc, 15, v48
	v_sub_u32_e32 v1, v4, v6
	s_nop 0
	v_addc_co_u32_e64 v4, s[26:27], 0, v16, vcc
	v_sub_u32_e32 v19, v4, v9
	v_cmp_lt_i32_e64 s[26:27], 15, v1
	s_and_saveexec_b64 s[58:59], s[26:27]
	s_cbranch_execz .LBB4_303
; %bb.300:                              ;   in Loop: Header=BB4_81 Depth=1
	s_trap 2
	ds_read_b64 v[4:5], v0
	v_add_u32_e32 v24, v6, v7
	v_ashrrev_i32_e32 v25, 31, v24
	s_mov_b64 s[60:61], 0
.LBB4_301:                              ;   Parent Loop BB4_81 Depth=1
                                        ; =>  This Inner Loop Header: Depth=2
	s_waitcnt lgkmcnt(0)
	v_lshl_add_u64 v[52:53], v[4:5], 0, v[24:25]
	global_load_dwordx4 v[32:35], v[52:53], off nt
	v_sub_u32_e32 v1, v1, v29
	v_cmp_gt_i32_e64 s[26:27], 16, v1
	v_sub_u32_e32 v19, v19, v50
	v_lshl_add_u64 v[24:25], v[24:25], 0, v[22:23]
	s_or_b64 s[60:61], s[26:27], s[60:61]
	s_waitcnt vmcnt(0)
	global_store_dwordx4 v[52:53], v[32:35], off nt
	s_andn2_b64 exec, exec, s[60:61]
	s_cbranch_execnz .LBB4_301
; %bb.302:                              ;   in Loop: Header=BB4_81 Depth=1
	s_or_b64 exec, exec, s[60:61]
	v_accvgpr_read_b32 v33, a23
	v_accvgpr_read_b32 v32, a22
.LBB4_303:                              ;   in Loop: Header=BB4_81 Depth=1
	s_or_b64 exec, exec, s[58:59]
	v_and_b32_e32 v4, 15, v3
	v_cndmask_b32_e32 v1, v48, v4, vcc
	v_cmp_ne_u32_e64 s[26:27], 0, v1
	s_mov_b64 s[58:59], 0
	v_mov_b32_e32 v9, 0
                                        ; implicit-def: $vgpr6
                                        ; implicit-def: $vgpr16
	s_and_saveexec_b64 s[60:61], s[26:27]
	s_cbranch_execz .LBB4_305
; %bb.304:                              ;   in Loop: Header=BB4_81 Depth=1
	v_sub_u32_e32 v4, v48, v4
	v_cndmask_b32_e32 v4, 0, v4, vcc
	v_cmp_lt_i32_e32 vcc, 0, v19
	v_add3_u32 v9, v17, v7, v4
	s_mov_b64 s[58:59], exec
	v_cndmask_b32_e32 v4, 0, v50, vcc
	v_sub_u32_e32 v4, v4, v19
	v_lshl_add_u32 v6, v4, 6, v8
	v_ashrrev_i32_e32 v4, 31, v6
	v_lshrrev_b32_e32 v4, 26, v4
	v_add_u32_e32 v4, v6, v4
	v_ashrrev_i32_e32 v16, 6, v4
.LBB4_305:                              ;   in Loop: Header=BB4_81 Depth=1
	s_or_b64 exec, exec, s[60:61]
	v_accvgpr_read_b32 v19, a7
	s_and_b64 s[58:59], s[58:59], exec
	v_accvgpr_read_b32 v18, a6
.LBB4_306:                              ;   in Loop: Header=BB4_81 Depth=1
	s_or_b64 exec, exec, s[56:57]
	s_and_saveexec_b64 s[26:27], s[58:59]
	s_cbranch_execz .LBB4_315
.LBB4_307:                              ;   in Loop: Header=BB4_81 Depth=1
	v_ashrrev_i32_e32 v4, 31, v1
	v_lshrrev_b32_e32 v4, 23, v4
	v_add_u32_e32 v4, v1, v4
	v_ashrrev_i32_e32 v17, 9, v4
	v_sub_u32_e32 v7, v17, v16
	v_ashrrev_i32_e32 v4, 31, v6
	v_cmp_lt_i32_e32 vcc, 0, v7
	v_lshrrev_b32_e32 v8, 26, v4
	s_and_saveexec_b64 s[56:57], vcc
	s_cbranch_execz .LBB4_311
; %bb.308:                              ;   in Loop: Header=BB4_81 Depth=1
	s_trap 2
	ds_read_b64 v[4:5], v0
	v_add_u32_e32 v18, v6, v8
	v_and_b32_e32 v18, 0xffffffc0, v18
	v_sub_u32_e32 v18, v6, v18
	v_lshlrev_b32_e32 v16, 9, v16
	v_add3_u32 v24, v9, v18, v16
	v_ashrrev_i32_e32 v25, 31, v24
	s_mov_b64 s[58:59], 0
	s_waitcnt lgkmcnt(0)
	v_mov_b64_e32 v[52:53], v[4:5]
.LBB4_309:                              ;   Parent Loop BB4_81 Depth=1
                                        ; =>  This Inner Loop Header: Depth=2
	v_lshl_add_u64 v[18:19], v[24:25], 0, v[52:53]
	flat_load_ubyte v16, v[18:19] nt
	flat_load_ubyte v32, v[18:19] offset:64 nt
	flat_load_ubyte v33, v[18:19] offset:128 nt
	flat_load_ubyte v34, v[18:19] offset:192 nt
	flat_load_ubyte v35, v[18:19] offset:256 nt
	flat_load_ubyte v48, v[18:19] offset:320 nt
	flat_load_ubyte v40, v[18:19] offset:384 nt
	flat_load_ubyte v41, v[18:19] offset:448 nt
	v_sub_u32_e32 v7, v7, v50
	v_cmp_gt_i32_e32 vcc, 1, v7
	v_lshl_add_u64 v[18:19], v[24:25], 0, v[4:5]
	v_lshl_add_u64 v[52:53], v[52:53], 0, v[56:57]
	;; [unrolled: 1-line block ×3, first 2 shown]
	s_or_b64 s[58:59], vcc, s[58:59]
	s_waitcnt vmcnt(0) lgkmcnt(0)
	flat_store_byte v[18:19], v16 nt
	flat_store_byte v[18:19], v32 offset:64 nt
	flat_store_byte v[18:19], v33 offset:128 nt
	;; [unrolled: 1-line block ×7, first 2 shown]
	s_andn2_b64 exec, exec, s[58:59]
	s_cbranch_execnz .LBB4_309
; %bb.310:                              ;   in Loop: Header=BB4_81 Depth=1
	s_or_b64 exec, exec, s[58:59]
	v_accvgpr_read_b32 v19, a7
	v_accvgpr_read_b32 v33, a23
	v_accvgpr_read_b32 v18, a6
	v_accvgpr_read_b32 v32, a22
.LBB4_311:                              ;   in Loop: Header=BB4_81 Depth=1
	s_or_b64 exec, exec, s[56:57]
	v_lshlrev_b32_e32 v4, 9, v17
	v_cmp_ne_u32_e32 vcc, v1, v4
	s_and_b64 exec, exec, vcc
	s_cbranch_execz .LBB4_315
; %bb.312:                              ;   in Loop: Header=BB4_81 Depth=1
	v_add_u32_e32 v5, v6, v8
	v_and_b32_e32 v5, 0xffffffc0, v5
	v_sub_u32_e32 v5, v6, v5
	v_lshlrev_b32_e32 v6, 6, v7
	v_sub_u32_e32 v5, v5, v6
	v_add_u32_e32 v6, v4, v5
	v_sub_u32_e32 v1, v1, v6
	v_cmp_lt_i32_e32 vcc, 0, v1
	s_and_b64 exec, exec, vcc
	s_cbranch_execz .LBB4_315
; %bb.313:                              ;   in Loop: Header=BB4_81 Depth=1
	s_trap 2
	ds_read_b64 v[4:5], v0
	v_add_u32_e32 v24, v6, v9
	v_ashrrev_i32_e32 v25, 31, v24
	s_mov_b64 s[56:57], 0
.LBB4_314:                              ;   Parent Loop BB4_81 Depth=1
                                        ; =>  This Inner Loop Header: Depth=2
	s_waitcnt lgkmcnt(0)
	v_lshl_add_u64 v[6:7], v[4:5], 0, v[24:25]
	flat_load_ubyte v8, v[6:7] nt
	v_sub_u32_e32 v1, v1, v11
	v_cmp_gt_i32_e32 vcc, 1, v1
	v_lshl_add_u64 v[24:25], v[24:25], 0, v[58:59]
	s_or_b64 s[56:57], vcc, s[56:57]
	s_waitcnt vmcnt(0) lgkmcnt(0)
	flat_store_byte v[6:7], v8 nt
	s_andn2_b64 exec, exec, s[56:57]
	s_cbranch_execnz .LBB4_314
.LBB4_315:                              ;   in Loop: Header=BB4_81 Depth=1
	s_or_b64 exec, exec, s[26:27]
	v_cmp_lt_i32_e64 s[26:27], 0, v3
.LBB4_316:                              ;   in Loop: Header=BB4_81 Depth=1
	s_and_saveexec_b64 s[56:57], s[4:5]
	s_cbranch_execz .LBB4_359
; %bb.317:                              ;   in Loop: Header=BB4_81 Depth=1
	s_and_saveexec_b64 vcc, s[42:43]
	s_xor_b64 s[58:59], exec, vcc
	s_cbranch_execz .LBB4_356
; %bb.318:                              ;   in Loop: Header=BB4_81 Depth=1
	s_and_saveexec_b64 s[60:61], s[12:13]
	s_cbranch_execz .LBB4_355
; %bb.319:                              ;   in Loop: Header=BB4_81 Depth=1
	s_mov_b64 s[64:65], exec
	v_mbcnt_lo_u32_b32 v1, s64, 0
	v_mbcnt_hi_u32_b32 v1, s65, v1
	v_cmp_eq_u32_e32 vcc, 0, v1
	s_waitcnt lgkmcnt(0)
	s_and_saveexec_b64 s[62:63], vcc
	s_cbranch_execz .LBB4_321
; %bb.320:                              ;   in Loop: Header=BB4_81 Depth=1
	s_bcnt1_i32_b64 vcc_lo, s[64:65]
	v_mov_b32_e32 v48, vcc_lo
	ds_add_u64 v0, v[48:49]
	s_trap 2
.LBB4_321:                              ;   in Loop: Header=BB4_81 Depth=1
	s_or_b64 exec, exec, s[62:63]
	s_trap 2
	ds_read_b64 v[4:5], v0
	v_lshl_add_u64 v[14:15], v[14:15], 0, v[50:51]
	s_waitcnt lgkmcnt(0)
	v_cmp_lt_u64_e32 vcc, v[4:5], v[14:15]
	s_and_saveexec_b64 s[62:63], vcc
	s_cbranch_execz .LBB4_354
; %bb.322:                              ;   in Loop: Header=BB4_81 Depth=1
	s_mov_b32 s80, 0
	s_mov_b64 s[64:65], 0
                                        ; implicit-def: $sgpr66_sgpr67
                                        ; implicit-def: $sgpr68_sgpr69
	s_branch .LBB4_324
.LBB4_323:                              ;   in Loop: Header=BB4_324 Depth=2
	s_or_b64 exec, exec, s[72:73]
	s_and_b64 vcc, exec, vcc
	s_or_b64 s[64:65], vcc, s[64:65]
	s_andn2_b64 vcc, s[66:67], exec
	s_and_b64 s[66:67], s[68:69], exec
	s_or_b64 s[66:67], vcc, s[66:67]
	s_andn2_b64 exec, exec, s[64:65]
	s_cbranch_execz .LBB4_352
.LBB4_324:                              ;   Parent Loop BB4_81 Depth=1
                                        ; =>  This Inner Loop Header: Depth=2
	s_add_i32 s80, s80, 1
	s_cmpk_lg_i32 s80, 0x2710
	s_cselect_b64 s[70:71], -1, 0
	s_and_b64 vcc, exec, s[70:71]
                                        ; implicit-def: $sgpr72_sgpr73
	s_cbranch_vccnz .LBB4_326
; %bb.325:                              ;   in Loop: Header=BB4_324 Depth=2
	s_trap 2
	ds_read_b64 v[4:5], v0
	s_andn2_b64 s[70:71], s[70:71], exec
	s_mov_b32 s80, 0
	s_mov_b64 s[72:73], -1
	s_waitcnt vmcnt(0) lgkmcnt(0)
	flat_load_dword v1, v[4:5] sc0 sc1
	s_waitcnt vmcnt(0) lgkmcnt(0)
	buffer_inv sc0 sc1
	v_cmp_eq_u32_e32 vcc, 0, v1
	s_and_b64 vcc, vcc, exec
	s_or_b64 s[70:71], s[70:71], vcc
.LBB4_326:                              ;   in Loop: Header=BB4_324 Depth=2
	s_andn2_b64 s[68:69], s[68:69], exec
	s_and_b64 s[72:73], s[72:73], exec
	s_mov_b64 vcc, -1
	s_or_b64 s[68:69], s[68:69], s[72:73]
	s_and_saveexec_b64 s[72:73], s[70:71]
	s_cbranch_execz .LBB4_323
; %bb.327:                              ;   in Loop: Header=BB4_324 Depth=2
	s_sleep 1
	s_trap 2
	ds_read_b64 v[4:5], v0
	s_andn2_b64 s[68:69], s[68:69], exec
	s_waitcnt lgkmcnt(0)
	v_cmp_ge_u64_e32 vcc, v[4:5], v[14:15]
	s_orn2_b64 vcc, vcc, exec
	s_branch .LBB4_323
.LBB4_328:                              ;   in Loop: Header=BB4_81 Depth=1
	s_or_b64 exec, exec, s[60:61]
	s_and_saveexec_b64 vcc, s[62:63]
	s_xor_b64 vcc, exec, vcc
	s_cbranch_execz .LBB4_330
; %bb.329:                              ;   in Loop: Header=BB4_81 Depth=1
	ds_write_b32 v0, v46
	s_trap 2
.LBB4_330:                              ;   in Loop: Header=BB4_81 Depth=1
	s_or_b64 exec, exec, s[58:59]
	;;#ASMSTART
	s_wakeup
	;;#ASMEND
.LBB4_331:                              ;   in Loop: Header=BB4_81 Depth=1
	s_or_b64 exec, exec, s[56:57]
.LBB4_332:                              ;   in Loop: Header=BB4_81 Depth=1
	s_andn2_saveexec_b64 vcc, s[30:31]
	s_cbranch_execz .LBB4_334
; %bb.333:                              ;   in Loop: Header=BB4_81 Depth=1
	s_waitcnt lgkmcnt(0)
	s_barrier
.LBB4_334:                              ;   in Loop: Header=BB4_81 Depth=1
	s_or_b64 exec, exec, vcc
.LBB4_335:                              ;   in Loop: Header=BB4_81 Depth=1
	s_or_b64 exec, exec, s[28:29]
	v_and_b32_e32 v2, 16, v62
	s_and_saveexec_b64 s[28:29], s[20:21]
	s_xor_b64 s[28:29], exec, s[28:29]
	s_cbranch_execz .LBB4_340
; %bb.336:                              ;   in Loop: Header=BB4_81 Depth=1
	v_and_b32_e32 v1, 16, v62
	v_cmp_ne_u32_e32 vcc, 0, v1
	v_and_b32_e32 v2, 16, v62
	s_and_b64 vcc, vcc, s[26:27]
	s_and_saveexec_b64 s[26:27], vcc
	s_cbranch_execz .LBB4_338
; %bb.337:                              ;   in Loop: Header=BB4_81 Depth=1
	v_mov_b32_e32 v2, 1
	buffer_wbl2 sc1
	s_waitcnt vmcnt(0) lgkmcnt(0)
	buffer_inv sc1
.LBB4_338:                              ;   in Loop: Header=BB4_81 Depth=1
	s_or_b64 exec, exec, s[26:27]
	s_andn2_saveexec_b64 s[26:27], s[28:29]
	s_cbranch_execnz .LBB4_341
.LBB4_339:                              ;   in Loop: Header=BB4_81 Depth=1
	s_or_b64 exec, exec, s[26:27]
	v_cmp_ne_u32_e32 vcc, 0, v2
	s_and_saveexec_b64 s[26:27], vcc
	s_cbranch_execnz .LBB4_383
	s_branch .LBB4_386
.LBB4_340:                              ;   in Loop: Header=BB4_81 Depth=1
	s_andn2_saveexec_b64 s[26:27], s[28:29]
	s_cbranch_execz .LBB4_339
.LBB4_341:                              ;   in Loop: Header=BB4_81 Depth=1
	s_and_saveexec_b64 s[28:29], s[42:43]
	s_xor_b64 s[28:29], exec, s[28:29]
	s_cbranch_execz .LBB4_380
; %bb.342:                              ;   in Loop: Header=BB4_81 Depth=1
	s_and_saveexec_b64 s[30:31], s[12:13]
	s_cbranch_execz .LBB4_379
; %bb.343:                              ;   in Loop: Header=BB4_81 Depth=1
	s_mov_b64 s[58:59], exec
	v_mbcnt_lo_u32_b32 v1, s58, 0
	v_mbcnt_hi_u32_b32 v1, s59, v1
	v_cmp_eq_u32_e32 vcc, 0, v1
	;;#ASMSTART
	s_waitcnt lgkmcnt(0) vmcnt(0)
	;;#ASMEND
	s_and_saveexec_b64 s[56:57], vcc
	s_cbranch_execz .LBB4_345
; %bb.344:                              ;   in Loop: Header=BB4_81 Depth=1
	s_bcnt1_i32_b64 vcc_lo, s[58:59]
	v_mov_b32_e32 v48, vcc_lo
	ds_add_u64 v0, v[48:49]
	s_trap 2
.LBB4_345:                              ;   in Loop: Header=BB4_81 Depth=1
	s_or_b64 exec, exec, s[56:57]
	s_trap 2
	ds_read_b64 v[4:5], v0
	v_lshl_add_u64 v[14:15], v[14:15], 0, v[50:51]
	s_waitcnt lgkmcnt(0)
	v_cmp_lt_u64_e32 vcc, v[4:5], v[14:15]
	s_and_saveexec_b64 s[56:57], vcc
	s_cbranch_execz .LBB4_378
; %bb.346:                              ;   in Loop: Header=BB4_81 Depth=1
	s_mov_b32 s68, 0
	s_mov_b64 s[58:59], 0
                                        ; implicit-def: $sgpr60_sgpr61
                                        ; implicit-def: $sgpr62_sgpr63
	s_branch .LBB4_348
.LBB4_347:                              ;   in Loop: Header=BB4_348 Depth=2
	s_or_b64 exec, exec, s[66:67]
	s_and_b64 vcc, exec, vcc
	s_or_b64 s[58:59], vcc, s[58:59]
	s_andn2_b64 vcc, s[60:61], exec
	s_and_b64 s[60:61], s[62:63], exec
	s_or_b64 s[60:61], vcc, s[60:61]
	s_andn2_b64 exec, exec, s[58:59]
	s_cbranch_execz .LBB4_376
.LBB4_348:                              ;   Parent Loop BB4_81 Depth=1
                                        ; =>  This Inner Loop Header: Depth=2
	s_add_i32 s68, s68, 1
	s_cmpk_lg_i32 s68, 0x2710
	s_cselect_b64 s[64:65], -1, 0
	s_and_b64 vcc, exec, s[64:65]
                                        ; implicit-def: $sgpr66_sgpr67
	s_cbranch_vccnz .LBB4_350
; %bb.349:                              ;   in Loop: Header=BB4_348 Depth=2
	s_trap 2
	ds_read_b64 v[4:5], v0
	s_andn2_b64 s[64:65], s[64:65], exec
	s_mov_b32 s68, 0
	s_mov_b64 s[66:67], -1
	s_waitcnt vmcnt(0) lgkmcnt(0)
	flat_load_dword v1, v[4:5] sc0 sc1
	s_waitcnt vmcnt(0) lgkmcnt(0)
	buffer_inv sc0 sc1
	v_cmp_eq_u32_e32 vcc, 0, v1
	s_and_b64 vcc, vcc, exec
	s_or_b64 s[64:65], s[64:65], vcc
.LBB4_350:                              ;   in Loop: Header=BB4_348 Depth=2
	s_andn2_b64 s[62:63], s[62:63], exec
	s_and_b64 s[66:67], s[66:67], exec
	s_mov_b64 vcc, -1
	s_or_b64 s[62:63], s[62:63], s[66:67]
	s_and_saveexec_b64 s[66:67], s[64:65]
	s_cbranch_execz .LBB4_347
; %bb.351:                              ;   in Loop: Header=BB4_348 Depth=2
	s_sleep 1
	s_trap 2
	ds_read_b64 v[4:5], v0
	s_andn2_b64 s[62:63], s[62:63], exec
	s_waitcnt lgkmcnt(0)
	v_cmp_ge_u64_e32 vcc, v[4:5], v[14:15]
	s_orn2_b64 vcc, vcc, exec
	s_branch .LBB4_347
.LBB4_352:                              ;   in Loop: Header=BB4_81 Depth=1
	s_or_b64 exec, exec, s[64:65]
	s_and_saveexec_b64 vcc, s[66:67]
	s_xor_b64 vcc, exec, vcc
	s_cbranch_execz .LBB4_354
; %bb.353:                              ;   in Loop: Header=BB4_81 Depth=1
	ds_write_b32 v0, v46
	s_trap 2
.LBB4_354:                              ;   in Loop: Header=BB4_81 Depth=1
	s_or_b64 exec, exec, s[62:63]
	;;#ASMSTART
	s_wakeup
	;;#ASMEND
.LBB4_355:                              ;   in Loop: Header=BB4_81 Depth=1
	s_or_b64 exec, exec, s[60:61]
.LBB4_356:                              ;   in Loop: Header=BB4_81 Depth=1
	s_andn2_saveexec_b64 vcc, s[58:59]
	s_cbranch_execz .LBB4_358
; %bb.357:                              ;   in Loop: Header=BB4_81 Depth=1
	s_waitcnt lgkmcnt(0)
	s_barrier
.LBB4_358:                              ;   in Loop: Header=BB4_81 Depth=1
	s_or_b64 exec, exec, vcc
.LBB4_359:                              ;   in Loop: Header=BB4_81 Depth=1
	s_or_b64 exec, exec, s[56:57]
	v_and_b32_e32 v3, 16, v62
	s_and_saveexec_b64 vcc, s[20:21]
	s_xor_b64 s[56:57], exec, vcc
	s_cbranch_execz .LBB4_364
; %bb.360:                              ;   in Loop: Header=BB4_81 Depth=1
	v_and_b32_e32 v1, 16, v62
	v_cmp_ne_u32_e32 vcc, 0, v1
	v_and_b32_e32 v3, 16, v62
	s_and_b64 vcc, vcc, s[26:27]
	s_and_saveexec_b64 s[26:27], vcc
	s_cbranch_execz .LBB4_362
; %bb.361:                              ;   in Loop: Header=BB4_81 Depth=1
	v_mov_b32_e32 v3, 1
	buffer_wbl2 sc1
	s_waitcnt vmcnt(0) lgkmcnt(0)
	buffer_inv sc1
.LBB4_362:                              ;   in Loop: Header=BB4_81 Depth=1
	s_or_b64 exec, exec, s[26:27]
	s_andn2_saveexec_b64 s[26:27], s[56:57]
	s_cbranch_execnz .LBB4_365
.LBB4_363:                              ;   in Loop: Header=BB4_81 Depth=1
	s_or_b64 exec, exec, s[26:27]
	v_cmp_ne_u32_e32 vcc, 0, v3
	s_and_saveexec_b64 s[26:27], vcc
	s_cbranch_execnz .LBB4_429
	s_branch .LBB4_432
.LBB4_364:                              ;   in Loop: Header=BB4_81 Depth=1
	s_andn2_saveexec_b64 s[26:27], s[56:57]
	s_cbranch_execz .LBB4_363
.LBB4_365:                              ;   in Loop: Header=BB4_81 Depth=1
	s_and_saveexec_b64 vcc, s[42:43]
	s_xor_b64 s[56:57], exec, vcc
	s_cbranch_execz .LBB4_426
; %bb.366:                              ;   in Loop: Header=BB4_81 Depth=1
	s_and_saveexec_b64 s[58:59], s[12:13]
	s_cbranch_execz .LBB4_425
; %bb.367:                              ;   in Loop: Header=BB4_81 Depth=1
	s_mov_b64 s[62:63], exec
	v_mbcnt_lo_u32_b32 v1, s62, 0
	v_mbcnt_hi_u32_b32 v1, s63, v1
	v_cmp_eq_u32_e32 vcc, 0, v1
	;;#ASMSTART
	s_waitcnt lgkmcnt(0) vmcnt(0)
	;;#ASMEND
	s_and_saveexec_b64 s[60:61], vcc
	s_cbranch_execz .LBB4_369
; %bb.368:                              ;   in Loop: Header=BB4_81 Depth=1
	s_bcnt1_i32_b64 vcc_lo, s[62:63]
	v_mov_b32_e32 v48, vcc_lo
	ds_add_u64 v0, v[48:49]
	s_trap 2
.LBB4_369:                              ;   in Loop: Header=BB4_81 Depth=1
	s_or_b64 exec, exec, s[60:61]
	s_trap 2
	ds_read_b64 v[4:5], v0
	v_lshl_add_u64 v[14:15], v[14:15], 0, v[50:51]
	s_waitcnt lgkmcnt(0)
	v_cmp_lt_u64_e32 vcc, v[4:5], v[14:15]
	s_and_saveexec_b64 s[60:61], vcc
	s_cbranch_execz .LBB4_424
; %bb.370:                              ;   in Loop: Header=BB4_81 Depth=1
	s_mov_b32 s72, 0
	s_mov_b64 s[62:63], 0
                                        ; implicit-def: $sgpr64_sgpr65
                                        ; implicit-def: $sgpr66_sgpr67
	s_branch .LBB4_372
.LBB4_371:                              ;   in Loop: Header=BB4_372 Depth=2
	s_or_b64 exec, exec, s[70:71]
	s_and_b64 vcc, exec, vcc
	s_or_b64 s[62:63], vcc, s[62:63]
	s_andn2_b64 vcc, s[64:65], exec
	s_and_b64 s[64:65], s[66:67], exec
	s_or_b64 s[64:65], vcc, s[64:65]
	s_andn2_b64 exec, exec, s[62:63]
	s_cbranch_execz .LBB4_422
.LBB4_372:                              ;   Parent Loop BB4_81 Depth=1
                                        ; =>  This Inner Loop Header: Depth=2
	s_add_i32 s72, s72, 1
	s_cmpk_lg_i32 s72, 0x2710
	s_cselect_b64 s[68:69], -1, 0
	s_and_b64 vcc, exec, s[68:69]
                                        ; implicit-def: $sgpr70_sgpr71
	s_cbranch_vccnz .LBB4_374
; %bb.373:                              ;   in Loop: Header=BB4_372 Depth=2
	s_trap 2
	ds_read_b64 v[4:5], v0
	s_andn2_b64 s[68:69], s[68:69], exec
	s_mov_b32 s72, 0
	s_mov_b64 s[70:71], -1
	s_waitcnt vmcnt(0) lgkmcnt(0)
	flat_load_dword v1, v[4:5] sc0 sc1
	s_waitcnt vmcnt(0) lgkmcnt(0)
	buffer_inv sc0 sc1
	v_cmp_eq_u32_e32 vcc, 0, v1
	s_and_b64 vcc, vcc, exec
	s_or_b64 s[68:69], s[68:69], vcc
.LBB4_374:                              ;   in Loop: Header=BB4_372 Depth=2
	s_andn2_b64 s[66:67], s[66:67], exec
	s_and_b64 s[70:71], s[70:71], exec
	s_mov_b64 vcc, -1
	s_or_b64 s[66:67], s[66:67], s[70:71]
	s_and_saveexec_b64 s[70:71], s[68:69]
	s_cbranch_execz .LBB4_371
; %bb.375:                              ;   in Loop: Header=BB4_372 Depth=2
	s_sleep 1
	s_trap 2
	ds_read_b64 v[4:5], v0
	s_andn2_b64 s[66:67], s[66:67], exec
	s_waitcnt lgkmcnt(0)
	v_cmp_ge_u64_e32 vcc, v[4:5], v[14:15]
	s_orn2_b64 vcc, vcc, exec
	s_branch .LBB4_371
.LBB4_376:                              ;   in Loop: Header=BB4_81 Depth=1
	s_or_b64 exec, exec, s[58:59]
	s_and_saveexec_b64 vcc, s[60:61]
	s_xor_b64 vcc, exec, vcc
	s_cbranch_execz .LBB4_378
; %bb.377:                              ;   in Loop: Header=BB4_81 Depth=1
	ds_write_b32 v0, v46
	s_trap 2
.LBB4_378:                              ;   in Loop: Header=BB4_81 Depth=1
	s_or_b64 exec, exec, s[56:57]
	;;#ASMSTART
	s_wakeup
	;;#ASMEND
.LBB4_379:                              ;   in Loop: Header=BB4_81 Depth=1
	s_or_b64 exec, exec, s[30:31]
.LBB4_380:                              ;   in Loop: Header=BB4_81 Depth=1
	s_andn2_saveexec_b64 s[28:29], s[28:29]
	s_cbranch_execz .LBB4_382
; %bb.381:                              ;   in Loop: Header=BB4_81 Depth=1
	;;#ASMSTART
	s_waitcnt lgkmcnt(0) vmcnt(0)
	;;#ASMEND
	s_barrier
.LBB4_382:                              ;   in Loop: Header=BB4_81 Depth=1
	s_or_b64 exec, exec, s[28:29]
	s_or_b64 exec, exec, s[26:27]
	v_cmp_ne_u32_e32 vcc, 0, v2
	s_and_saveexec_b64 s[26:27], vcc
	s_cbranch_execz .LBB4_386
.LBB4_383:                              ;   in Loop: Header=BB4_81 Depth=1
	s_and_saveexec_b64 s[28:29], s[10:11]
	s_cbranch_execz .LBB4_385
; %bb.384:                              ;   in Loop: Header=BB4_81 Depth=1
	flat_store_dword v[32:33], v46 sc0 sc1
.LBB4_385:                              ;   in Loop: Header=BB4_81 Depth=1
	s_or_b64 exec, exec, s[28:29]
	v_lshl_add_u64 v[38:39], v[38:39], 0, 4
	flat_store_dwordx2 v[26:27], v[38:39] sc0 sc1
.LBB4_386:                              ;   in Loop: Header=BB4_81 Depth=1
	s_or_b64 exec, exec, s[26:27]
	v_mov_b32_e32 v1, v24
.LBB4_387:                              ;   in Loop: Header=BB4_81 Depth=1
	s_or_b64 exec, exec, s[54:55]
	s_mov_b64 s[26:27], 0
	s_mov_b64 vcc, 0
	s_and_saveexec_b64 s[28:29], s[22:23]
	s_cbranch_execz .LBB4_524
; %bb.388:                              ;   in Loop: Header=BB4_81 Depth=1
	v_and_b32_e32 v2, 8, v62
	v_cmp_ne_u32_e32 vcc, 0, v2
	s_mov_b64 s[30:31], -1
	v_lshl_add_u64 v[4:5], v[38:39], 0, 4
	s_and_saveexec_b64 s[26:27], vcc
	s_cbranch_execz .LBB4_400
; %bb.389:                              ;   in Loop: Header=BB4_81 Depth=1
	v_lshl_add_u64 v[6:7], v[36:37], 0, 8
	v_lshl_add_u64 v[2:3], v[38:39], 0, 4
	v_cmp_lt_u64_e32 vcc, v[6:7], v[2:3]
	v_mov_b32_e32 v6, 1
	s_and_saveexec_b64 s[30:31], vcc
	s_cbranch_execz .LBB4_399
; %bb.390:                              ;   in Loop: Header=BB4_81 Depth=1
	s_mov_b64 s[54:55], 0
	v_mov_b32_e32 v6, 0
                                        ; implicit-def: $sgpr56_sgpr57
	s_branch .LBB4_394
.LBB4_391:                              ;   in Loop: Header=BB4_394 Depth=2
	s_or_b64 exec, exec, s[64:65]
	v_mov_b32_e32 v7, 0
	s_orn2_b64 s[62:63], s[62:63], exec
.LBB4_392:                              ;   in Loop: Header=BB4_394 Depth=2
	s_or_b64 exec, exec, s[60:61]
	s_andn2_b64 vcc, s[56:57], exec
	s_and_b64 s[56:57], s[62:63], exec
	s_or_b64 s[56:57], vcc, s[56:57]
	v_mov_b32_e32 v6, v7
.LBB4_393:                              ;   in Loop: Header=BB4_394 Depth=2
	s_or_b64 exec, exec, s[58:59]
	s_waitcnt vmcnt(0) lgkmcnt(0)
	v_lshl_add_u64 v[8:9], v[36:37], 0, 8
	v_cmp_ge_u64_e32 vcc, v[8:9], v[2:3]
	s_xor_b64 s[58:59], s[56:57], -1
	s_or_b64 vcc, s[58:59], vcc
	s_and_b64 vcc, exec, vcc
	s_or_b64 s[54:55], vcc, s[54:55]
	s_andn2_b64 exec, exec, s[54:55]
	s_cbranch_execz .LBB4_398
.LBB4_394:                              ;   Parent Loop BB4_81 Depth=1
                                        ; =>  This Inner Loop Header: Depth=2
	s_sleep 1
	flat_load_dwordx2 v[36:37], v[26:27] sc0 sc1
	v_and_b32_e32 v7, 64, v62
	v_cmp_eq_u32_e32 vcc, 0, v7
	s_andn2_b64 s[56:57], s[56:57], exec
	s_and_saveexec_b64 s[58:59], vcc
	s_cbranch_execz .LBB4_393
; %bb.395:                              ;   in Loop: Header=BB4_394 Depth=2
	v_add_u32_e32 v7, 1, v6
	v_cmp_lt_i32_e32 vcc, s76, v6
	s_mov_b64 s[62:63], -1
	s_and_saveexec_b64 s[60:61], vcc
	s_cbranch_execz .LBB4_392
; %bb.396:                              ;   in Loop: Header=BB4_394 Depth=2
	s_trap 2
	ds_read_b64 v[6:7], v0
	s_waitcnt vmcnt(0) lgkmcnt(0)
	flat_load_dword v6, v[6:7] sc0 sc1
	s_waitcnt vmcnt(0) lgkmcnt(0)
	buffer_inv sc0 sc1
	v_cmp_ne_u32_e32 vcc, 0, v6
	s_and_saveexec_b64 s[64:65], vcc
	s_cbranch_execz .LBB4_391
; %bb.397:                              ;   in Loop: Header=BB4_394 Depth=2
	v_or_b32_e32 v62, 64, v62
	s_xor_b64 s[62:63], exec, -1
	ds_write_b32 v0, v6
	s_trap 2
	s_branch .LBB4_391
.LBB4_398:                              ;   in Loop: Header=BB4_81 Depth=1
	s_or_b64 exec, exec, s[54:55]
	v_and_b32_e32 v6, 8, v62
.LBB4_399:                              ;   in Loop: Header=BB4_81 Depth=1
	s_or_b64 exec, exec, s[30:31]
	v_cmp_eq_u32_e32 vcc, 0, v6
	s_orn2_b64 s[30:31], vcc, exec
	;;#ASMSTART
	s_wakeup
	;;#ASMEND
.LBB4_400:                              ;   in Loop: Header=BB4_81 Depth=1
	s_or_b64 exec, exec, s[26:27]
	v_sub_u32_e32 v1, v0, v1
	s_xor_b64 s[26:27], s[30:31], -1
	v_min_i32_e32 v2, v24, v1
	s_and_saveexec_b64 s[30:31], s[26:27]
	s_cbranch_execz .LBB4_410
; %bb.401:                              ;   in Loop: Header=BB4_81 Depth=1
	v_and_b32_e32 v1, 0x100, v62
	v_cmp_ne_u32_e32 vcc, 0, v1
	v_and_b32_e32 v1, 7, v38
	s_mov_b64 s[26:27], -1
                                        ; implicit-def: $vgpr24_vgpr25
	s_and_saveexec_b64 s[54:55], vcc
	s_cbranch_execz .LBB4_405
; %bb.402:                              ;   in Loop: Header=BB4_81 Depth=1
	v_accvgpr_read_b32 v6, a18
	v_accvgpr_read_b32 v7, a19
	v_mad_u64_u32 v[38:39], s[26:27], v1, 24, v[6:7]
	flat_load_dword v6, v[38:39]
	v_ashrrev_i32_e32 v3, 31, v2
	flat_store_dwordx2 v[38:39], v[2:3] offset:8
                                        ; implicit-def: $vgpr24_vgpr25
	s_waitcnt vmcnt(0) lgkmcnt(0)
	v_cmp_ne_u32_e32 vcc, 1, v6
	v_cmp_eq_u32_e64 s[26:27], 1, v6
	s_and_saveexec_b64 s[56:57], s[26:27]
	s_cbranch_execz .LBB4_404
; %bb.403:                              ;   in Loop: Header=BB4_81 Depth=1
	flat_load_dword v24, v[38:39] offset:4 sc0 sc1
	s_waitcnt vmcnt(0) lgkmcnt(0)
	v_ashrrev_i32_e32 v25, 31, v24
.LBB4_404:                              ;   in Loop: Header=BB4_81 Depth=1
	s_or_b64 exec, exec, s[56:57]
	s_orn2_b64 s[26:27], vcc, exec
.LBB4_405:                              ;   in Loop: Header=BB4_81 Depth=1
	s_or_b64 exec, exec, s[54:55]
	s_and_saveexec_b64 vcc, s[26:27]
; %bb.406:                              ;   in Loop: Header=BB4_81 Depth=1
	v_mad_i64_i32 v[24:25], s[26:27], v1, v28, 0
; %bb.407:                              ;   in Loop: Header=BB4_81 Depth=1
	s_or_b64 exec, exec, vcc
	v_and_b32_e32 v1, 0x2000, v62
	v_lshl_add_u64 v[6:7], v[12:13], 0, v[24:25]
	v_cmp_ne_u32_e32 vcc, 0, v1
	ds_write_b64 v0, v[6:7] offset:792
	s_and_saveexec_b64 s[26:27], vcc
	s_cbranch_execz .LBB4_409
; %bb.408:                              ;   in Loop: Header=BB4_81 Depth=1
	ds_read_b64 v[6:7], v0 offset:584
	s_waitcnt lgkmcnt(0)
	v_lshl_add_u64 v[6:7], v[6:7], 0, 1
	ds_write_b64 v0, v[6:7] offset:584
.LBB4_409:                              ;   in Loop: Header=BB4_81 Depth=1
	s_or_b64 exec, exec, s[26:27]
	v_mov_b64_e32 v[38:39], v[4:5]
.LBB4_410:                              ;   in Loop: Header=BB4_81 Depth=1
	s_or_b64 exec, exec, s[30:31]
	s_and_saveexec_b64 s[26:27], s[4:5]
	s_cbranch_execz .LBB4_475
; %bb.411:                              ;   in Loop: Header=BB4_81 Depth=1
	s_and_saveexec_b64 vcc, s[42:43]
	s_xor_b64 s[30:31], exec, vcc
	s_cbranch_execz .LBB4_472
; %bb.412:                              ;   in Loop: Header=BB4_81 Depth=1
	s_and_saveexec_b64 s[54:55], s[12:13]
	s_cbranch_execz .LBB4_471
; %bb.413:                              ;   in Loop: Header=BB4_81 Depth=1
	s_mov_b64 s[58:59], exec
	v_mbcnt_lo_u32_b32 v1, s58, 0
	v_mbcnt_hi_u32_b32 v1, s59, v1
	v_cmp_eq_u32_e32 vcc, 0, v1
	s_waitcnt lgkmcnt(0)
	s_and_saveexec_b64 s[56:57], vcc
	s_cbranch_execz .LBB4_415
; %bb.414:                              ;   in Loop: Header=BB4_81 Depth=1
	s_bcnt1_i32_b64 vcc_lo, s[58:59]
	v_mov_b32_e32 v48, vcc_lo
	ds_add_u64 v0, v[48:49]
	s_trap 2
.LBB4_415:                              ;   in Loop: Header=BB4_81 Depth=1
	s_or_b64 exec, exec, s[56:57]
	s_trap 2
	ds_read_b64 v[4:5], v0
	v_lshl_add_u64 v[14:15], v[14:15], 0, v[50:51]
	s_waitcnt lgkmcnt(0)
	v_cmp_lt_u64_e32 vcc, v[4:5], v[14:15]
	s_and_saveexec_b64 s[56:57], vcc
	s_cbranch_execz .LBB4_470
; %bb.416:                              ;   in Loop: Header=BB4_81 Depth=1
	s_mov_b32 s68, 0
	s_mov_b64 s[58:59], 0
                                        ; implicit-def: $sgpr60_sgpr61
                                        ; implicit-def: $sgpr62_sgpr63
	s_branch .LBB4_418
.LBB4_417:                              ;   in Loop: Header=BB4_418 Depth=2
	s_or_b64 exec, exec, s[66:67]
	s_and_b64 vcc, exec, vcc
	s_or_b64 s[58:59], vcc, s[58:59]
	s_andn2_b64 vcc, s[60:61], exec
	s_and_b64 s[60:61], s[62:63], exec
	s_or_b64 s[60:61], vcc, s[60:61]
	s_andn2_b64 exec, exec, s[58:59]
	s_cbranch_execz .LBB4_468
.LBB4_418:                              ;   Parent Loop BB4_81 Depth=1
                                        ; =>  This Inner Loop Header: Depth=2
	s_add_i32 s68, s68, 1
	s_cmpk_lg_i32 s68, 0x2710
	s_cselect_b64 s[64:65], -1, 0
	s_and_b64 vcc, exec, s[64:65]
                                        ; implicit-def: $sgpr66_sgpr67
	s_cbranch_vccnz .LBB4_420
; %bb.419:                              ;   in Loop: Header=BB4_418 Depth=2
	s_trap 2
	ds_read_b64 v[4:5], v0
	s_andn2_b64 s[64:65], s[64:65], exec
	s_mov_b32 s68, 0
	s_mov_b64 s[66:67], -1
	s_waitcnt vmcnt(0) lgkmcnt(0)
	flat_load_dword v1, v[4:5] sc0 sc1
	s_waitcnt vmcnt(0) lgkmcnt(0)
	buffer_inv sc0 sc1
	v_cmp_eq_u32_e32 vcc, 0, v1
	s_and_b64 vcc, vcc, exec
	s_or_b64 s[64:65], s[64:65], vcc
.LBB4_420:                              ;   in Loop: Header=BB4_418 Depth=2
	s_andn2_b64 s[62:63], s[62:63], exec
	s_and_b64 s[66:67], s[66:67], exec
	s_mov_b64 vcc, -1
	s_or_b64 s[62:63], s[62:63], s[66:67]
	s_and_saveexec_b64 s[66:67], s[64:65]
	s_cbranch_execz .LBB4_417
; %bb.421:                              ;   in Loop: Header=BB4_418 Depth=2
	s_sleep 1
	s_trap 2
	ds_read_b64 v[4:5], v0
	s_andn2_b64 s[62:63], s[62:63], exec
	s_waitcnt lgkmcnt(0)
	v_cmp_ge_u64_e32 vcc, v[4:5], v[14:15]
	s_orn2_b64 vcc, vcc, exec
	s_branch .LBB4_417
.LBB4_422:                              ;   in Loop: Header=BB4_81 Depth=1
	s_or_b64 exec, exec, s[62:63]
	s_and_saveexec_b64 vcc, s[64:65]
	s_xor_b64 vcc, exec, vcc
	s_cbranch_execz .LBB4_424
; %bb.423:                              ;   in Loop: Header=BB4_81 Depth=1
	ds_write_b32 v0, v46
	s_trap 2
.LBB4_424:                              ;   in Loop: Header=BB4_81 Depth=1
	s_or_b64 exec, exec, s[60:61]
	;;#ASMSTART
	s_wakeup
	;;#ASMEND
.LBB4_425:                              ;   in Loop: Header=BB4_81 Depth=1
	s_or_b64 exec, exec, s[58:59]
.LBB4_426:                              ;   in Loop: Header=BB4_81 Depth=1
	s_andn2_saveexec_b64 vcc, s[56:57]
	s_cbranch_execz .LBB4_428
; %bb.427:                              ;   in Loop: Header=BB4_81 Depth=1
	;;#ASMSTART
	s_waitcnt lgkmcnt(0) vmcnt(0)
	;;#ASMEND
	s_barrier
.LBB4_428:                              ;   in Loop: Header=BB4_81 Depth=1
	s_or_b64 exec, exec, vcc
	s_or_b64 exec, exec, s[26:27]
	v_cmp_ne_u32_e32 vcc, 0, v3
	s_and_saveexec_b64 s[26:27], vcc
	s_cbranch_execz .LBB4_432
.LBB4_429:                              ;   in Loop: Header=BB4_81 Depth=1
	s_and_saveexec_b64 vcc, s[10:11]
	s_cbranch_execz .LBB4_431
; %bb.430:                              ;   in Loop: Header=BB4_81 Depth=1
	flat_store_dword v[32:33], v46 sc0 sc1
.LBB4_431:                              ;   in Loop: Header=BB4_81 Depth=1
	s_or_b64 exec, exec, vcc
	v_lshl_add_u64 v[38:39], v[38:39], 0, 4
	flat_store_dwordx2 v[26:27], v[38:39] sc0 sc1
.LBB4_432:                              ;   in Loop: Header=BB4_81 Depth=1
	s_or_b64 exec, exec, s[26:27]
	v_mov_b32_e32 v1, v2
.LBB4_433:                              ;   in Loop: Header=BB4_81 Depth=1
	s_or_b64 exec, exec, s[54:55]
	s_mov_b64 s[26:27], s[30:31]
	s_mov_b64 vcc, s[28:29]
	s_and_saveexec_b64 s[54:55], s[22:23]
	s_cbranch_execz .LBB4_791
; %bb.434:                              ;   in Loop: Header=BB4_81 Depth=1
	v_and_b32_e32 v3, 8, v62
	v_cmp_ne_u32_e32 vcc, 0, v3
	s_mov_b64 s[56:57], -1
	v_lshl_add_u64 v[4:5], v[38:39], 0, 4
	s_and_saveexec_b64 s[26:27], vcc
	s_cbranch_execz .LBB4_446
; %bb.435:                              ;   in Loop: Header=BB4_81 Depth=1
	v_lshl_add_u64 v[6:7], v[36:37], 0, 8
	v_lshl_add_u64 v[24:25], v[38:39], 0, 4
	v_cmp_lt_u64_e32 vcc, v[6:7], v[24:25]
	v_mov_b32_e32 v3, 1
	s_and_saveexec_b64 s[56:57], vcc
	s_cbranch_execz .LBB4_445
; %bb.436:                              ;   in Loop: Header=BB4_81 Depth=1
	s_mov_b64 s[58:59], 0
	v_mov_b32_e32 v3, 0
                                        ; implicit-def: $sgpr60_sgpr61
	s_branch .LBB4_440
.LBB4_437:                              ;   in Loop: Header=BB4_440 Depth=2
	s_or_b64 exec, exec, s[68:69]
	v_mov_b32_e32 v6, 0
	s_orn2_b64 s[66:67], s[66:67], exec
.LBB4_438:                              ;   in Loop: Header=BB4_440 Depth=2
	s_or_b64 exec, exec, s[64:65]
	s_andn2_b64 vcc, s[60:61], exec
	s_and_b64 s[60:61], s[66:67], exec
	s_or_b64 s[60:61], vcc, s[60:61]
	v_mov_b32_e32 v3, v6
.LBB4_439:                              ;   in Loop: Header=BB4_440 Depth=2
	s_or_b64 exec, exec, s[62:63]
	s_waitcnt vmcnt(0) lgkmcnt(0)
	v_lshl_add_u64 v[6:7], v[36:37], 0, 8
	v_cmp_ge_u64_e32 vcc, v[6:7], v[24:25]
	s_xor_b64 s[62:63], s[60:61], -1
	s_or_b64 vcc, s[62:63], vcc
	s_and_b64 vcc, exec, vcc
	s_or_b64 s[58:59], vcc, s[58:59]
	s_andn2_b64 exec, exec, s[58:59]
	s_cbranch_execz .LBB4_444
.LBB4_440:                              ;   Parent Loop BB4_81 Depth=1
                                        ; =>  This Inner Loop Header: Depth=2
	s_sleep 1
	flat_load_dwordx2 v[36:37], v[26:27] sc0 sc1
	v_and_b32_e32 v6, 64, v62
	v_cmp_eq_u32_e32 vcc, 0, v6
	s_andn2_b64 s[60:61], s[60:61], exec
	s_and_saveexec_b64 s[62:63], vcc
	s_cbranch_execz .LBB4_439
; %bb.441:                              ;   in Loop: Header=BB4_440 Depth=2
	v_add_u32_e32 v6, 1, v3
	v_cmp_lt_i32_e32 vcc, s76, v3
	s_mov_b64 s[66:67], -1
	s_and_saveexec_b64 s[64:65], vcc
	s_cbranch_execz .LBB4_438
; %bb.442:                              ;   in Loop: Header=BB4_440 Depth=2
	s_trap 2
	ds_read_b64 v[6:7], v0
	s_waitcnt vmcnt(0) lgkmcnt(0)
	flat_load_dword v3, v[6:7] sc0 sc1
	s_waitcnt vmcnt(0) lgkmcnt(0)
	buffer_inv sc0 sc1
	v_cmp_ne_u32_e32 vcc, 0, v3
	s_and_saveexec_b64 s[68:69], vcc
	s_cbranch_execz .LBB4_437
; %bb.443:                              ;   in Loop: Header=BB4_440 Depth=2
	v_or_b32_e32 v62, 64, v62
	s_xor_b64 s[66:67], exec, -1
	ds_write_b32 v0, v3
	s_trap 2
	s_branch .LBB4_437
.LBB4_444:                              ;   in Loop: Header=BB4_81 Depth=1
	s_or_b64 exec, exec, s[58:59]
	v_and_b32_e32 v3, 8, v62
.LBB4_445:                              ;   in Loop: Header=BB4_81 Depth=1
	s_or_b64 exec, exec, s[56:57]
	v_cmp_eq_u32_e32 vcc, 0, v3
	s_orn2_b64 s[56:57], vcc, exec
	;;#ASMSTART
	s_wakeup
	;;#ASMEND
.LBB4_446:                              ;   in Loop: Header=BB4_81 Depth=1
	s_or_b64 exec, exec, s[26:27]
	v_sub_u32_e32 v1, v0, v1
	s_xor_b64 s[26:27], s[56:57], -1
	v_min_i32_e32 v2, v2, v1
	s_and_saveexec_b64 s[56:57], s[26:27]
	s_cbranch_execz .LBB4_456
; %bb.447:                              ;   in Loop: Header=BB4_81 Depth=1
	v_and_b32_e32 v1, 0x100, v62
	v_cmp_ne_u32_e32 vcc, 0, v1
	v_and_b32_e32 v1, 7, v38
	s_mov_b64 s[26:27], -1
                                        ; implicit-def: $vgpr24_vgpr25
	s_and_saveexec_b64 s[58:59], vcc
	s_cbranch_execz .LBB4_451
; %bb.448:                              ;   in Loop: Header=BB4_81 Depth=1
	v_accvgpr_read_b32 v6, a18
	v_accvgpr_read_b32 v7, a19
	v_mad_u64_u32 v[38:39], s[26:27], v1, 24, v[6:7]
	flat_load_dword v6, v[38:39]
	v_ashrrev_i32_e32 v3, 31, v2
	flat_store_dwordx2 v[38:39], v[2:3] offset:8
                                        ; implicit-def: $vgpr24_vgpr25
	s_waitcnt vmcnt(0) lgkmcnt(0)
	v_cmp_ne_u32_e32 vcc, 1, v6
	v_cmp_eq_u32_e64 s[26:27], 1, v6
	s_and_saveexec_b64 s[60:61], s[26:27]
	s_cbranch_execz .LBB4_450
; %bb.449:                              ;   in Loop: Header=BB4_81 Depth=1
	flat_load_dword v24, v[38:39] offset:4 sc0 sc1
	s_waitcnt vmcnt(0) lgkmcnt(0)
	v_ashrrev_i32_e32 v25, 31, v24
.LBB4_450:                              ;   in Loop: Header=BB4_81 Depth=1
	s_or_b64 exec, exec, s[60:61]
	s_orn2_b64 s[26:27], vcc, exec
.LBB4_451:                              ;   in Loop: Header=BB4_81 Depth=1
	s_or_b64 exec, exec, s[58:59]
	s_and_saveexec_b64 vcc, s[26:27]
; %bb.452:                              ;   in Loop: Header=BB4_81 Depth=1
	v_mad_i64_i32 v[24:25], s[26:27], v1, v28, 0
; %bb.453:                              ;   in Loop: Header=BB4_81 Depth=1
	s_or_b64 exec, exec, vcc
	v_and_b32_e32 v1, 0x2000, v62
	v_lshl_add_u64 v[6:7], v[12:13], 0, v[24:25]
	v_cmp_ne_u32_e32 vcc, 0, v1
	ds_write_b64 v0, v[6:7] offset:784
	s_and_saveexec_b64 s[26:27], vcc
	s_cbranch_execz .LBB4_455
; %bb.454:                              ;   in Loop: Header=BB4_81 Depth=1
	ds_read_b64 v[6:7], v0 offset:584
	s_waitcnt lgkmcnt(0)
	v_lshl_add_u64 v[6:7], v[6:7], 0, 1
	ds_write_b64 v0, v[6:7] offset:584
.LBB4_455:                              ;   in Loop: Header=BB4_81 Depth=1
	s_or_b64 exec, exec, s[26:27]
	v_mov_b64_e32 v[38:39], v[4:5]
.LBB4_456:                              ;   in Loop: Header=BB4_81 Depth=1
	s_or_b64 exec, exec, s[56:57]
	s_and_saveexec_b64 s[26:27], s[4:5]
	s_cbranch_execz .LBB4_498
; %bb.457:                              ;   in Loop: Header=BB4_81 Depth=1
	s_and_saveexec_b64 vcc, s[42:43]
	s_xor_b64 s[56:57], exec, vcc
	s_cbranch_execz .LBB4_495
; %bb.458:                              ;   in Loop: Header=BB4_81 Depth=1
	s_and_saveexec_b64 s[58:59], s[12:13]
	s_cbranch_execz .LBB4_494
; %bb.459:                              ;   in Loop: Header=BB4_81 Depth=1
	s_mov_b64 s[62:63], exec
	v_mbcnt_lo_u32_b32 v1, s62, 0
	v_mbcnt_hi_u32_b32 v1, s63, v1
	v_cmp_eq_u32_e32 vcc, 0, v1
	s_waitcnt lgkmcnt(0)
	s_and_saveexec_b64 s[60:61], vcc
	s_cbranch_execz .LBB4_461
; %bb.460:                              ;   in Loop: Header=BB4_81 Depth=1
	s_bcnt1_i32_b64 vcc_lo, s[62:63]
	v_mov_b32_e32 v48, vcc_lo
	ds_add_u64 v0, v[48:49]
	s_trap 2
.LBB4_461:                              ;   in Loop: Header=BB4_81 Depth=1
	s_or_b64 exec, exec, s[60:61]
	s_trap 2
	ds_read_b64 v[4:5], v0
	v_lshl_add_u64 v[14:15], v[14:15], 0, v[50:51]
	s_waitcnt lgkmcnt(0)
	v_cmp_lt_u64_e32 vcc, v[4:5], v[14:15]
	s_and_saveexec_b64 s[60:61], vcc
	s_cbranch_execz .LBB4_493
; %bb.462:                              ;   in Loop: Header=BB4_81 Depth=1
	s_mov_b32 s72, 0
	s_mov_b64 s[62:63], 0
                                        ; implicit-def: $sgpr64_sgpr65
                                        ; implicit-def: $sgpr66_sgpr67
	s_branch .LBB4_464
.LBB4_463:                              ;   in Loop: Header=BB4_464 Depth=2
	s_or_b64 exec, exec, s[70:71]
	s_and_b64 vcc, exec, vcc
	s_or_b64 s[62:63], vcc, s[62:63]
	s_andn2_b64 vcc, s[64:65], exec
	s_and_b64 s[64:65], s[66:67], exec
	s_or_b64 s[64:65], vcc, s[64:65]
	s_andn2_b64 exec, exec, s[62:63]
	s_cbranch_execz .LBB4_491
.LBB4_464:                              ;   Parent Loop BB4_81 Depth=1
                                        ; =>  This Inner Loop Header: Depth=2
	s_add_i32 s72, s72, 1
	s_cmpk_lg_i32 s72, 0x2710
	s_cselect_b64 s[68:69], -1, 0
	s_and_b64 vcc, exec, s[68:69]
                                        ; implicit-def: $sgpr70_sgpr71
	s_cbranch_vccnz .LBB4_466
; %bb.465:                              ;   in Loop: Header=BB4_464 Depth=2
	s_trap 2
	ds_read_b64 v[4:5], v0
	s_andn2_b64 s[68:69], s[68:69], exec
	s_mov_b32 s72, 0
	s_mov_b64 s[70:71], -1
	s_waitcnt vmcnt(0) lgkmcnt(0)
	flat_load_dword v1, v[4:5] sc0 sc1
	s_waitcnt vmcnt(0) lgkmcnt(0)
	buffer_inv sc0 sc1
	v_cmp_eq_u32_e32 vcc, 0, v1
	s_and_b64 vcc, vcc, exec
	s_or_b64 s[68:69], s[68:69], vcc
.LBB4_466:                              ;   in Loop: Header=BB4_464 Depth=2
	s_andn2_b64 s[66:67], s[66:67], exec
	s_and_b64 s[70:71], s[70:71], exec
	s_mov_b64 vcc, -1
	s_or_b64 s[66:67], s[66:67], s[70:71]
	s_and_saveexec_b64 s[70:71], s[68:69]
	s_cbranch_execz .LBB4_463
; %bb.467:                              ;   in Loop: Header=BB4_464 Depth=2
	s_sleep 1
	s_trap 2
	ds_read_b64 v[4:5], v0
	s_andn2_b64 s[66:67], s[66:67], exec
	s_waitcnt lgkmcnt(0)
	v_cmp_ge_u64_e32 vcc, v[4:5], v[14:15]
	s_orn2_b64 vcc, vcc, exec
	s_branch .LBB4_463
.LBB4_468:                              ;   in Loop: Header=BB4_81 Depth=1
	s_or_b64 exec, exec, s[58:59]
	s_and_saveexec_b64 vcc, s[60:61]
	s_xor_b64 vcc, exec, vcc
	s_cbranch_execz .LBB4_470
; %bb.469:                              ;   in Loop: Header=BB4_81 Depth=1
	ds_write_b32 v0, v46
	s_trap 2
.LBB4_470:                              ;   in Loop: Header=BB4_81 Depth=1
	s_or_b64 exec, exec, s[56:57]
	;;#ASMSTART
	s_wakeup
	;;#ASMEND
.LBB4_471:                              ;   in Loop: Header=BB4_81 Depth=1
	s_or_b64 exec, exec, s[54:55]
.LBB4_472:                              ;   in Loop: Header=BB4_81 Depth=1
	s_andn2_saveexec_b64 vcc, s[30:31]
	s_cbranch_execz .LBB4_474
; %bb.473:                              ;   in Loop: Header=BB4_81 Depth=1
	s_waitcnt lgkmcnt(0)
	s_barrier
.LBB4_474:                              ;   in Loop: Header=BB4_81 Depth=1
	s_or_b64 exec, exec, vcc
.LBB4_475:                              ;   in Loop: Header=BB4_81 Depth=1
	s_or_b64 exec, exec, s[26:27]
	v_and_b32_e32 v3, 16, v62
	s_and_saveexec_b64 s[26:27], s[20:21]
	s_xor_b64 s[26:27], exec, s[26:27]
	s_cbranch_execz .LBB4_479
; %bb.476:                              ;   in Loop: Header=BB4_81 Depth=1
	s_trap 2
	ds_read_b32 v1, v0
	v_cmp_lt_i32_e32 vcc, 0, v2
	v_and_b32_e32 v2, 16, v62
	v_and_b32_e32 v3, 16, v62
	s_waitcnt lgkmcnt(0)
	v_readfirstlane_b32 s30, v1
	s_cmp_eq_u32 s30, 0
	s_cselect_b64 s[30:31], -1, 0
	s_and_b64 s[30:31], vcc, s[30:31]
	v_cmp_ne_u32_e32 vcc, 0, v2
	s_and_b64 s[30:31], vcc, s[30:31]
	s_and_saveexec_b64 vcc, s[30:31]
	s_cbranch_execz .LBB4_478
; %bb.477:                              ;   in Loop: Header=BB4_81 Depth=1
	v_mov_b32_e32 v3, 1
	buffer_wbl2 sc1
	s_waitcnt vmcnt(0)
	buffer_inv sc1
.LBB4_478:                              ;   in Loop: Header=BB4_81 Depth=1
	s_or_b64 exec, exec, vcc
.LBB4_479:                              ;   in Loop: Header=BB4_81 Depth=1
	s_andn2_saveexec_b64 s[26:27], s[26:27]
	s_cbranch_execz .LBB4_521
; %bb.480:                              ;   in Loop: Header=BB4_81 Depth=1
	s_and_saveexec_b64 vcc, s[42:43]
	s_xor_b64 s[30:31], exec, vcc
	s_cbranch_execz .LBB4_518
; %bb.481:                              ;   in Loop: Header=BB4_81 Depth=1
	s_and_saveexec_b64 s[54:55], s[12:13]
	s_cbranch_execz .LBB4_517
; %bb.482:                              ;   in Loop: Header=BB4_81 Depth=1
	s_mov_b64 s[58:59], exec
	v_mbcnt_lo_u32_b32 v1, s58, 0
	v_mbcnt_hi_u32_b32 v1, s59, v1
	v_cmp_eq_u32_e32 vcc, 0, v1
	;;#ASMSTART
	s_waitcnt lgkmcnt(0) vmcnt(0)
	;;#ASMEND
	s_and_saveexec_b64 s[56:57], vcc
	s_cbranch_execz .LBB4_484
; %bb.483:                              ;   in Loop: Header=BB4_81 Depth=1
	s_bcnt1_i32_b64 vcc_lo, s[58:59]
	v_mov_b32_e32 v48, vcc_lo
	ds_add_u64 v0, v[48:49]
	s_trap 2
.LBB4_484:                              ;   in Loop: Header=BB4_81 Depth=1
	s_or_b64 exec, exec, s[56:57]
	s_trap 2
	ds_read_b64 v[4:5], v0
	v_lshl_add_u64 v[14:15], v[14:15], 0, v[50:51]
	s_waitcnt lgkmcnt(0)
	v_cmp_lt_u64_e32 vcc, v[4:5], v[14:15]
	s_and_saveexec_b64 s[56:57], vcc
	s_cbranch_execz .LBB4_516
; %bb.485:                              ;   in Loop: Header=BB4_81 Depth=1
	s_mov_b32 s68, 0
	s_mov_b64 s[58:59], 0
                                        ; implicit-def: $sgpr60_sgpr61
                                        ; implicit-def: $sgpr62_sgpr63
	s_branch .LBB4_487
.LBB4_486:                              ;   in Loop: Header=BB4_487 Depth=2
	s_or_b64 exec, exec, s[66:67]
	s_and_b64 vcc, exec, vcc
	s_or_b64 s[58:59], vcc, s[58:59]
	s_andn2_b64 vcc, s[60:61], exec
	s_and_b64 s[60:61], s[62:63], exec
	s_or_b64 s[60:61], vcc, s[60:61]
	s_andn2_b64 exec, exec, s[58:59]
	s_cbranch_execz .LBB4_514
.LBB4_487:                              ;   Parent Loop BB4_81 Depth=1
                                        ; =>  This Inner Loop Header: Depth=2
	s_add_i32 s68, s68, 1
	s_cmpk_lg_i32 s68, 0x2710
	s_cselect_b64 s[64:65], -1, 0
	s_and_b64 vcc, exec, s[64:65]
                                        ; implicit-def: $sgpr66_sgpr67
	s_cbranch_vccnz .LBB4_489
; %bb.488:                              ;   in Loop: Header=BB4_487 Depth=2
	s_trap 2
	ds_read_b64 v[4:5], v0
	s_andn2_b64 s[64:65], s[64:65], exec
	s_mov_b32 s68, 0
	s_mov_b64 s[66:67], -1
	s_waitcnt vmcnt(0) lgkmcnt(0)
	flat_load_dword v1, v[4:5] sc0 sc1
	s_waitcnt vmcnt(0) lgkmcnt(0)
	buffer_inv sc0 sc1
	v_cmp_eq_u32_e32 vcc, 0, v1
	s_and_b64 vcc, vcc, exec
	s_or_b64 s[64:65], s[64:65], vcc
.LBB4_489:                              ;   in Loop: Header=BB4_487 Depth=2
	s_andn2_b64 s[62:63], s[62:63], exec
	s_and_b64 s[66:67], s[66:67], exec
	s_mov_b64 vcc, -1
	s_or_b64 s[62:63], s[62:63], s[66:67]
	s_and_saveexec_b64 s[66:67], s[64:65]
	s_cbranch_execz .LBB4_486
; %bb.490:                              ;   in Loop: Header=BB4_487 Depth=2
	s_sleep 1
	s_trap 2
	ds_read_b64 v[4:5], v0
	s_andn2_b64 s[62:63], s[62:63], exec
	s_waitcnt lgkmcnt(0)
	v_cmp_ge_u64_e32 vcc, v[4:5], v[14:15]
	s_orn2_b64 vcc, vcc, exec
	s_branch .LBB4_486
.LBB4_491:                              ;   in Loop: Header=BB4_81 Depth=1
	s_or_b64 exec, exec, s[62:63]
	s_and_saveexec_b64 vcc, s[64:65]
	s_xor_b64 vcc, exec, vcc
	s_cbranch_execz .LBB4_493
; %bb.492:                              ;   in Loop: Header=BB4_81 Depth=1
	ds_write_b32 v0, v46
	s_trap 2
.LBB4_493:                              ;   in Loop: Header=BB4_81 Depth=1
	s_or_b64 exec, exec, s[60:61]
	;;#ASMSTART
	s_wakeup
	;;#ASMEND
.LBB4_494:                              ;   in Loop: Header=BB4_81 Depth=1
	s_or_b64 exec, exec, s[58:59]
.LBB4_495:                              ;   in Loop: Header=BB4_81 Depth=1
	s_andn2_saveexec_b64 vcc, s[56:57]
	s_cbranch_execz .LBB4_497
; %bb.496:                              ;   in Loop: Header=BB4_81 Depth=1
	s_waitcnt lgkmcnt(0)
	s_barrier
.LBB4_497:                              ;   in Loop: Header=BB4_81 Depth=1
	s_or_b64 exec, exec, vcc
.LBB4_498:                              ;   in Loop: Header=BB4_81 Depth=1
	s_or_b64 exec, exec, s[26:27]
	v_and_b32_e32 v3, 16, v62
	s_and_saveexec_b64 s[26:27], s[20:21]
	s_xor_b64 s[26:27], exec, s[26:27]
	s_cbranch_execz .LBB4_502
; %bb.499:                              ;   in Loop: Header=BB4_81 Depth=1
	s_trap 2
	ds_read_b32 v1, v0
	v_cmp_lt_i32_e32 vcc, 0, v2
	v_and_b32_e32 v2, 16, v62
	v_and_b32_e32 v3, 16, v62
	s_waitcnt lgkmcnt(0)
	v_readfirstlane_b32 s56, v1
	s_cmp_eq_u32 s56, 0
	s_cselect_b64 s[56:57], -1, 0
	s_and_b64 s[56:57], vcc, s[56:57]
	v_cmp_ne_u32_e32 vcc, 0, v2
	s_and_b64 s[56:57], vcc, s[56:57]
	s_and_saveexec_b64 vcc, s[56:57]
	s_cbranch_execz .LBB4_501
; %bb.500:                              ;   in Loop: Header=BB4_81 Depth=1
	v_mov_b32_e32 v3, 1
	buffer_wbl2 sc1
	s_waitcnt vmcnt(0)
	buffer_inv sc1
.LBB4_501:                              ;   in Loop: Header=BB4_81 Depth=1
	s_or_b64 exec, exec, vcc
.LBB4_502:                              ;   in Loop: Header=BB4_81 Depth=1
	s_andn2_saveexec_b64 s[26:27], s[26:27]
	s_cbranch_execz .LBB4_788
; %bb.503:                              ;   in Loop: Header=BB4_81 Depth=1
	s_and_saveexec_b64 vcc, s[42:43]
	s_xor_b64 s[56:57], exec, vcc
	s_cbranch_execz .LBB4_785
; %bb.504:                              ;   in Loop: Header=BB4_81 Depth=1
	s_and_saveexec_b64 s[58:59], s[12:13]
	s_cbranch_execz .LBB4_784
; %bb.505:                              ;   in Loop: Header=BB4_81 Depth=1
	s_mov_b64 s[62:63], exec
	v_mbcnt_lo_u32_b32 v1, s62, 0
	v_mbcnt_hi_u32_b32 v1, s63, v1
	v_cmp_eq_u32_e32 vcc, 0, v1
	;;#ASMSTART
	s_waitcnt lgkmcnt(0) vmcnt(0)
	;;#ASMEND
	s_and_saveexec_b64 s[60:61], vcc
	s_cbranch_execz .LBB4_507
; %bb.506:                              ;   in Loop: Header=BB4_81 Depth=1
	s_bcnt1_i32_b64 vcc_lo, s[62:63]
	v_mov_b32_e32 v48, vcc_lo
	ds_add_u64 v0, v[48:49]
	s_trap 2
.LBB4_507:                              ;   in Loop: Header=BB4_81 Depth=1
	s_or_b64 exec, exec, s[60:61]
	s_trap 2
	ds_read_b64 v[4:5], v0
	v_lshl_add_u64 v[14:15], v[14:15], 0, v[50:51]
	s_waitcnt lgkmcnt(0)
	v_cmp_lt_u64_e32 vcc, v[4:5], v[14:15]
	s_and_saveexec_b64 s[60:61], vcc
	s_cbranch_execz .LBB4_783
; %bb.508:                              ;   in Loop: Header=BB4_81 Depth=1
	s_mov_b32 s72, 0
	s_mov_b64 s[62:63], 0
                                        ; implicit-def: $sgpr64_sgpr65
                                        ; implicit-def: $sgpr66_sgpr67
	s_branch .LBB4_510
.LBB4_509:                              ;   in Loop: Header=BB4_510 Depth=2
	s_or_b64 exec, exec, s[70:71]
	s_and_b64 vcc, exec, vcc
	s_or_b64 s[62:63], vcc, s[62:63]
	s_andn2_b64 vcc, s[64:65], exec
	s_and_b64 s[64:65], s[66:67], exec
	s_or_b64 s[64:65], vcc, s[64:65]
	s_andn2_b64 exec, exec, s[62:63]
	s_cbranch_execz .LBB4_781
.LBB4_510:                              ;   Parent Loop BB4_81 Depth=1
                                        ; =>  This Inner Loop Header: Depth=2
	s_add_i32 s72, s72, 1
	s_cmpk_lg_i32 s72, 0x2710
	s_cselect_b64 s[68:69], -1, 0
	s_and_b64 vcc, exec, s[68:69]
                                        ; implicit-def: $sgpr70_sgpr71
	s_cbranch_vccnz .LBB4_512
; %bb.511:                              ;   in Loop: Header=BB4_510 Depth=2
	s_trap 2
	ds_read_b64 v[4:5], v0
	s_andn2_b64 s[68:69], s[68:69], exec
	s_mov_b32 s72, 0
	s_mov_b64 s[70:71], -1
	s_waitcnt vmcnt(0) lgkmcnt(0)
	flat_load_dword v1, v[4:5] sc0 sc1
	s_waitcnt vmcnt(0) lgkmcnt(0)
	buffer_inv sc0 sc1
	v_cmp_eq_u32_e32 vcc, 0, v1
	s_and_b64 vcc, vcc, exec
	s_or_b64 s[68:69], s[68:69], vcc
.LBB4_512:                              ;   in Loop: Header=BB4_510 Depth=2
	s_andn2_b64 s[66:67], s[66:67], exec
	s_and_b64 s[70:71], s[70:71], exec
	s_mov_b64 vcc, -1
	s_or_b64 s[66:67], s[66:67], s[70:71]
	s_and_saveexec_b64 s[70:71], s[68:69]
	s_cbranch_execz .LBB4_509
; %bb.513:                              ;   in Loop: Header=BB4_510 Depth=2
	s_sleep 1
	s_trap 2
	ds_read_b64 v[4:5], v0
	s_andn2_b64 s[66:67], s[66:67], exec
	s_waitcnt lgkmcnt(0)
	v_cmp_ge_u64_e32 vcc, v[4:5], v[14:15]
	s_orn2_b64 vcc, vcc, exec
	s_branch .LBB4_509
.LBB4_514:                              ;   in Loop: Header=BB4_81 Depth=1
	s_or_b64 exec, exec, s[58:59]
	s_and_saveexec_b64 vcc, s[60:61]
	s_xor_b64 vcc, exec, vcc
	s_cbranch_execz .LBB4_516
; %bb.515:                              ;   in Loop: Header=BB4_81 Depth=1
	ds_write_b32 v0, v46
	s_trap 2
.LBB4_516:                              ;   in Loop: Header=BB4_81 Depth=1
	s_or_b64 exec, exec, s[56:57]
	;;#ASMSTART
	s_wakeup
	;;#ASMEND
.LBB4_517:                              ;   in Loop: Header=BB4_81 Depth=1
	s_or_b64 exec, exec, s[54:55]
.LBB4_518:                              ;   in Loop: Header=BB4_81 Depth=1
	s_andn2_saveexec_b64 vcc, s[30:31]
	s_cbranch_execz .LBB4_520
; %bb.519:                              ;   in Loop: Header=BB4_81 Depth=1
	;;#ASMSTART
	s_waitcnt lgkmcnt(0) vmcnt(0)
	;;#ASMEND
	s_barrier
.LBB4_520:                              ;   in Loop: Header=BB4_81 Depth=1
	s_or_b64 exec, exec, vcc
.LBB4_521:                              ;   in Loop: Header=BB4_81 Depth=1
	s_or_b64 exec, exec, s[26:27]
	v_cmp_ne_u32_e32 vcc, 0, v3
	s_mov_b64 s[26:27], 0
	s_mov_b64 s[30:31], 0
	s_and_saveexec_b64 s[54:55], vcc
	s_xor_b64 vcc, exec, s[54:55]
; %bb.522:                              ;   in Loop: Header=BB4_81 Depth=1
	s_and_b64 s[30:31], s[6:7], exec
	s_and_b64 s[26:27], s[10:11], exec
; %bb.523:                              ;   in Loop: Header=BB4_81 Depth=1
	s_or_b64 exec, exec, vcc
	s_and_b64 vcc, s[30:31], exec
	s_and_b64 s[26:27], s[26:27], exec
.LBB4_524:                              ;   in Loop: Header=BB4_81 Depth=1
	s_or_b64 exec, exec, s[28:29]
	s_and_b64 s[28:29], vcc, exec
	s_and_b64 s[30:31], s[26:27], exec
	s_andn2_saveexec_b64 s[52:53], s[52:53]
	s_cbranch_execnz .LBB4_89
.LBB4_525:                              ;   in Loop: Header=BB4_81 Depth=1
	s_or_b64 exec, exec, s[52:53]
	s_and_saveexec_b64 s[26:27], s[30:31]
	s_cbranch_execz .LBB4_792
.LBB4_526:                              ;   in Loop: Header=BB4_81 Depth=1
	s_or_b64 s[28:29], s[28:29], exec
	flat_store_dword v[32:33], v46 sc0 sc1
	s_or_b64 exec, exec, s[26:27]
	s_and_saveexec_b64 s[26:27], s[28:29]
	s_cbranch_execnz .LBB4_793
.LBB4_527:                              ;   in Loop: Header=BB4_81 Depth=1
	s_or_b64 exec, exec, s[26:27]
	s_andn2_b64 vcc, exec, s[48:49]
	v_min_i32_e32 v25, v10, v0
	s_cbranch_vccnz .LBB4_794
.LBB4_528:                              ;   in Loop: Header=BB4_81 Depth=1
	v_min_i32_e32 v24, v10, v0
	v_accvgpr_write_b32 a34, v25
	v_ashrrev_i32_e32 v25, 31, v24
	s_mov_b32 s68, 1
	v_mov_b32_e32 v4, 0
	v_mov_b32_e32 v1, v10
	s_and_saveexec_b64 s[52:53], s[24:25]
	s_cbranch_execnz .LBB4_602
.LBB4_529:                              ;   in Loop: Header=BB4_81 Depth=1
	s_or_b64 exec, exec, s[52:53]
	s_and_saveexec_b64 s[28:29], s[22:23]
	s_cbranch_execz .LBB4_779
.LBB4_530:                              ;   in Loop: Header=BB4_81 Depth=1
	v_and_b32_e32 v2, 12, v62
	v_cmp_ne_u32_e32 vcc, 0, v2
	s_mov_b64 s[30:31], -1
	s_and_saveexec_b64 s[26:27], vcc
	s_cbranch_execz .LBB4_542
; %bb.531:                              ;   in Loop: Header=BB4_81 Depth=1
	v_and_b32_e32 v48, 8, v62
	v_lshl_add_u64 v[6:7], v[36:37], 0, v[48:49]
	v_lshl_add_u64 v[2:3], v[38:39], 0, 4
	v_cmp_lt_u64_e32 vcc, v[6:7], v[2:3]
	v_mov_b32_e32 v5, 1
	s_and_saveexec_b64 s[30:31], vcc
	s_cbranch_execz .LBB4_541
; %bb.532:                              ;   in Loop: Header=BB4_81 Depth=1
	s_mov_b64 s[52:53], 0
	v_mov_b32_e32 v5, 0
                                        ; implicit-def: $sgpr54_sgpr55
	s_branch .LBB4_536
.LBB4_533:                              ;   in Loop: Header=BB4_536 Depth=2
	s_or_b64 exec, exec, s[62:63]
	v_mov_b32_e32 v6, 0
	s_orn2_b64 s[60:61], s[60:61], exec
.LBB4_534:                              ;   in Loop: Header=BB4_536 Depth=2
	s_or_b64 exec, exec, s[58:59]
	s_andn2_b64 vcc, s[54:55], exec
	s_and_b64 s[54:55], s[60:61], exec
	s_or_b64 s[54:55], vcc, s[54:55]
	v_mov_b32_e32 v5, v6
.LBB4_535:                              ;   in Loop: Header=BB4_536 Depth=2
	s_or_b64 exec, exec, s[56:57]
	s_waitcnt vmcnt(0) lgkmcnt(0)
	v_lshl_add_u64 v[6:7], v[36:37], 0, v[48:49]
	v_cmp_ge_u64_e32 vcc, v[6:7], v[2:3]
	s_xor_b64 s[56:57], s[54:55], -1
	s_or_b64 vcc, s[56:57], vcc
	s_and_b64 vcc, exec, vcc
	s_or_b64 s[52:53], vcc, s[52:53]
	s_andn2_b64 exec, exec, s[52:53]
	s_cbranch_execz .LBB4_540
.LBB4_536:                              ;   Parent Loop BB4_81 Depth=1
                                        ; =>  This Inner Loop Header: Depth=2
	s_sleep 1
	flat_load_dwordx2 v[36:37], v[26:27] sc0 sc1
	v_and_b32_e32 v6, 64, v62
	v_cmp_eq_u32_e32 vcc, 0, v6
	s_andn2_b64 s[54:55], s[54:55], exec
	s_and_saveexec_b64 s[56:57], vcc
	s_cbranch_execz .LBB4_535
; %bb.537:                              ;   in Loop: Header=BB4_536 Depth=2
	v_add_u32_e32 v6, 1, v5
	v_cmp_lt_i32_e32 vcc, s76, v5
	s_mov_b64 s[60:61], -1
	s_and_saveexec_b64 s[58:59], vcc
	s_cbranch_execz .LBB4_534
; %bb.538:                              ;   in Loop: Header=BB4_536 Depth=2
	s_trap 2
	ds_read_b64 v[6:7], v0
	s_waitcnt vmcnt(0) lgkmcnt(0)
	flat_load_dword v5, v[6:7] sc0 sc1
	s_waitcnt vmcnt(0) lgkmcnt(0)
	buffer_inv sc0 sc1
	v_cmp_ne_u32_e32 vcc, 0, v5
	s_and_saveexec_b64 s[62:63], vcc
	s_cbranch_execz .LBB4_533
; %bb.539:                              ;   in Loop: Header=BB4_536 Depth=2
	v_or_b32_e32 v62, 64, v62
	s_xor_b64 s[60:61], exec, -1
	ds_write_b32 v0, v5
	s_trap 2
	s_branch .LBB4_533
.LBB4_540:                              ;   in Loop: Header=BB4_81 Depth=1
	s_or_b64 exec, exec, s[52:53]
	v_and_b32_e32 v5, 12, v62
.LBB4_541:                              ;   in Loop: Header=BB4_81 Depth=1
	s_or_b64 exec, exec, s[30:31]
	v_cmp_eq_u32_e32 vcc, 0, v5
	s_orn2_b64 s[30:31], vcc, exec
	;;#ASMSTART
	s_wakeup
	;;#ASMEND
.LBB4_542:                              ;   in Loop: Header=BB4_81 Depth=1
	s_or_b64 exec, exec, s[26:27]
	v_sub_u32_e32 v2, v0, v4
	s_xor_b64 s[26:27], s[30:31], -1
	v_min_i32_e32 v2, v1, v2
	s_and_saveexec_b64 s[30:31], s[26:27]
	s_cbranch_execz .LBB4_566
; %bb.543:                              ;   in Loop: Header=BB4_81 Depth=1
	v_and_b32_e32 v1, 0x108, v62
	v_cmp_ne_u32_e32 vcc, s77, v1
	v_and_b32_e32 v4, 7, v38
	s_and_saveexec_b64 s[26:27], vcc
	s_xor_b64 s[26:27], exec, s[26:27]
	s_andn2_saveexec_b64 s[26:27], s[26:27]
	s_cbranch_execz .LBB4_545
; %bb.544:                              ;   in Loop: Header=BB4_81 Depth=1
	v_accvgpr_read_b32 v6, a18
	v_accvgpr_read_b32 v7, a19
	v_mad_u64_u32 v[6:7], vcc, v4, 24, v[6:7]
	v_ashrrev_i32_e32 v3, 31, v2
	flat_store_dwordx2 v[6:7], v[2:3] offset:8
.LBB4_545:                              ;   in Loop: Header=BB4_81 Depth=1
	s_or_b64 exec, exec, s[26:27]
	v_and_b32_e32 v1, 0x100, v62
	v_cmp_ne_u32_e32 vcc, 0, v1
	s_mov_b64 s[26:27], -1
                                        ; implicit-def: $vgpr52_vgpr53
	s_and_saveexec_b64 s[52:53], vcc
	s_cbranch_execz .LBB4_549
; %bb.546:                              ;   in Loop: Header=BB4_81 Depth=1
	v_accvgpr_read_b32 v6, a18
	v_accvgpr_read_b32 v7, a19
	v_mad_u64_u32 v[40:41], s[26:27], v4, 24, v[6:7]
	v_mov_b32_e32 v6, v41
	v_mad_u64_u32 v[6:7], s[26:27], v49, 24, v[6:7]
	v_mov_b32_e32 v41, v6
	flat_load_dword v1, v[40:41]
                                        ; implicit-def: $vgpr52_vgpr53
	s_waitcnt vmcnt(0) lgkmcnt(0)
	v_cmp_ne_u32_e32 vcc, 1, v1
	v_cmp_eq_u32_e64 s[26:27], 1, v1
	s_and_saveexec_b64 s[54:55], s[26:27]
	s_cbranch_execz .LBB4_548
; %bb.547:                              ;   in Loop: Header=BB4_81 Depth=1
	flat_load_dword v52, v[40:41] offset:4 sc0 sc1
	s_waitcnt vmcnt(0) lgkmcnt(0)
	v_ashrrev_i32_e32 v53, 31, v52
.LBB4_548:                              ;   in Loop: Header=BB4_81 Depth=1
	s_or_b64 exec, exec, s[54:55]
	s_orn2_b64 s[26:27], vcc, exec
.LBB4_549:                              ;   in Loop: Header=BB4_81 Depth=1
	s_or_b64 exec, exec, s[52:53]
	s_and_saveexec_b64 vcc, s[26:27]
; %bb.550:                              ;   in Loop: Header=BB4_81 Depth=1
	v_accvgpr_read_b32 v3, a21
	v_mul_lo_u32 v1, v49, v28
	v_mul_lo_u32 v3, v4, v3
	v_mad_u64_u32 v[52:53], s[26:27], v4, v28, 0
	v_add3_u32 v53, v53, v3, v1
; %bb.551:                              ;   in Loop: Header=BB4_81 Depth=1
	s_or_b64 exec, exec, vcc
	v_and_b32_e32 v1, 0x2000, v62
	v_lshl_add_u64 v[4:5], v[12:13], 0, v[52:53]
	v_cmp_ne_u32_e32 vcc, 0, v1
	s_trap 2
	ds_write_b64 v0, v[4:5]
	s_and_saveexec_b64 s[26:27], vcc
	s_cbranch_execz .LBB4_553
; %bb.552:                              ;   in Loop: Header=BB4_81 Depth=1
	ds_read_b64 v[4:5], v0 offset:584
	s_waitcnt lgkmcnt(0)
	v_lshl_add_u64 v[4:5], v[4:5], 0, 1
	ds_write_b64 v0, v[4:5] offset:584
.LBB4_553:                              ;   in Loop: Header=BB4_81 Depth=1
	s_or_b64 exec, exec, s[26:27]
	v_lshl_add_u64 v[38:39], v[38:39], 0, 4
	s_or_b64 exec, exec, s[30:31]
	s_and_saveexec_b64 s[26:27], s[4:5]
	s_cbranch_execnz .LBB4_567
.LBB4_554:                              ;   in Loop: Header=BB4_81 Depth=1
	s_or_b64 exec, exec, s[26:27]
                                        ; implicit-def: $vgpr1
	s_and_saveexec_b64 s[26:27], s[50:51]
	s_xor_b64 s[26:27], exec, s[26:27]
	s_cbranch_execz .LBB4_592
.LBB4_555:                              ;   in Loop: Header=BB4_81 Depth=1
	s_and_saveexec_b64 vcc, s[42:43]
	s_xor_b64 s[30:31], exec, vcc
	s_cbranch_execz .LBB4_582
; %bb.556:                              ;   in Loop: Header=BB4_81 Depth=1
	s_and_saveexec_b64 s[52:53], s[12:13]
	s_cbranch_execz .LBB4_581
; %bb.557:                              ;   in Loop: Header=BB4_81 Depth=1
	s_mov_b64 s[56:57], exec
	v_mbcnt_lo_u32_b32 v1, s56, 0
	v_mbcnt_hi_u32_b32 v1, s57, v1
	v_cmp_eq_u32_e32 vcc, 0, v1
	;;#ASMSTART
	s_waitcnt lgkmcnt(0) vmcnt(0)
	;;#ASMEND
	s_and_saveexec_b64 s[54:55], vcc
	s_cbranch_execz .LBB4_559
; %bb.558:                              ;   in Loop: Header=BB4_81 Depth=1
	s_bcnt1_i32_b64 vcc_lo, s[56:57]
	v_mov_b32_e32 v48, vcc_lo
	ds_add_u64 v0, v[48:49]
	s_trap 2
.LBB4_559:                              ;   in Loop: Header=BB4_81 Depth=1
	s_or_b64 exec, exec, s[54:55]
	s_trap 2
	ds_read_b64 v[2:3], v0
	v_lshl_add_u64 v[14:15], v[14:15], 0, v[50:51]
	s_waitcnt lgkmcnt(0)
	v_cmp_lt_u64_e32 vcc, v[2:3], v[14:15]
	s_and_saveexec_b64 s[54:55], vcc
	s_cbranch_execz .LBB4_580
; %bb.560:                              ;   in Loop: Header=BB4_81 Depth=1
	s_mov_b32 s66, 0
	s_mov_b64 s[56:57], 0
                                        ; implicit-def: $sgpr58_sgpr59
                                        ; implicit-def: $sgpr60_sgpr61
	s_branch .LBB4_562
.LBB4_561:                              ;   in Loop: Header=BB4_562 Depth=2
	s_or_b64 exec, exec, s[64:65]
	s_and_b64 vcc, exec, vcc
	s_or_b64 s[56:57], vcc, s[56:57]
	s_andn2_b64 vcc, s[58:59], exec
	s_and_b64 s[58:59], s[60:61], exec
	s_or_b64 s[58:59], vcc, s[58:59]
	s_andn2_b64 exec, exec, s[56:57]
	s_cbranch_execz .LBB4_578
.LBB4_562:                              ;   Parent Loop BB4_81 Depth=1
                                        ; =>  This Inner Loop Header: Depth=2
	s_add_i32 s66, s66, 1
	s_cmpk_lg_i32 s66, 0x2710
	s_cselect_b64 s[62:63], -1, 0
	s_and_b64 vcc, exec, s[62:63]
                                        ; implicit-def: $sgpr64_sgpr65
	s_cbranch_vccnz .LBB4_564
; %bb.563:                              ;   in Loop: Header=BB4_562 Depth=2
	s_trap 2
	ds_read_b64 v[2:3], v0
	s_andn2_b64 s[62:63], s[62:63], exec
	s_mov_b32 s66, 0
	s_mov_b64 s[64:65], -1
	s_waitcnt vmcnt(0) lgkmcnt(0)
	flat_load_dword v1, v[2:3] sc0 sc1
	s_waitcnt vmcnt(0) lgkmcnt(0)
	buffer_inv sc0 sc1
	v_cmp_eq_u32_e32 vcc, 0, v1
	s_and_b64 vcc, vcc, exec
	s_or_b64 s[62:63], s[62:63], vcc
.LBB4_564:                              ;   in Loop: Header=BB4_562 Depth=2
	s_andn2_b64 s[60:61], s[60:61], exec
	s_and_b64 s[64:65], s[64:65], exec
	s_mov_b64 vcc, -1
	s_or_b64 s[60:61], s[60:61], s[64:65]
	s_and_saveexec_b64 s[64:65], s[62:63]
	s_cbranch_execz .LBB4_561
; %bb.565:                              ;   in Loop: Header=BB4_562 Depth=2
	s_sleep 1
	s_trap 2
	ds_read_b64 v[2:3], v0
	s_andn2_b64 s[60:61], s[60:61], exec
	s_waitcnt lgkmcnt(0)
	v_cmp_ge_u64_e32 vcc, v[2:3], v[14:15]
	s_orn2_b64 vcc, vcc, exec
	s_branch .LBB4_561
.LBB4_566:                              ;   in Loop: Header=BB4_81 Depth=1
	s_or_b64 exec, exec, s[30:31]
	s_and_saveexec_b64 s[26:27], s[4:5]
	s_cbranch_execz .LBB4_554
.LBB4_567:                              ;   in Loop: Header=BB4_81 Depth=1
	s_and_saveexec_b64 vcc, s[42:43]
	s_xor_b64 s[30:31], exec, vcc
	s_cbranch_execz .LBB4_589
; %bb.568:                              ;   in Loop: Header=BB4_81 Depth=1
	s_and_saveexec_b64 s[52:53], s[12:13]
	s_cbranch_execz .LBB4_588
; %bb.569:                              ;   in Loop: Header=BB4_81 Depth=1
	s_mov_b64 s[56:57], exec
	v_mbcnt_lo_u32_b32 v1, s56, 0
	v_mbcnt_hi_u32_b32 v1, s57, v1
	v_cmp_eq_u32_e32 vcc, 0, v1
	s_waitcnt lgkmcnt(0)
	s_and_saveexec_b64 s[54:55], vcc
	s_cbranch_execz .LBB4_571
; %bb.570:                              ;   in Loop: Header=BB4_81 Depth=1
	s_bcnt1_i32_b64 vcc_lo, s[56:57]
	v_mov_b32_e32 v48, vcc_lo
	ds_add_u64 v0, v[48:49]
	s_trap 2
.LBB4_571:                              ;   in Loop: Header=BB4_81 Depth=1
	s_or_b64 exec, exec, s[54:55]
	s_trap 2
	ds_read_b64 v[4:5], v0
	v_lshl_add_u64 v[14:15], v[14:15], 0, v[50:51]
	s_waitcnt lgkmcnt(0)
	v_cmp_lt_u64_e32 vcc, v[4:5], v[14:15]
	s_and_saveexec_b64 s[54:55], vcc
	s_cbranch_execz .LBB4_587
; %bb.572:                              ;   in Loop: Header=BB4_81 Depth=1
	s_mov_b32 s66, 0
	s_mov_b64 s[56:57], 0
                                        ; implicit-def: $sgpr58_sgpr59
                                        ; implicit-def: $sgpr60_sgpr61
	s_branch .LBB4_574
.LBB4_573:                              ;   in Loop: Header=BB4_574 Depth=2
	s_or_b64 exec, exec, s[64:65]
	s_and_b64 vcc, exec, vcc
	s_or_b64 s[56:57], vcc, s[56:57]
	s_andn2_b64 vcc, s[58:59], exec
	s_and_b64 s[58:59], s[60:61], exec
	s_or_b64 s[58:59], vcc, s[58:59]
	s_andn2_b64 exec, exec, s[56:57]
	s_cbranch_execz .LBB4_585
.LBB4_574:                              ;   Parent Loop BB4_81 Depth=1
                                        ; =>  This Inner Loop Header: Depth=2
	s_add_i32 s66, s66, 1
	s_cmpk_lg_i32 s66, 0x2710
	s_cselect_b64 s[62:63], -1, 0
	s_and_b64 vcc, exec, s[62:63]
                                        ; implicit-def: $sgpr64_sgpr65
	s_cbranch_vccnz .LBB4_576
; %bb.575:                              ;   in Loop: Header=BB4_574 Depth=2
	s_trap 2
	ds_read_b64 v[4:5], v0
	s_andn2_b64 s[62:63], s[62:63], exec
	s_mov_b32 s66, 0
	s_mov_b64 s[64:65], -1
	s_waitcnt vmcnt(0) lgkmcnt(0)
	flat_load_dword v1, v[4:5] sc0 sc1
	s_waitcnt vmcnt(0) lgkmcnt(0)
	buffer_inv sc0 sc1
	v_cmp_eq_u32_e32 vcc, 0, v1
	s_and_b64 vcc, vcc, exec
	s_or_b64 s[62:63], s[62:63], vcc
.LBB4_576:                              ;   in Loop: Header=BB4_574 Depth=2
	s_andn2_b64 s[60:61], s[60:61], exec
	s_and_b64 s[64:65], s[64:65], exec
	s_mov_b64 vcc, -1
	s_or_b64 s[60:61], s[60:61], s[64:65]
	s_and_saveexec_b64 s[64:65], s[62:63]
	s_cbranch_execz .LBB4_573
; %bb.577:                              ;   in Loop: Header=BB4_574 Depth=2
	s_sleep 1
	s_trap 2
	ds_read_b64 v[4:5], v0
	s_andn2_b64 s[60:61], s[60:61], exec
	s_waitcnt lgkmcnt(0)
	v_cmp_ge_u64_e32 vcc, v[4:5], v[14:15]
	s_orn2_b64 vcc, vcc, exec
	s_branch .LBB4_573
.LBB4_578:                              ;   in Loop: Header=BB4_81 Depth=1
	s_or_b64 exec, exec, s[56:57]
	s_and_saveexec_b64 vcc, s[58:59]
	s_xor_b64 vcc, exec, vcc
	s_cbranch_execz .LBB4_580
; %bb.579:                              ;   in Loop: Header=BB4_81 Depth=1
	ds_write_b32 v0, v46
	s_trap 2
.LBB4_580:                              ;   in Loop: Header=BB4_81 Depth=1
	s_or_b64 exec, exec, s[54:55]
	;;#ASMSTART
	s_wakeup
	;;#ASMEND
.LBB4_581:                              ;   in Loop: Header=BB4_81 Depth=1
	s_or_b64 exec, exec, s[52:53]
.LBB4_582:                              ;   in Loop: Header=BB4_81 Depth=1
	s_andn2_saveexec_b64 vcc, s[30:31]
	s_cbranch_execz .LBB4_584
; %bb.583:                              ;   in Loop: Header=BB4_81 Depth=1
	;;#ASMSTART
	s_waitcnt lgkmcnt(0) vmcnt(0)
	;;#ASMEND
	s_barrier
.LBB4_584:                              ;   in Loop: Header=BB4_81 Depth=1
	s_or_b64 exec, exec, vcc
	v_and_b32_e32 v1, 16, v62
                                        ; implicit-def: $vgpr2
	s_andn2_saveexec_b64 s[26:27], s[26:27]
	s_cbranch_execz .LBB4_596
	s_branch .LBB4_593
.LBB4_585:                              ;   in Loop: Header=BB4_81 Depth=1
	s_or_b64 exec, exec, s[56:57]
	s_and_saveexec_b64 vcc, s[58:59]
	s_xor_b64 vcc, exec, vcc
	s_cbranch_execz .LBB4_587
; %bb.586:                              ;   in Loop: Header=BB4_81 Depth=1
	ds_write_b32 v0, v46
	s_trap 2
.LBB4_587:                              ;   in Loop: Header=BB4_81 Depth=1
	s_or_b64 exec, exec, s[54:55]
	;;#ASMSTART
	s_wakeup
	;;#ASMEND
.LBB4_588:                              ;   in Loop: Header=BB4_81 Depth=1
	s_or_b64 exec, exec, s[52:53]
.LBB4_589:                              ;   in Loop: Header=BB4_81 Depth=1
	s_andn2_saveexec_b64 vcc, s[30:31]
	s_cbranch_execz .LBB4_591
; %bb.590:                              ;   in Loop: Header=BB4_81 Depth=1
	s_waitcnt lgkmcnt(0)
	s_barrier
.LBB4_591:                              ;   in Loop: Header=BB4_81 Depth=1
	s_or_b64 exec, exec, vcc
	s_or_b64 exec, exec, s[26:27]
                                        ; implicit-def: $vgpr1
	s_and_saveexec_b64 s[26:27], s[50:51]
	s_xor_b64 s[26:27], exec, s[26:27]
	s_cbranch_execnz .LBB4_555
.LBB4_592:                              ;   in Loop: Header=BB4_81 Depth=1
	s_andn2_saveexec_b64 s[26:27], s[26:27]
	s_cbranch_execz .LBB4_596
.LBB4_593:                              ;   in Loop: Header=BB4_81 Depth=1
	s_trap 2
	ds_read_b32 v3, v0
	v_cmp_lt_i32_e32 vcc, 0, v2
	v_and_b32_e32 v2, 16, v62
	v_and_b32_e32 v1, 16, v62
	s_waitcnt lgkmcnt(0)
	v_readfirstlane_b32 s30, v3
	s_cmp_eq_u32 s30, 0
	s_cselect_b64 s[30:31], -1, 0
	s_and_b64 s[30:31], vcc, s[30:31]
	v_cmp_ne_u32_e32 vcc, 0, v2
	s_and_b64 s[30:31], vcc, s[30:31]
	s_and_saveexec_b64 vcc, s[30:31]
	s_cbranch_execz .LBB4_595
; %bb.594:                              ;   in Loop: Header=BB4_81 Depth=1
	v_mov_b32_e32 v1, 1
	buffer_wbl2 sc1
	s_waitcnt vmcnt(0)
	buffer_inv sc1
.LBB4_595:                              ;   in Loop: Header=BB4_81 Depth=1
	s_or_b64 exec, exec, vcc
.LBB4_596:                              ;   in Loop: Header=BB4_81 Depth=1
	s_or_b64 exec, exec, s[26:27]
	v_cmp_ne_u32_e32 vcc, 0, v1
	s_xor_b64 s[26:27], s[6:7], -1
	s_and_b64 vcc, vcc, s[26:27]
	s_and_saveexec_b64 s[26:27], vcc
	s_cbranch_execz .LBB4_598
; %bb.597:                              ;   in Loop: Header=BB4_81 Depth=1
	flat_store_dword v[32:33], v46 sc0 sc1
.LBB4_598:                              ;   in Loop: Header=BB4_81 Depth=1
	s_or_b64 exec, exec, s[26:27]
	v_and_b32_e32 v1, 48, v62
	v_cmp_ne_u32_e32 vcc, 0, v1
	s_and_saveexec_b64 s[26:27], vcc
	s_cbranch_execz .LBB4_600
; %bb.599:                              ;   in Loop: Header=BB4_81 Depth=1
	v_lshl_add_u64 v[38:39], v[38:39], 0, 4
	flat_store_dwordx2 v[26:27], v[38:39] sc0 sc1
.LBB4_600:                              ;   in Loop: Header=BB4_81 Depth=1
	s_or_b64 exec, exec, s[26:27]
	s_or_b64 exec, exec, s[28:29]
	s_add_i32 s26, s68, 1
	s_cmp_eq_u32 s68, s79
	s_cbranch_scc1 .LBB4_780
.LBB4_601:                              ;   in Loop: Header=BB4_81 Depth=1
	s_mov_b32 s68, s26
	v_mov_b32_e32 v4, 0
	v_mov_b32_e32 v1, v10
	s_and_saveexec_b64 s[52:53], s[24:25]
	s_cbranch_execz .LBB4_529
.LBB4_602:                              ;   in Loop: Header=BB4_81 Depth=1
	s_and_saveexec_b64 s[26:27], s[0:1]
	s_cbranch_execz .LBB4_604
; %bb.603:                              ;   in Loop: Header=BB4_81 Depth=1
	s_sub_i32 s28, s74, s68
	s_ashr_i32 s29, s28, 31
	s_lshl_b64 s[28:29], s[28:29], 2
	v_lshl_add_u64 v[2:3], v[18:19], 0, s[28:29]
	flat_load_dword v1, v[2:3]
	s_trap 2
	ds_read_b128 v[2:5], v0
	s_waitcnt lgkmcnt(0)
	v_cmp_ne_u64_e32 vcc, 0, v[4:5]
	s_waitcnt vmcnt(0)
	v_ashrrev_i32_e32 v8, 31, v1
	v_mul_lo_u32 v9, v21, v1
	v_mad_u64_u32 v[6:7], s[28:29], v20, v1, v[30:31]
	v_mul_lo_u32 v1, v20, v8
	v_add3_u32 v7, v9, v7, v1
	v_lshl_add_u64 v[2:3], v[2:3], 0, v[6:7]
	v_lshl_add_u64 v[6:7], v[4:5], 0, v[6:7]
	ds_write_b64 v0, v[2:3]
	v_cndmask_b32_e32 v3, 0, v7, vcc
	v_cndmask_b32_e32 v2, 0, v6, vcc
	ds_write_b64 v0, v[2:3]
.LBB4_604:                              ;   in Loop: Header=BB4_81 Depth=1
	s_or_b64 exec, exec, s[26:27]
	v_and_b32_e32 v1, 12, v62
	v_cmp_ne_u32_e32 vcc, 0, v1
	s_mov_b64 s[28:29], -1
	s_and_saveexec_b64 s[26:27], vcc
	s_cbranch_execz .LBB4_614
; %bb.605:                              ;   in Loop: Header=BB4_81 Depth=1
	v_and_b32_e32 v48, 8, v62
	v_lshl_add_u64 v[4:5], v[36:37], 0, v[48:49]
	v_lshl_add_u64 v[2:3], v[38:39], 0, 4
	v_cmp_lt_u64_e32 vcc, v[4:5], v[2:3]
	v_mov_b32_e32 v1, 1
	s_and_saveexec_b64 s[28:29], vcc
	s_cbranch_execz .LBB4_627
; %bb.606:                              ;   in Loop: Header=BB4_81 Depth=1
	s_mov_b64 s[30:31], 0
	v_mov_b32_e32 v1, 0
                                        ; implicit-def: $sgpr54_sgpr55
	s_branch .LBB4_610
.LBB4_607:                              ;   in Loop: Header=BB4_610 Depth=2
	s_or_b64 exec, exec, s[62:63]
	v_mov_b32_e32 v4, 0
	s_orn2_b64 s[60:61], s[60:61], exec
.LBB4_608:                              ;   in Loop: Header=BB4_610 Depth=2
	s_or_b64 exec, exec, s[58:59]
	s_andn2_b64 vcc, s[54:55], exec
	s_and_b64 s[54:55], s[60:61], exec
	s_or_b64 s[54:55], vcc, s[54:55]
	v_mov_b32_e32 v1, v4
.LBB4_609:                              ;   in Loop: Header=BB4_610 Depth=2
	s_or_b64 exec, exec, s[56:57]
	s_waitcnt vmcnt(0) lgkmcnt(0)
	v_lshl_add_u64 v[4:5], v[36:37], 0, v[48:49]
	v_cmp_ge_u64_e32 vcc, v[4:5], v[2:3]
	s_xor_b64 s[56:57], s[54:55], -1
	s_or_b64 vcc, s[56:57], vcc
	s_and_b64 vcc, exec, vcc
	s_or_b64 s[30:31], vcc, s[30:31]
	s_andn2_b64 exec, exec, s[30:31]
	s_cbranch_execz .LBB4_626
.LBB4_610:                              ;   Parent Loop BB4_81 Depth=1
                                        ; =>  This Inner Loop Header: Depth=2
	s_sleep 1
	flat_load_dwordx2 v[36:37], v[26:27] sc0 sc1
	v_and_b32_e32 v4, 64, v62
	v_cmp_eq_u32_e32 vcc, 0, v4
	s_andn2_b64 s[54:55], s[54:55], exec
	s_and_saveexec_b64 s[56:57], vcc
	s_cbranch_execz .LBB4_609
; %bb.611:                              ;   in Loop: Header=BB4_610 Depth=2
	v_add_u32_e32 v4, 1, v1
	v_cmp_lt_i32_e32 vcc, s76, v1
	s_mov_b64 s[60:61], -1
	s_and_saveexec_b64 s[58:59], vcc
	s_cbranch_execz .LBB4_608
; %bb.612:                              ;   in Loop: Header=BB4_610 Depth=2
	s_trap 2
	ds_read_b64 v[4:5], v0
	s_waitcnt vmcnt(0) lgkmcnt(0)
	flat_load_dword v1, v[4:5] sc0 sc1
	s_waitcnt vmcnt(0) lgkmcnt(0)
	buffer_inv sc0 sc1
	v_cmp_ne_u32_e32 vcc, 0, v1
	s_and_saveexec_b64 s[62:63], vcc
	s_cbranch_execz .LBB4_607
; %bb.613:                              ;   in Loop: Header=BB4_610 Depth=2
	v_or_b32_e32 v62, 64, v62
	s_xor_b64 s[60:61], exec, -1
	ds_write_b32 v0, v1
	s_trap 2
	s_branch .LBB4_607
.LBB4_614:                              ;   in Loop: Header=BB4_81 Depth=1
	s_or_b64 exec, exec, s[26:27]
	s_xor_b64 s[26:27], s[28:29], -1
	s_and_saveexec_b64 s[28:29], s[26:27]
	s_cbranch_execz .LBB4_628
.LBB4_615:                              ;   in Loop: Header=BB4_81 Depth=1
	v_and_b32_e32 v1, 0x108, v62
	v_cmp_ne_u32_e32 vcc, s77, v1
	v_and_b32_e32 v2, 7, v38
	s_and_saveexec_b64 s[26:27], vcc
	s_xor_b64 s[26:27], exec, s[26:27]
	s_andn2_saveexec_b64 s[26:27], s[26:27]
	s_cbranch_execz .LBB4_617
; %bb.616:                              ;   in Loop: Header=BB4_81 Depth=1
	v_accvgpr_read_b32 v4, a18
	v_accvgpr_read_b32 v5, a19
	v_mad_u64_u32 v[4:5], vcc, v2, 24, v[4:5]
	flat_store_dwordx2 v[4:5], v[24:25] offset:8
.LBB4_617:                              ;   in Loop: Header=BB4_81 Depth=1
	s_or_b64 exec, exec, s[26:27]
	v_and_b32_e32 v1, 0x100, v62
	v_cmp_ne_u32_e32 vcc, 0, v1
	s_mov_b64 s[26:27], -1
                                        ; implicit-def: $vgpr4_vgpr5
	s_and_saveexec_b64 s[30:31], vcc
	s_cbranch_execz .LBB4_621
; %bb.618:                              ;   in Loop: Header=BB4_81 Depth=1
	v_accvgpr_read_b32 v4, a18
	v_accvgpr_read_b32 v5, a19
	v_mad_u64_u32 v[52:53], s[26:27], v2, 24, v[4:5]
	v_mov_b32_e32 v4, v53
	v_mad_u64_u32 v[4:5], s[26:27], v49, 24, v[4:5]
	v_mov_b32_e32 v53, v4
	flat_load_dword v1, v[52:53]
                                        ; implicit-def: $vgpr4_vgpr5
	s_waitcnt vmcnt(0) lgkmcnt(0)
	v_cmp_ne_u32_e32 vcc, 1, v1
	v_cmp_eq_u32_e64 s[26:27], 1, v1
	s_and_saveexec_b64 s[54:55], s[26:27]
	s_cbranch_execz .LBB4_620
; %bb.619:                              ;   in Loop: Header=BB4_81 Depth=1
	flat_load_dword v4, v[52:53] offset:4 sc0 sc1
	s_waitcnt vmcnt(0) lgkmcnt(0)
	v_ashrrev_i32_e32 v5, 31, v4
.LBB4_620:                              ;   in Loop: Header=BB4_81 Depth=1
	s_or_b64 exec, exec, s[54:55]
	s_orn2_b64 s[26:27], vcc, exec
.LBB4_621:                              ;   in Loop: Header=BB4_81 Depth=1
	s_or_b64 exec, exec, s[30:31]
	s_and_saveexec_b64 vcc, s[26:27]
; %bb.622:                              ;   in Loop: Header=BB4_81 Depth=1
	v_accvgpr_read_b32 v3, a21
	v_mul_lo_u32 v1, v49, v28
	v_mul_lo_u32 v3, v2, v3
	v_mad_u64_u32 v[4:5], s[26:27], v2, v28, 0
	v_add3_u32 v5, v5, v3, v1
; %bb.623:                              ;   in Loop: Header=BB4_81 Depth=1
	s_or_b64 exec, exec, vcc
	v_and_b32_e32 v1, 0x2000, v62
	v_lshl_add_u64 v[2:3], v[12:13], 0, v[4:5]
	v_cmp_ne_u32_e32 vcc, 0, v1
	s_trap 2
	ds_write_b64 v0, v[2:3]
	s_and_saveexec_b64 s[26:27], vcc
	s_cbranch_execz .LBB4_625
; %bb.624:                              ;   in Loop: Header=BB4_81 Depth=1
	ds_read_b64 v[2:3], v0 offset:584
	s_waitcnt lgkmcnt(0)
	v_lshl_add_u64 v[2:3], v[2:3], 0, 1
	ds_write_b64 v0, v[2:3] offset:584
.LBB4_625:                              ;   in Loop: Header=BB4_81 Depth=1
	s_or_b64 exec, exec, s[26:27]
	v_lshl_add_u64 v[38:39], v[38:39], 0, 4
	s_or_b64 exec, exec, s[28:29]
	s_and_saveexec_b64 s[26:27], s[4:5]
	s_cbranch_execz .LBB4_647
	s_branch .LBB4_629
.LBB4_626:                              ;   in Loop: Header=BB4_81 Depth=1
	s_or_b64 exec, exec, s[30:31]
	v_and_b32_e32 v1, 12, v62
.LBB4_627:                              ;   in Loop: Header=BB4_81 Depth=1
	s_or_b64 exec, exec, s[28:29]
	v_cmp_eq_u32_e32 vcc, 0, v1
	s_orn2_b64 s[28:29], vcc, exec
	;;#ASMSTART
	s_wakeup
	;;#ASMEND
	s_or_b64 exec, exec, s[26:27]
	s_xor_b64 s[26:27], s[28:29], -1
	s_and_saveexec_b64 s[28:29], s[26:27]
	s_cbranch_execnz .LBB4_615
.LBB4_628:                              ;   in Loop: Header=BB4_81 Depth=1
	s_or_b64 exec, exec, s[28:29]
	s_and_saveexec_b64 s[26:27], s[4:5]
	s_cbranch_execz .LBB4_647
.LBB4_629:                              ;   in Loop: Header=BB4_81 Depth=1
	s_and_saveexec_b64 s[28:29], s[42:43]
	s_xor_b64 s[28:29], exec, s[28:29]
	s_cbranch_execz .LBB4_644
; %bb.630:                              ;   in Loop: Header=BB4_81 Depth=1
	s_and_saveexec_b64 s[30:31], s[12:13]
	s_cbranch_execz .LBB4_643
; %bb.631:                              ;   in Loop: Header=BB4_81 Depth=1
	s_mov_b64 s[56:57], exec
	v_mbcnt_lo_u32_b32 v1, s56, 0
	v_mbcnt_hi_u32_b32 v1, s57, v1
	v_cmp_eq_u32_e32 vcc, 0, v1
	s_waitcnt lgkmcnt(0)
	s_and_saveexec_b64 s[54:55], vcc
	s_cbranch_execz .LBB4_633
; %bb.632:                              ;   in Loop: Header=BB4_81 Depth=1
	s_bcnt1_i32_b64 vcc_lo, s[56:57]
	v_mov_b32_e32 v48, vcc_lo
	ds_add_u64 v0, v[48:49]
	s_trap 2
.LBB4_633:                              ;   in Loop: Header=BB4_81 Depth=1
	s_or_b64 exec, exec, s[54:55]
	s_trap 2
	ds_read_b64 v[2:3], v0
	v_lshl_add_u64 v[14:15], v[14:15], 0, v[50:51]
	s_waitcnt lgkmcnt(0)
	v_cmp_lt_u64_e32 vcc, v[2:3], v[14:15]
	s_and_saveexec_b64 s[54:55], vcc
	s_cbranch_execz .LBB4_642
; %bb.634:                              ;   in Loop: Header=BB4_81 Depth=1
	s_mov_b32 s66, 0
	s_mov_b64 s[56:57], 0
                                        ; implicit-def: $sgpr58_sgpr59
                                        ; implicit-def: $sgpr60_sgpr61
	s_branch .LBB4_636
.LBB4_635:                              ;   in Loop: Header=BB4_636 Depth=2
	s_or_b64 exec, exec, s[64:65]
	s_and_b64 vcc, exec, vcc
	s_or_b64 s[56:57], vcc, s[56:57]
	s_andn2_b64 vcc, s[58:59], exec
	s_and_b64 s[58:59], s[60:61], exec
	s_or_b64 s[58:59], vcc, s[58:59]
	s_andn2_b64 exec, exec, s[56:57]
	s_cbranch_execz .LBB4_640
.LBB4_636:                              ;   Parent Loop BB4_81 Depth=1
                                        ; =>  This Inner Loop Header: Depth=2
	s_add_i32 s66, s66, 1
	s_cmpk_lg_i32 s66, 0x2710
	s_cselect_b64 s[62:63], -1, 0
	s_and_b64 vcc, exec, s[62:63]
                                        ; implicit-def: $sgpr64_sgpr65
	s_cbranch_vccnz .LBB4_638
; %bb.637:                              ;   in Loop: Header=BB4_636 Depth=2
	s_trap 2
	ds_read_b64 v[2:3], v0
	s_andn2_b64 s[62:63], s[62:63], exec
	s_mov_b32 s66, 0
	s_mov_b64 s[64:65], -1
	s_waitcnt vmcnt(0) lgkmcnt(0)
	flat_load_dword v1, v[2:3] sc0 sc1
	s_waitcnt vmcnt(0) lgkmcnt(0)
	buffer_inv sc0 sc1
	v_cmp_eq_u32_e32 vcc, 0, v1
	s_and_b64 vcc, vcc, exec
	s_or_b64 s[62:63], s[62:63], vcc
.LBB4_638:                              ;   in Loop: Header=BB4_636 Depth=2
	s_andn2_b64 s[60:61], s[60:61], exec
	s_and_b64 s[64:65], s[64:65], exec
	s_mov_b64 vcc, -1
	s_or_b64 s[60:61], s[60:61], s[64:65]
	s_and_saveexec_b64 s[64:65], s[62:63]
	s_cbranch_execz .LBB4_635
; %bb.639:                              ;   in Loop: Header=BB4_636 Depth=2
	s_sleep 1
	s_trap 2
	ds_read_b64 v[2:3], v0
	s_andn2_b64 s[60:61], s[60:61], exec
	s_waitcnt lgkmcnt(0)
	v_cmp_ge_u64_e32 vcc, v[2:3], v[14:15]
	s_orn2_b64 vcc, vcc, exec
	s_branch .LBB4_635
.LBB4_640:                              ;   in Loop: Header=BB4_81 Depth=1
	s_or_b64 exec, exec, s[56:57]
	s_and_saveexec_b64 vcc, s[58:59]
	s_xor_b64 vcc, exec, vcc
	s_cbranch_execz .LBB4_642
; %bb.641:                              ;   in Loop: Header=BB4_81 Depth=1
	ds_write_b32 v0, v46
	s_trap 2
.LBB4_642:                              ;   in Loop: Header=BB4_81 Depth=1
	s_or_b64 exec, exec, s[54:55]
	;;#ASMSTART
	s_wakeup
	;;#ASMEND
.LBB4_643:                              ;   in Loop: Header=BB4_81 Depth=1
	s_or_b64 exec, exec, s[30:31]
.LBB4_644:                              ;   in Loop: Header=BB4_81 Depth=1
	s_andn2_saveexec_b64 s[28:29], s[28:29]
	s_cbranch_execz .LBB4_646
; %bb.645:                              ;   in Loop: Header=BB4_81 Depth=1
	s_waitcnt lgkmcnt(0)
	s_barrier
.LBB4_646:                              ;   in Loop: Header=BB4_81 Depth=1
	s_or_b64 exec, exec, s[28:29]
.LBB4_647:                              ;   in Loop: Header=BB4_81 Depth=1
	s_or_b64 exec, exec, s[26:27]
	s_trap 2
	ds_read_b32 v2, v0
	v_and_b32_e32 v1, 0x4000, v62
	v_cmp_ne_u32_e32 vcc, 0, v1
	s_xor_b64 s[26:27], s[2:3], -1
	s_and_b64 s[28:29], s[26:27], vcc
	s_and_saveexec_b64 s[26:27], s[28:29]
	s_cbranch_execz .LBB4_666
; %bb.648:                              ;   in Loop: Header=BB4_81 Depth=1
	s_and_saveexec_b64 s[28:29], s[42:43]
	s_xor_b64 s[28:29], exec, s[28:29]
	s_cbranch_execz .LBB4_663
; %bb.649:                              ;   in Loop: Header=BB4_81 Depth=1
	s_and_saveexec_b64 s[30:31], s[12:13]
	s_cbranch_execz .LBB4_662
; %bb.650:                              ;   in Loop: Header=BB4_81 Depth=1
	s_mov_b64 s[56:57], exec
	v_mbcnt_lo_u32_b32 v1, s56, 0
	v_mbcnt_hi_u32_b32 v1, s57, v1
	v_cmp_eq_u32_e32 vcc, 0, v1
	s_waitcnt lgkmcnt(0)
	s_and_saveexec_b64 s[54:55], vcc
	s_cbranch_execz .LBB4_652
; %bb.651:                              ;   in Loop: Header=BB4_81 Depth=1
	s_bcnt1_i32_b64 vcc_lo, s[56:57]
	v_mov_b32_e32 v48, vcc_lo
	ds_add_u64 v0, v[48:49]
	s_trap 2
.LBB4_652:                              ;   in Loop: Header=BB4_81 Depth=1
	s_or_b64 exec, exec, s[54:55]
	s_trap 2
	ds_read_b64 v[4:5], v0
	v_lshl_add_u64 v[14:15], v[14:15], 0, v[50:51]
	s_waitcnt lgkmcnt(0)
	v_cmp_lt_u64_e32 vcc, v[4:5], v[14:15]
	s_and_saveexec_b64 s[54:55], vcc
	s_cbranch_execz .LBB4_661
; %bb.653:                              ;   in Loop: Header=BB4_81 Depth=1
	s_mov_b32 s66, 0
	s_mov_b64 s[56:57], 0
                                        ; implicit-def: $sgpr58_sgpr59
                                        ; implicit-def: $sgpr60_sgpr61
	s_branch .LBB4_655
.LBB4_654:                              ;   in Loop: Header=BB4_655 Depth=2
	s_or_b64 exec, exec, s[64:65]
	s_and_b64 vcc, exec, vcc
	s_or_b64 s[56:57], vcc, s[56:57]
	s_andn2_b64 vcc, s[58:59], exec
	s_and_b64 s[58:59], s[60:61], exec
	s_or_b64 s[58:59], vcc, s[58:59]
	s_andn2_b64 exec, exec, s[56:57]
	s_cbranch_execz .LBB4_659
.LBB4_655:                              ;   Parent Loop BB4_81 Depth=1
                                        ; =>  This Inner Loop Header: Depth=2
	s_add_i32 s66, s66, 1
	s_cmpk_lg_i32 s66, 0x2710
	s_cselect_b64 s[62:63], -1, 0
	s_and_b64 vcc, exec, s[62:63]
                                        ; implicit-def: $sgpr64_sgpr65
	s_cbranch_vccnz .LBB4_657
; %bb.656:                              ;   in Loop: Header=BB4_655 Depth=2
	s_trap 2
	ds_read_b64 v[4:5], v0
	s_andn2_b64 s[62:63], s[62:63], exec
	s_mov_b32 s66, 0
	s_mov_b64 s[64:65], -1
	s_waitcnt vmcnt(0) lgkmcnt(0)
	flat_load_dword v1, v[4:5] sc0 sc1
	s_waitcnt vmcnt(0) lgkmcnt(0)
	buffer_inv sc0 sc1
	v_cmp_eq_u32_e32 vcc, 0, v1
	s_and_b64 vcc, vcc, exec
	s_or_b64 s[62:63], s[62:63], vcc
.LBB4_657:                              ;   in Loop: Header=BB4_655 Depth=2
	s_andn2_b64 s[60:61], s[60:61], exec
	s_and_b64 s[64:65], s[64:65], exec
	s_mov_b64 vcc, -1
	s_or_b64 s[60:61], s[60:61], s[64:65]
	s_and_saveexec_b64 s[64:65], s[62:63]
	s_cbranch_execz .LBB4_654
; %bb.658:                              ;   in Loop: Header=BB4_655 Depth=2
	s_sleep 1
	s_trap 2
	ds_read_b64 v[4:5], v0
	s_andn2_b64 s[60:61], s[60:61], exec
	s_waitcnt lgkmcnt(0)
	v_cmp_ge_u64_e32 vcc, v[4:5], v[14:15]
	s_orn2_b64 vcc, vcc, exec
	s_branch .LBB4_654
.LBB4_659:                              ;   in Loop: Header=BB4_81 Depth=1
	s_or_b64 exec, exec, s[56:57]
	s_and_saveexec_b64 vcc, s[58:59]
	s_xor_b64 vcc, exec, vcc
	s_cbranch_execz .LBB4_661
; %bb.660:                              ;   in Loop: Header=BB4_81 Depth=1
	ds_write_b32 v0, v46
	s_trap 2
.LBB4_661:                              ;   in Loop: Header=BB4_81 Depth=1
	s_or_b64 exec, exec, s[54:55]
	;;#ASMSTART
	s_wakeup
	;;#ASMEND
.LBB4_662:                              ;   in Loop: Header=BB4_81 Depth=1
	s_or_b64 exec, exec, s[30:31]
.LBB4_663:                              ;   in Loop: Header=BB4_81 Depth=1
	s_andn2_saveexec_b64 s[28:29], s[28:29]
	s_cbranch_execz .LBB4_665
; %bb.664:                              ;   in Loop: Header=BB4_81 Depth=1
	s_waitcnt lgkmcnt(0)
	s_barrier
.LBB4_665:                              ;   in Loop: Header=BB4_81 Depth=1
	s_or_b64 exec, exec, s[28:29]
.LBB4_666:                              ;   in Loop: Header=BB4_81 Depth=1
	s_or_b64 exec, exec, s[26:27]
	s_trap 2
	ds_read_b64 v[4:5], v0
	s_waitcnt lgkmcnt(0)
	v_readfirstlane_b32 s26, v4
	v_readfirstlane_b32 s27, v5
	s_cmp_eq_u64 s[26:27], 0
	s_cselect_b64 s[26:27], -1, 0
	s_or_b64 s[28:29], s[26:27], s[26:27]
	s_mov_b64 s[26:27], 0
	s_and_b64 vcc, exec, s[28:29]
	s_cbranch_vccnz .LBB4_674
; %bb.667:                              ;   in Loop: Header=BB4_81 Depth=1
	s_trap 2
	ds_read_b64 v[4:5], v0
	v_cmp_eq_u32_e64 s[26:27], 0, v2
	s_waitcnt lgkmcnt(0)
	v_cmp_ne_u64_e32 vcc, 0, v[4:5]
	v_cndmask_b32_e64 v48, 0, v24, s[26:27]
	s_mov_b64 s[26:27], -1
	s_cbranch_vccz .LBB4_707
; %bb.668:                              ;   in Loop: Header=BB4_81 Depth=1
	s_and_saveexec_b64 s[28:29], s[18:19]
	s_cbranch_execz .LBB4_670
; %bb.669:                              ;   in Loop: Header=BB4_81 Depth=1
	ds_read_b32 v1, v0 offset:720
	s_waitcnt lgkmcnt(0)
	v_and_b32_e32 v1, 15, v1
	v_cmp_eq_u32_e32 vcc, 0, v1
	s_orn2_b64 s[26:27], vcc, exec
.LBB4_670:                              ;   in Loop: Header=BB4_81 Depth=1
	s_or_b64 exec, exec, s[28:29]
	s_and_saveexec_b64 s[28:29], s[16:17]
	s_cbranch_execz .LBB4_672
; %bb.671:                              ;   in Loop: Header=BB4_81 Depth=1
	ds_read_b32 v1, v0 offset:784
	s_waitcnt lgkmcnt(0)
	v_and_b32_e32 v1, 15, v1
	v_cmp_eq_u32_e32 vcc, 0, v1
	s_and_b64 vcc, s[26:27], vcc
	s_andn2_b64 s[26:27], s[26:27], exec
	s_and_b64 vcc, vcc, exec
	s_or_b64 s[26:27], s[26:27], vcc
.LBB4_672:                              ;   in Loop: Header=BB4_81 Depth=1
	s_or_b64 exec, exec, s[28:29]
	s_xor_b64 s[26:27], s[26:27], -1
	v_cndmask_b32_e64 v1, 0, 1, s[26:27]
	s_mov_b64 s[28:29], -1
	;;#ASMSTART
	;;#ASMEND
	v_mov_b32_e32 v52, 0
	v_cmp_ne_u32_e32 vcc, 0, v1
	v_mov_b32_e32 v53, v48
	v_mov_b32_e32 v40, v47
	v_accvgpr_read_b32 v2, a20
	s_cbranch_vccz .LBB4_679
; %bb.673:                              ;   in Loop: Header=BB4_81 Depth=1
	s_and_saveexec_b64 s[30:31], s[28:29]
	s_cbranch_execnz .LBB4_696
	s_branch .LBB4_706
.LBB4_674:                              ;   in Loop: Header=BB4_81 Depth=1
	s_and_saveexec_b64 s[28:29], s[4:5]
	s_cbranch_execnz .LBB4_737
.LBB4_675:                              ;   in Loop: Header=BB4_81 Depth=1
	s_or_b64 exec, exec, s[28:29]
                                        ; implicit-def: $vgpr1
	s_and_saveexec_b64 s[28:29], s[20:21]
	s_xor_b64 s[28:29], exec, s[28:29]
	s_cbranch_execz .LBB4_755
.LBB4_676:                              ;   in Loop: Header=BB4_81 Depth=1
	v_and_b32_e32 v2, 16, v62
	v_cmp_ne_u32_e32 vcc, 0, v2
	v_and_b32_e32 v1, 16, v62
	s_and_b64 vcc, vcc, s[26:27]
	s_and_saveexec_b64 s[26:27], vcc
	s_cbranch_execz .LBB4_678
; %bb.677:                              ;   in Loop: Header=BB4_81 Depth=1
	v_mov_b32_e32 v1, 1
	buffer_wbl2 sc1
	s_waitcnt vmcnt(0) lgkmcnt(0)
	buffer_inv sc1
.LBB4_678:                              ;   in Loop: Header=BB4_81 Depth=1
	s_or_b64 exec, exec, s[26:27]
	s_andn2_saveexec_b64 s[26:27], s[28:29]
	s_cbranch_execz .LBB4_774
	s_branch .LBB4_756
.LBB4_679:                              ;   in Loop: Header=BB4_81 Depth=1
	v_accvgpr_read_b32 v2, a24
	v_sub_u32_e32 v1, v48, v2
	v_ashrrev_i32_e32 v2, 31, v48
	v_lshrrev_b32_e32 v2, 22, v2
	v_add_u32_e32 v2, v48, v2
	v_and_b32_e32 v6, 0xfffffc00, v2
	v_accvgpr_read_b32 v3, a25
	v_sub_u32_e32 v8, v48, v6
	v_ashrrev_i32_e32 v3, 10, v2
	v_cmp_lt_i32_e64 s[26:27], 15, v8
	v_accvgpr_read_b32 v2, a31
	s_nop 0
	v_addc_co_u32_e64 v7, vcc, v3, v2, s[26:27]
	v_cmp_lt_i32_e32 vcc, 15, v1
	s_and_saveexec_b64 s[54:55], vcc
	s_cbranch_execz .LBB4_685
; %bb.680:                              ;   in Loop: Header=BB4_81 Depth=1
	s_trap 2
	ds_read_b64 v[16:17], v0
	ds_read_b128 v[2:5], v0
	v_accvgpr_read_b32 v35, a25
	v_accvgpr_read_b32 v34, a24
	s_mov_b64 s[56:57], 0
	s_waitcnt lgkmcnt(0)
	v_lshl_add_u64 v[46:47], v[16:17], 0, v[34:35]
	v_lshl_add_u64 v[40:41], v[2:3], 0, v[34:35]
	;; [unrolled: 1-line block ×3, first 2 shown]
.LBB4_681:                              ;   Parent Loop BB4_81 Depth=1
                                        ; =>  This Loop Header: Depth=2
                                        ;       Child Loop BB4_682 Depth 3
	global_load_dwordx4 v[2:5], v[46:47], off nt
	s_mov_b64 s[60:61], -1
	s_mov_b64 s[58:59], 0
	s_waitcnt vmcnt(0)
.LBB4_682:                              ;   Parent Loop BB4_81 Depth=1
                                        ;     Parent Loop BB4_681 Depth=2
                                        ; =>    This Inner Loop Header: Depth=3
	s_cmp_eq_u32 s58, 0
	s_cselect_b64 s[28:29], -1, 0
	s_cmp_eq_u32 s58, 1
	s_cselect_b64 s[30:31], -1, 0
	v_cndmask_b32_e64 v9, 0, 1, s[60:61]
	v_cndmask_b32_e64 v17, v41, v53, s[30:31]
	;; [unrolled: 1-line block ×3, first 2 shown]
	v_cmp_ne_u32_e32 vcc, 1, v9
	global_store_dwordx4 v[16:17], v[2:5], off nt
	v_lshl_add_u64 v[16:17], v[16:17], 0, s[44:45]
	s_mov_b64 s[60:61], 0
	s_mov_b64 s[58:59], 1
	s_and_b64 vcc, exec, vcc
	v_cndmask_b32_e64 v53, v53, v17, s[30:31]
	v_cndmask_b32_e64 v52, v52, v16, s[30:31]
	;; [unrolled: 1-line block ×4, first 2 shown]
	s_cbranch_vccz .LBB4_682
; %bb.683:                              ;   in Loop: Header=BB4_681 Depth=2
	v_sub_u32_e32 v1, v1, v29
	v_cmp_gt_i32_e32 vcc, 16, v1
	v_lshl_add_u64 v[40:41], v[40:41], 0, v[44:45]
	v_lshl_add_u64 v[52:53], v[52:53], 0, v[44:45]
	;; [unrolled: 1-line block ×3, first 2 shown]
	s_or_b64 s[56:57], vcc, s[56:57]
	v_sub_u32_e32 v7, v7, v50
	s_andn2_b64 exec, exec, s[56:57]
	s_cbranch_execnz .LBB4_681
; %bb.684:                              ;   in Loop: Header=BB4_81 Depth=1
	s_or_b64 exec, exec, s[56:57]
	v_accvgpr_read_b32 v47, a4
	v_mov_b32_e32 v46, 1
.LBB4_685:                              ;   in Loop: Header=BB4_81 Depth=1
	s_or_b64 exec, exec, s[54:55]
	v_and_b32_e32 v3, 15, v48
	v_cndmask_b32_e64 v1, v8, v3, s[26:27]
	v_cmp_ne_u32_e32 vcc, 0, v1
	s_mov_b64 s[28:29], 0
	v_mov_b32_e32 v52, 0
                                        ; implicit-def: $vgpr53
                                        ; implicit-def: $vgpr40
                                        ; implicit-def: $vgpr2
	s_and_saveexec_b64 s[54:55], vcc
	s_cbranch_execz .LBB4_695
; %bb.686:                              ;   in Loop: Header=BB4_81 Depth=1
	v_sub_u32_e32 v2, v8, v3
	v_cndmask_b32_e64 v2, 0, v2, s[26:27]
	v_cmp_lt_i32_e32 vcc, 0, v7
	v_add_u32_e32 v9, v2, v6
	v_accvgpr_read_b32 v3, a30
	v_cndmask_b32_e32 v2, 0, v50, vcc
	v_sub_u32_e32 v2, v2, v7
	v_lshl_add_u32 v2, v2, 6, v3
	v_ashrrev_i32_e32 v3, 31, v2
	v_lshrrev_b32_e32 v3, 26, v3
	v_add_u32_e32 v3, v2, v3
	v_ashrrev_i32_e32 v4, 6, v3
	v_and_b32_e32 v3, 0xffffffc0, v3
	v_sub_u32_e32 v8, v2, v3
	v_ashrrev_i32_e32 v3, 31, v1
	v_lshrrev_b32_e32 v3, 22, v3
	v_add_u32_e32 v3, v1, v3
	v_and_b32_e32 v6, 0xfffffc00, v3
	v_lshlrev_b32_e32 v2, 4, v8
	v_sub_u32_e32 v19, v1, v6
	v_lshl_add_u32 v2, v4, 10, v2
	v_ashrrev_i32_e32 v5, 10, v3
	v_cmp_lt_i32_e64 s[26:27], 15, v19
	v_sub_u32_e32 v16, v1, v2
	s_nop 0
	v_addc_co_u32_e64 v3, vcc, 0, v5, s[26:27]
	v_sub_u32_e32 v7, v3, v4
	v_cmp_lt_i32_e32 vcc, 15, v16
	s_and_saveexec_b64 s[56:57], vcc
	s_cbranch_execz .LBB4_692
; %bb.687:                              ;   in Loop: Header=BB4_81 Depth=1
	s_trap 2
	ds_read_b64 v[4:5], v0
	ds_read_b128 v[32:35], v0
	v_add_u32_e32 v2, v2, v9
	v_ashrrev_i32_e32 v3, 31, v2
	s_mov_b64 s[58:59], 0
	s_waitcnt lgkmcnt(0)
	v_lshl_add_u64 v[46:47], v[4:5], 0, v[2:3]
	v_lshl_add_u64 v[40:41], v[32:33], 0, v[2:3]
	;; [unrolled: 1-line block ×3, first 2 shown]
.LBB4_688:                              ;   Parent Loop BB4_81 Depth=1
                                        ; =>  This Loop Header: Depth=2
                                        ;       Child Loop BB4_689 Depth 3
	global_load_dwordx4 v[2:5], v[46:47], off nt
	s_mov_b64 s[62:63], -1
	s_mov_b64 s[60:61], 0
	s_waitcnt vmcnt(0)
.LBB4_689:                              ;   Parent Loop BB4_81 Depth=1
                                        ;     Parent Loop BB4_688 Depth=2
                                        ; =>    This Inner Loop Header: Depth=3
	s_cmp_eq_u32 s60, 0
	s_cselect_b64 s[28:29], -1, 0
	s_cmp_eq_u32 s60, 1
	s_cselect_b64 s[30:31], -1, 0
	v_cndmask_b32_e64 v17, 0, 1, s[62:63]
	v_cndmask_b32_e64 v33, v41, v53, s[30:31]
	;; [unrolled: 1-line block ×3, first 2 shown]
	v_cmp_ne_u32_e32 vcc, 1, v17
	global_store_dwordx4 v[32:33], v[2:5], off nt
	v_lshl_add_u64 v[32:33], v[32:33], 0, s[44:45]
	s_mov_b64 s[62:63], 0
	s_mov_b64 s[60:61], 1
	s_and_b64 vcc, exec, vcc
	v_cndmask_b32_e64 v53, v53, v33, s[30:31]
	v_cndmask_b32_e64 v52, v52, v32, s[30:31]
	;; [unrolled: 1-line block ×4, first 2 shown]
	s_cbranch_vccz .LBB4_689
; %bb.690:                              ;   in Loop: Header=BB4_688 Depth=2
	v_sub_u32_e32 v16, v16, v29
	v_cmp_gt_i32_e32 vcc, 16, v16
	v_lshl_add_u64 v[40:41], v[40:41], 0, v[44:45]
	v_lshl_add_u64 v[52:53], v[52:53], 0, v[44:45]
	v_lshl_add_u64 v[46:47], v[22:23], 0, v[46:47]
	s_or_b64 s[58:59], vcc, s[58:59]
	v_sub_u32_e32 v7, v7, v50
	s_andn2_b64 exec, exec, s[58:59]
	s_cbranch_execnz .LBB4_688
; %bb.691:                              ;   in Loop: Header=BB4_81 Depth=1
	s_or_b64 exec, exec, s[58:59]
	v_accvgpr_read_b32 v33, a23
	v_accvgpr_read_b32 v47, a4
	;; [unrolled: 1-line block ×3, first 2 shown]
	v_mov_b32_e32 v46, 1
.LBB4_692:                              ;   in Loop: Header=BB4_81 Depth=1
	s_or_b64 exec, exec, s[56:57]
	v_and_b32_e32 v1, 15, v1
	v_cndmask_b32_e64 v53, v19, v1, s[26:27]
	v_cmp_ne_u32_e32 vcc, 0, v53
	s_mov_b64 s[28:29], 0
	v_mov_b32_e32 v52, 0
                                        ; implicit-def: $vgpr40
                                        ; implicit-def: $vgpr2
	s_and_saveexec_b64 s[30:31], vcc
	s_cbranch_execz .LBB4_694
; %bb.693:                              ;   in Loop: Header=BB4_81 Depth=1
	v_sub_u32_e32 v1, v19, v1
	v_cndmask_b32_e64 v1, 0, v1, s[26:27]
	v_cmp_lt_i32_e32 vcc, 0, v7
	v_add3_u32 v52, v6, v9, v1
	s_mov_b64 s[28:29], exec
	v_cndmask_b32_e32 v1, 0, v50, vcc
	v_sub_u32_e32 v1, v1, v7
	v_lshl_add_u32 v40, v1, 6, v8
	v_ashrrev_i32_e32 v1, 31, v40
	v_lshrrev_b32_e32 v1, 26, v1
	v_add_u32_e32 v1, v40, v1
	v_ashrrev_i32_e32 v2, 6, v1
.LBB4_694:                              ;   in Loop: Header=BB4_81 Depth=1
	s_or_b64 exec, exec, s[30:31]
	v_accvgpr_read_b32 v19, a7
	s_and_b64 s[28:29], s[28:29], exec
	v_accvgpr_read_b32 v18, a6
.LBB4_695:                              ;   in Loop: Header=BB4_81 Depth=1
	s_or_b64 exec, exec, s[54:55]
	s_and_saveexec_b64 s[30:31], s[28:29]
	s_cbranch_execz .LBB4_706
.LBB4_696:                              ;   in Loop: Header=BB4_81 Depth=1
	v_ashrrev_i32_e32 v1, 31, v53
	v_lshrrev_b32_e32 v1, 23, v1
	v_add_u32_e32 v1, v53, v1
	v_ashrrev_i32_e32 v9, 9, v1
	v_sub_u32_e32 v1, v9, v2
	v_ashrrev_i32_e32 v3, 31, v40
	v_cmp_lt_i32_e32 vcc, 0, v1
	v_lshrrev_b32_e32 v8, 26, v3
	s_and_saveexec_b64 s[26:27], vcc
	s_cbranch_execz .LBB4_700
; %bb.697:                              ;   in Loop: Header=BB4_81 Depth=1
	s_trap 2
	v_add_u32_e32 v3, v40, v8
	ds_read_b64 v[16:17], v0
	ds_read_b128 v[4:7], v0
	v_and_b32_e32 v3, 0xffffffc0, v3
	v_sub_u32_e32 v3, v40, v3
	v_lshlrev_b32_e32 v2, 9, v2
	v_add3_u32 v18, v52, v3, v2
	v_ashrrev_i32_e32 v19, 31, v18
	s_waitcnt lgkmcnt(0)
	v_lshl_add_u64 v[2:3], v[4:5], 0, v[18:19]
	v_lshl_add_u64 v[4:5], v[6:7], 0, v[18:19]
	;; [unrolled: 1-line block ×4, first 2 shown]
	s_mov_b64 s[28:29], 0
.LBB4_698:                              ;   Parent Loop BB4_81 Depth=1
                                        ; =>  This Inner Loop Header: Depth=2
	v_add_co_u32_e32 v6, vcc, 0xfffffe40, v46
	flat_load_ubyte v18, v[46:47] nt
	s_nop 0
	v_addc_co_u32_e32 v7, vcc, -1, v47, vcc
	v_add_co_u32_e32 v16, vcc, 0xfffffe80, v46
	flat_load_ubyte v19, v[6:7] nt
	s_nop 0
	v_addc_co_u32_e32 v17, vcc, -1, v47, vcc
	;; [unrolled: 4-line block ×7, first 2 shown]
	flat_load_ubyte v6, v[6:7] nt
	v_sub_u32_e32 v1, v1, v50
	v_cmp_gt_i32_e32 vcc, 1, v1
	s_or_b64 s[28:29], vcc, s[28:29]
	v_lshl_add_u64 v[46:47], v[46:47], 0, v[56:57]
	s_waitcnt vmcnt(0) lgkmcnt(0)
	flat_store_byte v[2:3], v18 offset:448 nt
	flat_store_byte v[2:3], v19 nt
	flat_store_byte v[2:3], v32 offset:64 nt
	flat_store_byte v[2:3], v33 offset:128 nt
	;; [unrolled: 1-line block ×6, first 2 shown]
	flat_store_byte v[4:5], v19 nt
	flat_store_byte v[4:5], v32 offset:64 nt
	flat_store_byte v[4:5], v33 offset:128 nt
	;; [unrolled: 1-line block ×7, first 2 shown]
	v_lshl_add_u64 v[2:3], v[2:3], 0, v[56:57]
	v_lshl_add_u64 v[4:5], v[4:5], 0, v[56:57]
	s_andn2_b64 exec, exec, s[28:29]
	s_cbranch_execnz .LBB4_698
; %bb.699:                              ;   in Loop: Header=BB4_81 Depth=1
	s_or_b64 exec, exec, s[28:29]
	v_accvgpr_read_b32 v19, a7
	v_accvgpr_read_b32 v33, a23
	v_accvgpr_read_b32 v47, a4
	v_accvgpr_read_b32 v18, a6
	v_accvgpr_read_b32 v32, a22
	v_mov_b32_e32 v46, 1
.LBB4_700:                              ;   in Loop: Header=BB4_81 Depth=1
	s_or_b64 exec, exec, s[26:27]
	v_lshlrev_b32_e32 v2, 9, v9
	v_cmp_ne_u32_e32 vcc, v53, v2
	s_and_b64 exec, exec, vcc
	s_cbranch_execz .LBB4_706
; %bb.701:                              ;   in Loop: Header=BB4_81 Depth=1
	v_add_u32_e32 v3, v40, v8
	v_and_b32_e32 v3, 0xffffffc0, v3
	v_sub_u32_e32 v3, v40, v3
	v_lshlrev_b32_e32 v1, 6, v1
	v_sub_u32_e32 v1, v3, v1
	v_add_u32_e32 v2, v2, v1
	v_sub_u32_e32 v1, v53, v2
	v_cmp_lt_i32_e32 vcc, 0, v1
	s_and_b64 exec, exec, vcc
	s_cbranch_execz .LBB4_706
; %bb.702:                              ;   in Loop: Header=BB4_81 Depth=1
	s_trap 2
	ds_read_b64 v[8:9], v0
	ds_read_b128 v[4:7], v0
	v_add_u32_e32 v16, v2, v52
	v_ashrrev_i32_e32 v17, 31, v16
	s_mov_b64 s[54:55], 0
	s_waitcnt lgkmcnt(0)
	v_lshl_add_u64 v[2:3], v[8:9], 0, v[16:17]
	v_lshl_add_u64 v[4:5], v[4:5], 0, v[16:17]
	;; [unrolled: 1-line block ×3, first 2 shown]
.LBB4_703:                              ;   Parent Loop BB4_81 Depth=1
                                        ; =>  This Loop Header: Depth=2
                                        ;       Child Loop BB4_704 Depth 3
	flat_load_ubyte v6, v[2:3] nt
	s_mov_b64 s[56:57], -1
	s_mov_b64 s[58:59], 0
	s_waitcnt vmcnt(0)
.LBB4_704:                              ;   Parent Loop BB4_81 Depth=1
                                        ;     Parent Loop BB4_703 Depth=2
                                        ; =>    This Inner Loop Header: Depth=3
	s_cmp_eq_u32 s58, 1
	s_cselect_b64 vcc, -1, 0
	v_cndmask_b32_e32 v9, v5, v53, vcc
	s_cmp_eq_u32 s58, 0
	v_cndmask_b32_e32 v8, v4, v52, vcc
	s_waitcnt lgkmcnt(0)
	flat_store_byte v[8:9], v6 nt
	v_lshl_add_u64 v[8:9], v[8:9], 0, 64
	s_cselect_b64 s[26:27], -1, 0
	s_and_b64 s[28:29], exec, s[56:57]
	s_mov_b64 s[58:59], 1
	s_mov_b64 s[56:57], 0
	v_cndmask_b32_e32 v53, v53, v9, vcc
	v_cndmask_b32_e32 v52, v52, v8, vcc
	v_cndmask_b32_e64 v5, v5, v9, s[26:27]
	v_cndmask_b32_e64 v4, v4, v8, s[26:27]
	s_mov_b64 vcc, s[28:29]
	s_cbranch_vccnz .LBB4_704
; %bb.705:                              ;   in Loop: Header=BB4_703 Depth=2
	v_sub_u32_e32 v1, v1, v11
	v_cmp_gt_i32_e32 vcc, 1, v1
	v_lshl_add_u64 v[4:5], v[4:5], 0, v[42:43]
	v_lshl_add_u64 v[52:53], v[52:53], 0, v[42:43]
	s_or_b64 s[54:55], vcc, s[54:55]
	v_lshl_add_u64 v[2:3], v[58:59], 0, v[2:3]
	s_andn2_b64 exec, exec, s[54:55]
	s_cbranch_execnz .LBB4_703
.LBB4_706:                              ;   in Loop: Header=BB4_81 Depth=1
	s_or_b64 exec, exec, s[30:31]
	s_mov_b64 s[26:27], 0
.LBB4_707:                              ;   in Loop: Header=BB4_81 Depth=1
	s_and_b64 vcc, exec, s[26:27]
	s_cbranch_vccz .LBB4_736
; %bb.708:                              ;   in Loop: Header=BB4_81 Depth=1
	s_mov_b64 s[26:27], -1
	s_and_saveexec_b64 s[28:29], s[18:19]
	s_cbranch_execz .LBB4_710
; %bb.709:                              ;   in Loop: Header=BB4_81 Depth=1
	ds_read_b32 v1, v0 offset:720
	s_waitcnt lgkmcnt(0)
	v_and_b32_e32 v1, 15, v1
	v_cmp_eq_u32_e32 vcc, 0, v1
	s_orn2_b64 s[26:27], vcc, exec
.LBB4_710:                              ;   in Loop: Header=BB4_81 Depth=1
	s_or_b64 exec, exec, s[28:29]
	s_and_saveexec_b64 s[28:29], s[14:15]
	s_cbranch_execz .LBB4_712
; %bb.711:                              ;   in Loop: Header=BB4_81 Depth=1
	ds_read_b32 v1, v0 offset:784
	s_waitcnt lgkmcnt(0)
	v_and_b32_e32 v1, 15, v1
	v_cmp_eq_u32_e32 vcc, 0, v1
	s_and_b64 vcc, s[26:27], vcc
	s_andn2_b64 s[26:27], s[26:27], exec
	s_and_b64 vcc, vcc, exec
	s_or_b64 s[26:27], s[26:27], vcc
.LBB4_712:                              ;   in Loop: Header=BB4_81 Depth=1
	s_or_b64 exec, exec, s[28:29]
	s_xor_b64 s[26:27], s[26:27], -1
	v_cndmask_b32_e64 v1, 0, 1, s[26:27]
	;;#ASMSTART
	;;#ASMEND
	s_mov_b64 s[30:31], -1
	v_cmp_ne_u32_e32 vcc, 0, v1
	v_mov_b32_e32 v1, 0
	v_mov_b32_e32 v8, v48
	;; [unrolled: 1-line block ×3, first 2 shown]
	v_accvgpr_read_b32 v4, a20
	s_cbranch_vccz .LBB4_714
; %bb.713:                              ;   in Loop: Header=BB4_81 Depth=1
	s_and_saveexec_b64 s[26:27], s[30:31]
	s_cbranch_execnz .LBB4_727
	s_branch .LBB4_735
.LBB4_714:                              ;   in Loop: Header=BB4_81 Depth=1
	v_ashrrev_i32_e32 v1, 31, v48
	v_lshrrev_b32_e32 v1, 21, v1
	v_add_u32_e32 v1, v48, v1
	v_ashrrev_i32_e32 v1, 11, v1
	v_accvgpr_read_b32 v2, a20
	v_sub_u32_e32 v9, v1, v2
	v_cmp_lt_i32_e32 vcc, 0, v9
	s_and_saveexec_b64 s[26:27], vcc
	s_cbranch_execz .LBB4_718
; %bb.715:                              ;   in Loop: Header=BB4_81 Depth=1
	s_trap 2
	ds_read_b64 v[2:3], v0
	v_accvgpr_read_b32 v4, a32
	s_mov_b64 s[28:29], 0
	v_accvgpr_read_b32 v5, a33
.LBB4_716:                              ;   Parent Loop BB4_81 Depth=1
                                        ; =>  This Inner Loop Header: Depth=2
	s_waitcnt lgkmcnt(0)
	v_lshl_add_u64 v[6:7], v[2:3], 0, v[4:5]
	global_load_dwordx4 v[16:19], v[6:7], off nt
	global_load_dwordx4 v[32:35], v[6:7], off offset:1024 nt
	v_sub_u32_e32 v9, v9, v50
	v_cmp_gt_i32_e32 vcc, 1, v9
	v_lshl_add_u64 v[4:5], v[4:5], 0, v[60:61]
	s_or_b64 s[28:29], vcc, s[28:29]
	s_waitcnt vmcnt(0)
	global_store_dwordx4 v[6:7], v[16:19], off nt
	global_store_dwordx4 v[6:7], v[32:35], off offset:1024 nt
	s_andn2_b64 exec, exec, s[28:29]
	s_cbranch_execnz .LBB4_716
; %bb.717:                              ;   in Loop: Header=BB4_81 Depth=1
	s_or_b64 exec, exec, s[28:29]
	v_accvgpr_read_b32 v19, a7
	v_accvgpr_read_b32 v33, a23
	;; [unrolled: 1-line block ×4, first 2 shown]
.LBB4_718:                              ;   in Loop: Header=BB4_81 Depth=1
	s_or_b64 exec, exec, s[26:27]
	v_lshlrev_b32_e32 v7, 11, v1
	v_cmp_ne_u32_e32 vcc, v48, v7
	s_mov_b64 s[30:31], 0
	v_mov_b32_e32 v1, 0
                                        ; implicit-def: $vgpr8
                                        ; implicit-def: $vgpr6
                                        ; implicit-def: $vgpr4
	s_and_saveexec_b64 s[28:29], vcc
	s_cbranch_execz .LBB4_726
; %bb.719:                              ;   in Loop: Header=BB4_81 Depth=1
	v_lshlrev_b32_e32 v1, 6, v9
	v_accvgpr_read_b32 v3, a30
	v_sub_u32_e32 v1, v3, v1
	v_ashrrev_i32_e32 v3, 31, v1
	v_lshrrev_b32_e32 v3, 26, v3
	v_add_u32_e32 v3, v1, v3
	v_sub_u32_e32 v2, v48, v7
	v_ashrrev_i32_e32 v5, 6, v3
	v_and_b32_e32 v3, 0xffffffc0, v3
	v_sub_u32_e32 v9, v1, v3
	v_ashrrev_i32_e32 v3, 31, v2
	v_lshrrev_b32_e32 v3, 22, v3
	v_add_u32_e32 v3, v2, v3
	v_and_b32_e32 v16, 0xfffffc00, v3
	v_lshlrev_b32_e32 v1, 4, v9
	v_sub_u32_e32 v19, v2, v16
	v_lshl_add_u32 v4, v5, 10, v1
	v_ashrrev_i32_e32 v6, 10, v3
	v_cmp_lt_i32_e32 vcc, 15, v19
	v_sub_u32_e32 v1, v2, v4
	s_nop 0
	v_addc_co_u32_e64 v2, s[26:27], 0, v6, vcc
	v_sub_u32_e32 v17, v2, v5
	v_cmp_lt_i32_e64 s[26:27], 15, v1
	s_and_saveexec_b64 s[30:31], s[26:27]
	s_cbranch_execz .LBB4_723
; %bb.720:                              ;   in Loop: Header=BB4_81 Depth=1
	s_trap 2
	ds_read_b64 v[2:3], v0
	v_add_u32_e32 v4, v4, v7
	v_ashrrev_i32_e32 v5, 31, v4
	s_mov_b64 s[54:55], 0
.LBB4_721:                              ;   Parent Loop BB4_81 Depth=1
                                        ; =>  This Inner Loop Header: Depth=2
	s_waitcnt lgkmcnt(0)
	v_lshl_add_u64 v[52:53], v[2:3], 0, v[4:5]
	global_load_dwordx4 v[32:35], v[52:53], off nt
	v_sub_u32_e32 v1, v1, v29
	v_cmp_gt_i32_e64 s[26:27], 16, v1
	v_sub_u32_e32 v17, v17, v50
	v_lshl_add_u64 v[4:5], v[4:5], 0, v[22:23]
	s_or_b64 s[54:55], s[26:27], s[54:55]
	s_waitcnt vmcnt(0)
	global_store_dwordx4 v[52:53], v[32:35], off nt
	s_andn2_b64 exec, exec, s[54:55]
	s_cbranch_execnz .LBB4_721
; %bb.722:                              ;   in Loop: Header=BB4_81 Depth=1
	s_or_b64 exec, exec, s[54:55]
	v_accvgpr_read_b32 v33, a23
	v_accvgpr_read_b32 v32, a22
.LBB4_723:                              ;   in Loop: Header=BB4_81 Depth=1
	s_or_b64 exec, exec, s[30:31]
	v_and_b32_e32 v2, 15, v48
	v_cndmask_b32_e32 v8, v19, v2, vcc
	v_cmp_ne_u32_e64 s[26:27], 0, v8
	s_mov_b64 s[30:31], 0
	v_mov_b32_e32 v1, 0
                                        ; implicit-def: $vgpr6
                                        ; implicit-def: $vgpr4
	s_and_saveexec_b64 s[54:55], s[26:27]
	s_cbranch_execz .LBB4_725
; %bb.724:                              ;   in Loop: Header=BB4_81 Depth=1
	v_sub_u32_e32 v1, v19, v2
	v_cndmask_b32_e32 v1, 0, v1, vcc
	v_cmp_lt_i32_e32 vcc, 0, v17
	s_mov_b64 s[30:31], exec
	v_add3_u32 v1, v16, v7, v1
	v_cndmask_b32_e32 v2, 0, v50, vcc
	v_sub_u32_e32 v2, v2, v17
	v_lshl_add_u32 v6, v2, 6, v9
	v_ashrrev_i32_e32 v2, 31, v6
	v_lshrrev_b32_e32 v2, 26, v2
	v_add_u32_e32 v2, v6, v2
	v_ashrrev_i32_e32 v4, 6, v2
.LBB4_725:                              ;   in Loop: Header=BB4_81 Depth=1
	s_or_b64 exec, exec, s[54:55]
	v_accvgpr_read_b32 v19, a7
	s_and_b64 s[30:31], s[30:31], exec
	v_accvgpr_read_b32 v18, a6
.LBB4_726:                              ;   in Loop: Header=BB4_81 Depth=1
	s_or_b64 exec, exec, s[28:29]
	s_and_saveexec_b64 s[26:27], s[30:31]
	s_cbranch_execz .LBB4_735
.LBB4_727:                              ;   in Loop: Header=BB4_81 Depth=1
	v_ashrrev_i32_e32 v2, 31, v8
	v_lshrrev_b32_e32 v2, 23, v2
	v_add_u32_e32 v2, v8, v2
	v_ashrrev_i32_e32 v16, 9, v2
	v_sub_u32_e32 v7, v16, v4
	v_ashrrev_i32_e32 v2, 31, v6
	v_cmp_lt_i32_e32 vcc, 0, v7
	v_lshrrev_b32_e32 v9, 26, v2
	s_and_saveexec_b64 s[28:29], vcc
	s_cbranch_execz .LBB4_731
; %bb.728:                              ;   in Loop: Header=BB4_81 Depth=1
	s_trap 2
	ds_read_b64 v[2:3], v0
	v_add_u32_e32 v5, v6, v9
	v_and_b32_e32 v5, 0xffffffc0, v5
	v_sub_u32_e32 v5, v6, v5
	v_lshlrev_b32_e32 v4, 9, v4
	v_add3_u32 v4, v1, v5, v4
	v_ashrrev_i32_e32 v5, 31, v4
	s_mov_b64 s[30:31], 0
	s_waitcnt lgkmcnt(0)
	v_mov_b64_e32 v[52:53], v[2:3]
.LBB4_729:                              ;   Parent Loop BB4_81 Depth=1
                                        ; =>  This Inner Loop Header: Depth=2
	v_lshl_add_u64 v[18:19], v[4:5], 0, v[52:53]
	flat_load_ubyte v17, v[18:19] nt
	flat_load_ubyte v32, v[18:19] offset:64 nt
	flat_load_ubyte v33, v[18:19] offset:128 nt
	flat_load_ubyte v34, v[18:19] offset:192 nt
	flat_load_ubyte v35, v[18:19] offset:256 nt
	flat_load_ubyte v40, v[18:19] offset:320 nt
	flat_load_ubyte v41, v[18:19] offset:384 nt
	flat_load_ubyte v46, v[18:19] offset:448 nt
	v_sub_u32_e32 v7, v7, v50
	v_cmp_gt_i32_e32 vcc, 1, v7
	v_lshl_add_u64 v[18:19], v[4:5], 0, v[2:3]
	v_lshl_add_u64 v[52:53], v[52:53], 0, v[56:57]
	;; [unrolled: 1-line block ×3, first 2 shown]
	s_or_b64 s[30:31], vcc, s[30:31]
	s_waitcnt vmcnt(0) lgkmcnt(0)
	flat_store_byte v[18:19], v17 nt
	flat_store_byte v[18:19], v32 offset:64 nt
	flat_store_byte v[18:19], v33 offset:128 nt
	;; [unrolled: 1-line block ×7, first 2 shown]
	s_andn2_b64 exec, exec, s[30:31]
	s_cbranch_execnz .LBB4_729
; %bb.730:                              ;   in Loop: Header=BB4_81 Depth=1
	s_or_b64 exec, exec, s[30:31]
	v_accvgpr_read_b32 v19, a7
	v_accvgpr_read_b32 v33, a23
	;; [unrolled: 1-line block ×4, first 2 shown]
	v_mov_b32_e32 v46, 1
.LBB4_731:                              ;   in Loop: Header=BB4_81 Depth=1
	s_or_b64 exec, exec, s[28:29]
	v_lshlrev_b32_e32 v2, 9, v16
	v_cmp_ne_u32_e32 vcc, v8, v2
	s_and_b64 exec, exec, vcc
	s_cbranch_execz .LBB4_735
; %bb.732:                              ;   in Loop: Header=BB4_81 Depth=1
	v_add_u32_e32 v3, v6, v9
	v_and_b32_e32 v3, 0xffffffc0, v3
	v_sub_u32_e32 v3, v6, v3
	v_lshlrev_b32_e32 v4, 6, v7
	v_sub_u32_e32 v3, v3, v4
	v_add_u32_e32 v4, v2, v3
	v_sub_u32_e32 v6, v8, v4
	v_cmp_lt_i32_e32 vcc, 0, v6
	s_and_b64 exec, exec, vcc
	s_cbranch_execz .LBB4_735
; %bb.733:                              ;   in Loop: Header=BB4_81 Depth=1
	s_trap 2
	ds_read_b64 v[2:3], v0
	v_add_u32_e32 v4, v4, v1
	v_ashrrev_i32_e32 v5, 31, v4
	s_mov_b64 s[28:29], 0
.LBB4_734:                              ;   Parent Loop BB4_81 Depth=1
                                        ; =>  This Inner Loop Header: Depth=2
	s_waitcnt lgkmcnt(0)
	v_lshl_add_u64 v[8:9], v[2:3], 0, v[4:5]
	flat_load_ubyte v1, v[8:9] nt
	v_sub_u32_e32 v6, v6, v11
	v_cmp_gt_i32_e32 vcc, 1, v6
	v_lshl_add_u64 v[4:5], v[4:5], 0, v[58:59]
	s_or_b64 s[28:29], vcc, s[28:29]
	s_waitcnt vmcnt(0) lgkmcnt(0)
	flat_store_byte v[8:9], v1 nt
	s_andn2_b64 exec, exec, s[28:29]
	s_cbranch_execnz .LBB4_734
.LBB4_735:                              ;   in Loop: Header=BB4_81 Depth=1
	s_or_b64 exec, exec, s[26:27]
.LBB4_736:                              ;   in Loop: Header=BB4_81 Depth=1
	v_cmp_lt_i32_e64 s[26:27], 0, v48
	s_and_saveexec_b64 s[28:29], s[4:5]
	s_cbranch_execz .LBB4_675
.LBB4_737:                              ;   in Loop: Header=BB4_81 Depth=1
	s_and_saveexec_b64 vcc, s[42:43]
	s_xor_b64 s[30:31], exec, vcc
	s_cbranch_execz .LBB4_752
; %bb.738:                              ;   in Loop: Header=BB4_81 Depth=1
	s_and_saveexec_b64 s[54:55], s[12:13]
	s_cbranch_execz .LBB4_751
; %bb.739:                              ;   in Loop: Header=BB4_81 Depth=1
	s_mov_b64 s[58:59], exec
	v_mbcnt_lo_u32_b32 v1, s58, 0
	v_mbcnt_hi_u32_b32 v1, s59, v1
	v_cmp_eq_u32_e32 vcc, 0, v1
	s_waitcnt lgkmcnt(0)
	s_and_saveexec_b64 s[56:57], vcc
	s_cbranch_execz .LBB4_741
; %bb.740:                              ;   in Loop: Header=BB4_81 Depth=1
	s_bcnt1_i32_b64 vcc_lo, s[58:59]
	v_mov_b32_e32 v48, vcc_lo
	ds_add_u64 v0, v[48:49]
	s_trap 2
.LBB4_741:                              ;   in Loop: Header=BB4_81 Depth=1
	s_or_b64 exec, exec, s[56:57]
	s_trap 2
	ds_read_b64 v[2:3], v0
	v_lshl_add_u64 v[14:15], v[14:15], 0, v[50:51]
	s_waitcnt lgkmcnt(0)
	v_cmp_lt_u64_e32 vcc, v[2:3], v[14:15]
	s_and_saveexec_b64 s[56:57], vcc
	s_cbranch_execz .LBB4_750
; %bb.742:                              ;   in Loop: Header=BB4_81 Depth=1
	s_mov_b32 s69, 0
	s_mov_b64 s[58:59], 0
                                        ; implicit-def: $sgpr60_sgpr61
                                        ; implicit-def: $sgpr62_sgpr63
	s_branch .LBB4_744
.LBB4_743:                              ;   in Loop: Header=BB4_744 Depth=2
	s_or_b64 exec, exec, s[66:67]
	s_and_b64 vcc, exec, vcc
	s_or_b64 s[58:59], vcc, s[58:59]
	s_andn2_b64 vcc, s[60:61], exec
	s_and_b64 s[60:61], s[62:63], exec
	s_or_b64 s[60:61], vcc, s[60:61]
	s_andn2_b64 exec, exec, s[58:59]
	s_cbranch_execz .LBB4_748
.LBB4_744:                              ;   Parent Loop BB4_81 Depth=1
                                        ; =>  This Inner Loop Header: Depth=2
	s_add_i32 s69, s69, 1
	s_cmpk_lg_i32 s69, 0x2710
	s_cselect_b64 s[64:65], -1, 0
	s_and_b64 vcc, exec, s[64:65]
                                        ; implicit-def: $sgpr66_sgpr67
	s_cbranch_vccnz .LBB4_746
; %bb.745:                              ;   in Loop: Header=BB4_744 Depth=2
	s_trap 2
	ds_read_b64 v[2:3], v0
	s_andn2_b64 s[64:65], s[64:65], exec
	s_mov_b32 s69, 0
	s_mov_b64 s[66:67], -1
	s_waitcnt vmcnt(0) lgkmcnt(0)
	flat_load_dword v1, v[2:3] sc0 sc1
	s_waitcnt vmcnt(0) lgkmcnt(0)
	buffer_inv sc0 sc1
	v_cmp_eq_u32_e32 vcc, 0, v1
	s_and_b64 vcc, vcc, exec
	s_or_b64 s[64:65], s[64:65], vcc
.LBB4_746:                              ;   in Loop: Header=BB4_744 Depth=2
	s_andn2_b64 s[62:63], s[62:63], exec
	s_and_b64 s[66:67], s[66:67], exec
	s_mov_b64 vcc, -1
	s_or_b64 s[62:63], s[62:63], s[66:67]
	s_and_saveexec_b64 s[66:67], s[64:65]
	s_cbranch_execz .LBB4_743
; %bb.747:                              ;   in Loop: Header=BB4_744 Depth=2
	s_sleep 1
	s_trap 2
	ds_read_b64 v[2:3], v0
	s_andn2_b64 s[62:63], s[62:63], exec
	s_waitcnt lgkmcnt(0)
	v_cmp_ge_u64_e32 vcc, v[2:3], v[14:15]
	s_orn2_b64 vcc, vcc, exec
	s_branch .LBB4_743
.LBB4_748:                              ;   in Loop: Header=BB4_81 Depth=1
	s_or_b64 exec, exec, s[58:59]
	s_and_saveexec_b64 vcc, s[60:61]
	s_xor_b64 vcc, exec, vcc
	s_cbranch_execz .LBB4_750
; %bb.749:                              ;   in Loop: Header=BB4_81 Depth=1
	ds_write_b32 v0, v46
	s_trap 2
.LBB4_750:                              ;   in Loop: Header=BB4_81 Depth=1
	s_or_b64 exec, exec, s[56:57]
	;;#ASMSTART
	s_wakeup
	;;#ASMEND
.LBB4_751:                              ;   in Loop: Header=BB4_81 Depth=1
	s_or_b64 exec, exec, s[54:55]
.LBB4_752:                              ;   in Loop: Header=BB4_81 Depth=1
	s_andn2_saveexec_b64 vcc, s[30:31]
	s_cbranch_execz .LBB4_754
; %bb.753:                              ;   in Loop: Header=BB4_81 Depth=1
	s_waitcnt lgkmcnt(0)
	s_barrier
.LBB4_754:                              ;   in Loop: Header=BB4_81 Depth=1
	s_or_b64 exec, exec, vcc
	s_or_b64 exec, exec, s[28:29]
                                        ; implicit-def: $vgpr1
	s_and_saveexec_b64 s[28:29], s[20:21]
	s_xor_b64 s[28:29], exec, s[28:29]
	s_cbranch_execnz .LBB4_676
.LBB4_755:                              ;   in Loop: Header=BB4_81 Depth=1
	s_andn2_saveexec_b64 s[26:27], s[28:29]
	s_cbranch_execz .LBB4_774
.LBB4_756:                              ;   in Loop: Header=BB4_81 Depth=1
	s_and_saveexec_b64 s[28:29], s[42:43]
	s_xor_b64 s[28:29], exec, s[28:29]
	s_cbranch_execz .LBB4_771
; %bb.757:                              ;   in Loop: Header=BB4_81 Depth=1
	s_and_saveexec_b64 s[30:31], s[12:13]
	s_cbranch_execz .LBB4_770
; %bb.758:                              ;   in Loop: Header=BB4_81 Depth=1
	s_mov_b64 s[56:57], exec
	v_mbcnt_lo_u32_b32 v1, s56, 0
	v_mbcnt_hi_u32_b32 v1, s57, v1
	v_cmp_eq_u32_e32 vcc, 0, v1
	;;#ASMSTART
	s_waitcnt lgkmcnt(0) vmcnt(0)
	;;#ASMEND
	s_and_saveexec_b64 s[54:55], vcc
	s_cbranch_execz .LBB4_760
; %bb.759:                              ;   in Loop: Header=BB4_81 Depth=1
	s_bcnt1_i32_b64 vcc_lo, s[56:57]
	v_mov_b32_e32 v48, vcc_lo
	ds_add_u64 v0, v[48:49]
	s_trap 2
.LBB4_760:                              ;   in Loop: Header=BB4_81 Depth=1
	s_or_b64 exec, exec, s[54:55]
	s_trap 2
	ds_read_b64 v[2:3], v0
	v_lshl_add_u64 v[14:15], v[14:15], 0, v[50:51]
	s_waitcnt lgkmcnt(0)
	v_cmp_lt_u64_e32 vcc, v[2:3], v[14:15]
	s_and_saveexec_b64 s[54:55], vcc
	s_cbranch_execz .LBB4_769
; %bb.761:                              ;   in Loop: Header=BB4_81 Depth=1
	s_mov_b32 s66, 0
	s_mov_b64 s[56:57], 0
                                        ; implicit-def: $sgpr58_sgpr59
                                        ; implicit-def: $sgpr60_sgpr61
	s_branch .LBB4_763
.LBB4_762:                              ;   in Loop: Header=BB4_763 Depth=2
	s_or_b64 exec, exec, s[64:65]
	s_and_b64 vcc, exec, vcc
	s_or_b64 s[56:57], vcc, s[56:57]
	s_andn2_b64 vcc, s[58:59], exec
	s_and_b64 s[58:59], s[60:61], exec
	s_or_b64 s[58:59], vcc, s[58:59]
	s_andn2_b64 exec, exec, s[56:57]
	s_cbranch_execz .LBB4_767
.LBB4_763:                              ;   Parent Loop BB4_81 Depth=1
                                        ; =>  This Inner Loop Header: Depth=2
	s_add_i32 s66, s66, 1
	s_cmpk_lg_i32 s66, 0x2710
	s_cselect_b64 s[62:63], -1, 0
	s_and_b64 vcc, exec, s[62:63]
                                        ; implicit-def: $sgpr64_sgpr65
	s_cbranch_vccnz .LBB4_765
; %bb.764:                              ;   in Loop: Header=BB4_763 Depth=2
	s_trap 2
	ds_read_b64 v[2:3], v0
	s_andn2_b64 s[62:63], s[62:63], exec
	s_mov_b32 s66, 0
	s_mov_b64 s[64:65], -1
	s_waitcnt vmcnt(0) lgkmcnt(0)
	flat_load_dword v1, v[2:3] sc0 sc1
	s_waitcnt vmcnt(0) lgkmcnt(0)
	buffer_inv sc0 sc1
	v_cmp_eq_u32_e32 vcc, 0, v1
	s_and_b64 vcc, vcc, exec
	s_or_b64 s[62:63], s[62:63], vcc
.LBB4_765:                              ;   in Loop: Header=BB4_763 Depth=2
	s_andn2_b64 s[60:61], s[60:61], exec
	s_and_b64 s[64:65], s[64:65], exec
	s_mov_b64 vcc, -1
	s_or_b64 s[60:61], s[60:61], s[64:65]
	s_and_saveexec_b64 s[64:65], s[62:63]
	s_cbranch_execz .LBB4_762
; %bb.766:                              ;   in Loop: Header=BB4_763 Depth=2
	s_sleep 1
	s_trap 2
	ds_read_b64 v[2:3], v0
	s_andn2_b64 s[60:61], s[60:61], exec
	s_waitcnt lgkmcnt(0)
	v_cmp_ge_u64_e32 vcc, v[2:3], v[14:15]
	s_orn2_b64 vcc, vcc, exec
	s_branch .LBB4_762
.LBB4_767:                              ;   in Loop: Header=BB4_81 Depth=1
	s_or_b64 exec, exec, s[56:57]
	s_and_saveexec_b64 vcc, s[58:59]
	s_xor_b64 vcc, exec, vcc
	s_cbranch_execz .LBB4_769
; %bb.768:                              ;   in Loop: Header=BB4_81 Depth=1
	ds_write_b32 v0, v46
	s_trap 2
.LBB4_769:                              ;   in Loop: Header=BB4_81 Depth=1
	s_or_b64 exec, exec, s[54:55]
	;;#ASMSTART
	s_wakeup
	;;#ASMEND
.LBB4_770:                              ;   in Loop: Header=BB4_81 Depth=1
	s_or_b64 exec, exec, s[30:31]
.LBB4_771:                              ;   in Loop: Header=BB4_81 Depth=1
	s_andn2_saveexec_b64 s[28:29], s[28:29]
	s_cbranch_execz .LBB4_773
; %bb.772:                              ;   in Loop: Header=BB4_81 Depth=1
	;;#ASMSTART
	s_waitcnt lgkmcnt(0) vmcnt(0)
	;;#ASMEND
	s_barrier
.LBB4_773:                              ;   in Loop: Header=BB4_81 Depth=1
	s_or_b64 exec, exec, s[28:29]
	v_and_b32_e32 v1, 16, v62
.LBB4_774:                              ;   in Loop: Header=BB4_81 Depth=1
	s_or_b64 exec, exec, s[26:27]
	v_cmp_ne_u32_e32 vcc, 0, v1
	s_xor_b64 s[26:27], s[6:7], -1
	s_and_b64 s[28:29], vcc, s[26:27]
	s_and_saveexec_b64 s[26:27], s[28:29]
	s_cbranch_execz .LBB4_776
; %bb.775:                              ;   in Loop: Header=BB4_81 Depth=1
	flat_store_dword v[32:33], v46 sc0 sc1
.LBB4_776:                              ;   in Loop: Header=BB4_81 Depth=1
	s_or_b64 exec, exec, s[26:27]
	v_and_b32_e32 v1, 48, v62
	v_cmp_ne_u32_e32 vcc, 0, v1
	s_and_saveexec_b64 s[26:27], vcc
	s_cbranch_execz .LBB4_778
; %bb.777:                              ;   in Loop: Header=BB4_81 Depth=1
	v_lshl_add_u64 v[38:39], v[38:39], 0, 4
	flat_store_dwordx2 v[26:27], v[38:39] sc0 sc1
.LBB4_778:                              ;   in Loop: Header=BB4_81 Depth=1
	s_or_b64 exec, exec, s[26:27]
	v_mov_b32_e32 v1, v24
	v_mov_b32_e32 v4, v24
	s_or_b64 exec, exec, s[52:53]
	s_and_saveexec_b64 s[28:29], s[22:23]
	s_cbranch_execnz .LBB4_530
.LBB4_779:                              ;   in Loop: Header=BB4_81 Depth=1
	s_or_b64 exec, exec, s[28:29]
	s_add_i32 s26, s68, 1
	s_cmp_eq_u32 s68, s79
	s_cbranch_scc0 .LBB4_601
.LBB4_780:                              ;   in Loop: Header=BB4_81 Depth=1
	v_accvgpr_read_b32 v25, a34
	v_mov_b32_e32 v24, 0
	s_and_saveexec_b64 s[26:27], s[24:25]
	s_cbranch_execnz .LBB4_795
	s_branch .LBB4_931
.LBB4_781:                              ;   in Loop: Header=BB4_81 Depth=1
	s_or_b64 exec, exec, s[62:63]
	s_and_saveexec_b64 vcc, s[64:65]
	s_xor_b64 vcc, exec, vcc
	s_cbranch_execz .LBB4_783
; %bb.782:                              ;   in Loop: Header=BB4_81 Depth=1
	ds_write_b32 v0, v46
	s_trap 2
.LBB4_783:                              ;   in Loop: Header=BB4_81 Depth=1
	s_or_b64 exec, exec, s[60:61]
	;;#ASMSTART
	s_wakeup
	;;#ASMEND
.LBB4_784:                              ;   in Loop: Header=BB4_81 Depth=1
	s_or_b64 exec, exec, s[58:59]
.LBB4_785:                              ;   in Loop: Header=BB4_81 Depth=1
	s_andn2_saveexec_b64 vcc, s[56:57]
	s_cbranch_execz .LBB4_787
; %bb.786:                              ;   in Loop: Header=BB4_81 Depth=1
	;;#ASMSTART
	s_waitcnt lgkmcnt(0) vmcnt(0)
	;;#ASMEND
	s_barrier
.LBB4_787:                              ;   in Loop: Header=BB4_81 Depth=1
	s_or_b64 exec, exec, vcc
.LBB4_788:                              ;   in Loop: Header=BB4_81 Depth=1
	s_or_b64 exec, exec, s[26:27]
	v_cmp_ne_u32_e32 vcc, 0, v3
	s_mov_b64 s[26:27], s[30:31]
	s_mov_b64 s[56:57], s[28:29]
	s_and_saveexec_b64 s[58:59], vcc
; %bb.789:                              ;   in Loop: Header=BB4_81 Depth=1
	s_andn2_b64 s[26:27], s[28:29], exec
	s_and_b64 vcc, s[6:7], exec
	s_or_b64 s[56:57], s[26:27], vcc
	s_andn2_b64 s[26:27], s[30:31], exec
	s_and_b64 vcc, s[10:11], exec
	s_or_b64 s[26:27], s[26:27], vcc
; %bb.790:                              ;   in Loop: Header=BB4_81 Depth=1
	s_or_b64 exec, exec, s[58:59]
	s_andn2_b64 vcc, s[28:29], exec
	s_and_b64 s[56:57], s[56:57], exec
	s_or_b64 vcc, vcc, s[56:57]
	s_andn2_b64 s[56:57], s[30:31], exec
	s_and_b64 s[26:27], s[26:27], exec
	s_or_b64 s[26:27], s[56:57], s[26:27]
.LBB4_791:                              ;   in Loop: Header=BB4_81 Depth=1
	s_or_b64 exec, exec, s[54:55]
	s_andn2_b64 s[28:29], s[28:29], exec
	s_and_b64 vcc, vcc, exec
	s_or_b64 s[28:29], s[28:29], vcc
	s_andn2_b64 vcc, s[30:31], exec
	s_and_b64 s[26:27], s[26:27], exec
	s_or_b64 s[30:31], vcc, s[26:27]
	s_or_b64 exec, exec, s[52:53]
	s_and_saveexec_b64 s[26:27], s[30:31]
	s_cbranch_execnz .LBB4_526
.LBB4_792:                              ;   in Loop: Header=BB4_81 Depth=1
	s_or_b64 exec, exec, s[26:27]
	s_and_saveexec_b64 s[26:27], s[28:29]
	s_cbranch_execz .LBB4_527
.LBB4_793:                              ;   in Loop: Header=BB4_81 Depth=1
	v_lshl_add_u64 v[38:39], v[38:39], 0, 4
	flat_store_dwordx2 v[26:27], v[38:39] sc0 sc1
	s_or_b64 exec, exec, s[26:27]
	s_andn2_b64 vcc, exec, s[48:49]
	v_min_i32_e32 v25, v10, v0
	s_cbranch_vccz .LBB4_528
.LBB4_794:                              ;   in Loop: Header=BB4_81 Depth=1
	v_mov_b32_e32 v24, 0
	s_and_saveexec_b64 s[26:27], s[24:25]
	s_cbranch_execz .LBB4_931
.LBB4_795:                              ;   in Loop: Header=BB4_81 Depth=1
	s_and_saveexec_b64 s[24:25], s[0:1]
	s_cbranch_execz .LBB4_797
; %bb.796:                              ;   in Loop: Header=BB4_81 Depth=1
	flat_load_dword v1, v[18:19] offset:4
	s_trap 2
	ds_read_b128 v[2:5], v0
	s_waitcnt lgkmcnt(0)
	v_cmp_ne_u64_e32 vcc, 0, v[4:5]
	s_waitcnt vmcnt(0)
	v_ashrrev_i32_e32 v8, 31, v1
	v_mad_u64_u32 v[6:7], s[28:29], v20, v1, v[30:31]
	v_mul_lo_u32 v1, v21, v1
	v_mul_lo_u32 v8, v20, v8
	v_add3_u32 v7, v1, v7, v8
	v_lshl_add_u64 v[2:3], v[2:3], 0, v[6:7]
	v_lshl_add_u64 v[6:7], v[4:5], 0, v[6:7]
	ds_write_b64 v0, v[2:3]
	v_cndmask_b32_e32 v3, 0, v7, vcc
	v_cndmask_b32_e32 v2, 0, v6, vcc
	ds_write_b64 v0, v[2:3]
.LBB4_797:                              ;   in Loop: Header=BB4_81 Depth=1
	s_or_b64 exec, exec, s[24:25]
	v_and_b32_e32 v1, 4, v62
	v_cmp_ne_u32_e32 vcc, 0, v1
	s_mov_b64 s[28:29], -1
	s_and_saveexec_b64 s[24:25], vcc
	s_cbranch_execz .LBB4_807
; %bb.798:                              ;   in Loop: Header=BB4_81 Depth=1
	v_lshl_add_u64 v[2:3], v[38:39], 0, 4
	v_cmp_lt_u64_e32 vcc, v[36:37], v[2:3]
	v_mov_b32_e32 v1, 1
	s_and_saveexec_b64 s[28:29], vcc
	s_cbranch_execz .LBB4_818
; %bb.799:                              ;   in Loop: Header=BB4_81 Depth=1
	s_mov_b64 s[30:31], 0
	v_mov_b32_e32 v1, 0
                                        ; implicit-def: $sgpr52_sgpr53
	s_branch .LBB4_803
.LBB4_800:                              ;   in Loop: Header=BB4_803 Depth=2
	s_or_b64 exec, exec, s[60:61]
	v_mov_b32_e32 v4, 0
	s_orn2_b64 s[58:59], s[58:59], exec
.LBB4_801:                              ;   in Loop: Header=BB4_803 Depth=2
	s_or_b64 exec, exec, s[56:57]
	s_andn2_b64 vcc, s[52:53], exec
	s_and_b64 s[52:53], s[58:59], exec
	s_or_b64 s[52:53], vcc, s[52:53]
	v_mov_b32_e32 v1, v4
.LBB4_802:                              ;   in Loop: Header=BB4_803 Depth=2
	s_or_b64 exec, exec, s[54:55]
	s_waitcnt vmcnt(0) lgkmcnt(0)
	v_cmp_ge_u64_e32 vcc, v[36:37], v[2:3]
	s_xor_b64 s[54:55], s[52:53], -1
	s_or_b64 vcc, s[54:55], vcc
	s_and_b64 vcc, exec, vcc
	s_or_b64 s[30:31], vcc, s[30:31]
	s_andn2_b64 exec, exec, s[30:31]
	s_cbranch_execz .LBB4_817
.LBB4_803:                              ;   Parent Loop BB4_81 Depth=1
                                        ; =>  This Inner Loop Header: Depth=2
	s_sleep 1
	flat_load_dwordx2 v[36:37], v[26:27] sc0 sc1
	v_and_b32_e32 v4, 64, v62
	v_cmp_eq_u32_e32 vcc, 0, v4
	s_andn2_b64 s[52:53], s[52:53], exec
	s_and_saveexec_b64 s[54:55], vcc
	s_cbranch_execz .LBB4_802
; %bb.804:                              ;   in Loop: Header=BB4_803 Depth=2
	v_add_u32_e32 v4, 1, v1
	v_cmp_lt_i32_e32 vcc, s76, v1
	s_mov_b64 s[58:59], -1
	s_and_saveexec_b64 s[56:57], vcc
	s_cbranch_execz .LBB4_801
; %bb.805:                              ;   in Loop: Header=BB4_803 Depth=2
	s_trap 2
	ds_read_b64 v[4:5], v0
	s_waitcnt vmcnt(0) lgkmcnt(0)
	flat_load_dword v1, v[4:5] sc0 sc1
	s_waitcnt vmcnt(0) lgkmcnt(0)
	buffer_inv sc0 sc1
	v_cmp_ne_u32_e32 vcc, 0, v1
	s_and_saveexec_b64 s[60:61], vcc
	s_cbranch_execz .LBB4_800
; %bb.806:                              ;   in Loop: Header=BB4_803 Depth=2
	v_or_b32_e32 v62, 64, v62
	s_xor_b64 s[58:59], exec, -1
	ds_write_b32 v0, v1
	s_trap 2
	s_branch .LBB4_800
.LBB4_807:                              ;   in Loop: Header=BB4_81 Depth=1
	s_or_b64 exec, exec, s[24:25]
	s_xor_b64 s[24:25], s[28:29], -1
	s_and_saveexec_b64 s[28:29], s[24:25]
	s_cbranch_execz .LBB4_819
.LBB4_808:                              ;   in Loop: Header=BB4_81 Depth=1
	v_and_b32_e32 v1, 0x100, v62
	v_cmp_ne_u32_e32 vcc, 0, v1
	v_and_b32_e32 v1, 7, v38
	s_mov_b64 s[24:25], -1
                                        ; implicit-def: $vgpr2_vgpr3
	s_and_saveexec_b64 s[30:31], vcc
	s_cbranch_execz .LBB4_812
; %bb.809:                              ;   in Loop: Header=BB4_81 Depth=1
	v_accvgpr_read_b32 v2, a18
	v_accvgpr_read_b32 v3, a19
	v_mad_u64_u32 v[4:5], s[24:25], v1, 24, v[2:3]
	flat_load_dword v2, v[4:5]
	s_waitcnt vmcnt(0) lgkmcnt(0)
	v_cmp_ne_u32_e32 vcc, 1, v2
	v_cmp_eq_u32_e64 s[24:25], 1, v2
                                        ; implicit-def: $vgpr2_vgpr3
	s_and_saveexec_b64 s[52:53], s[24:25]
	s_cbranch_execz .LBB4_811
; %bb.810:                              ;   in Loop: Header=BB4_81 Depth=1
	flat_load_dword v2, v[4:5] offset:4 sc0 sc1
	s_waitcnt vmcnt(0) lgkmcnt(0)
	v_ashrrev_i32_e32 v3, 31, v2
.LBB4_811:                              ;   in Loop: Header=BB4_81 Depth=1
	s_or_b64 exec, exec, s[52:53]
	s_orn2_b64 s[24:25], vcc, exec
.LBB4_812:                              ;   in Loop: Header=BB4_81 Depth=1
	s_or_b64 exec, exec, s[30:31]
	s_and_saveexec_b64 vcc, s[24:25]
; %bb.813:                              ;   in Loop: Header=BB4_81 Depth=1
	v_mad_i64_i32 v[2:3], s[24:25], v1, v28, 0
; %bb.814:                              ;   in Loop: Header=BB4_81 Depth=1
	s_or_b64 exec, exec, vcc
	v_and_b32_e32 v1, 0x2000, v62
	v_lshl_add_u64 v[2:3], v[12:13], 0, v[2:3]
	v_cmp_ne_u32_e32 vcc, 0, v1
	ds_write_b64 v0, v[2:3] offset:720
	s_and_saveexec_b64 s[24:25], vcc
	s_cbranch_execz .LBB4_816
; %bb.815:                              ;   in Loop: Header=BB4_81 Depth=1
	ds_read_b64 v[2:3], v0 offset:584
	s_waitcnt lgkmcnt(0)
	v_lshl_add_u64 v[2:3], v[2:3], 0, 1
	ds_write_b64 v0, v[2:3] offset:584
.LBB4_816:                              ;   in Loop: Header=BB4_81 Depth=1
	s_or_b64 exec, exec, s[24:25]
	v_lshl_add_u64 v[38:39], v[38:39], 0, 4
	s_or_b64 exec, exec, s[28:29]
	s_and_saveexec_b64 s[24:25], s[4:5]
	s_cbranch_execz .LBB4_838
	s_branch .LBB4_820
.LBB4_817:                              ;   in Loop: Header=BB4_81 Depth=1
	s_or_b64 exec, exec, s[30:31]
	v_and_b32_e32 v1, 4, v62
.LBB4_818:                              ;   in Loop: Header=BB4_81 Depth=1
	s_or_b64 exec, exec, s[28:29]
	v_cmp_eq_u32_e32 vcc, 0, v1
	s_orn2_b64 s[28:29], vcc, exec
	;;#ASMSTART
	s_wakeup
	;;#ASMEND
	s_or_b64 exec, exec, s[24:25]
	s_xor_b64 s[24:25], s[28:29], -1
	s_and_saveexec_b64 s[28:29], s[24:25]
	s_cbranch_execnz .LBB4_808
.LBB4_819:                              ;   in Loop: Header=BB4_81 Depth=1
	s_or_b64 exec, exec, s[28:29]
	s_and_saveexec_b64 s[24:25], s[4:5]
	s_cbranch_execz .LBB4_838
.LBB4_820:                              ;   in Loop: Header=BB4_81 Depth=1
	s_and_saveexec_b64 s[28:29], s[42:43]
	s_xor_b64 s[28:29], exec, s[28:29]
	s_cbranch_execz .LBB4_835
; %bb.821:                              ;   in Loop: Header=BB4_81 Depth=1
	s_and_saveexec_b64 s[30:31], s[12:13]
	s_cbranch_execz .LBB4_834
; %bb.822:                              ;   in Loop: Header=BB4_81 Depth=1
	s_mov_b64 s[54:55], exec
	v_mbcnt_lo_u32_b32 v1, s54, 0
	v_mbcnt_hi_u32_b32 v1, s55, v1
	v_cmp_eq_u32_e32 vcc, 0, v1
	s_waitcnt lgkmcnt(0)
	s_and_saveexec_b64 s[52:53], vcc
	s_cbranch_execz .LBB4_824
; %bb.823:                              ;   in Loop: Header=BB4_81 Depth=1
	s_bcnt1_i32_b64 vcc_lo, s[54:55]
	v_mov_b32_e32 v48, vcc_lo
	ds_add_u64 v0, v[48:49]
	s_trap 2
.LBB4_824:                              ;   in Loop: Header=BB4_81 Depth=1
	s_or_b64 exec, exec, s[52:53]
	s_trap 2
	ds_read_b64 v[2:3], v0
	v_lshl_add_u64 v[14:15], v[14:15], 0, v[50:51]
	s_waitcnt lgkmcnt(0)
	v_cmp_lt_u64_e32 vcc, v[2:3], v[14:15]
	s_and_saveexec_b64 s[52:53], vcc
	s_cbranch_execz .LBB4_833
; %bb.825:                              ;   in Loop: Header=BB4_81 Depth=1
	s_mov_b32 s64, 0
	s_mov_b64 s[54:55], 0
                                        ; implicit-def: $sgpr56_sgpr57
                                        ; implicit-def: $sgpr58_sgpr59
	s_branch .LBB4_827
.LBB4_826:                              ;   in Loop: Header=BB4_827 Depth=2
	s_or_b64 exec, exec, s[62:63]
	s_and_b64 vcc, exec, vcc
	s_or_b64 s[54:55], vcc, s[54:55]
	s_andn2_b64 vcc, s[56:57], exec
	s_and_b64 s[56:57], s[58:59], exec
	s_or_b64 s[56:57], vcc, s[56:57]
	s_andn2_b64 exec, exec, s[54:55]
	s_cbranch_execz .LBB4_831
.LBB4_827:                              ;   Parent Loop BB4_81 Depth=1
                                        ; =>  This Inner Loop Header: Depth=2
	s_add_i32 s64, s64, 1
	s_cmpk_lg_i32 s64, 0x2710
	s_cselect_b64 s[60:61], -1, 0
	s_and_b64 vcc, exec, s[60:61]
                                        ; implicit-def: $sgpr62_sgpr63
	s_cbranch_vccnz .LBB4_829
; %bb.828:                              ;   in Loop: Header=BB4_827 Depth=2
	s_trap 2
	ds_read_b64 v[2:3], v0
	s_andn2_b64 s[60:61], s[60:61], exec
	s_mov_b32 s64, 0
	s_mov_b64 s[62:63], -1
	s_waitcnt vmcnt(0) lgkmcnt(0)
	flat_load_dword v1, v[2:3] sc0 sc1
	s_waitcnt vmcnt(0) lgkmcnt(0)
	buffer_inv sc0 sc1
	v_cmp_eq_u32_e32 vcc, 0, v1
	s_and_b64 vcc, vcc, exec
	s_or_b64 s[60:61], s[60:61], vcc
.LBB4_829:                              ;   in Loop: Header=BB4_827 Depth=2
	s_andn2_b64 s[58:59], s[58:59], exec
	s_and_b64 s[62:63], s[62:63], exec
	s_mov_b64 vcc, -1
	s_or_b64 s[58:59], s[58:59], s[62:63]
	s_and_saveexec_b64 s[62:63], s[60:61]
	s_cbranch_execz .LBB4_826
; %bb.830:                              ;   in Loop: Header=BB4_827 Depth=2
	s_sleep 1
	s_trap 2
	ds_read_b64 v[2:3], v0
	s_andn2_b64 s[58:59], s[58:59], exec
	s_waitcnt lgkmcnt(0)
	v_cmp_ge_u64_e32 vcc, v[2:3], v[14:15]
	s_orn2_b64 vcc, vcc, exec
	s_branch .LBB4_826
.LBB4_831:                              ;   in Loop: Header=BB4_81 Depth=1
	s_or_b64 exec, exec, s[54:55]
	s_and_saveexec_b64 vcc, s[56:57]
	s_xor_b64 vcc, exec, vcc
	s_cbranch_execz .LBB4_833
; %bb.832:                              ;   in Loop: Header=BB4_81 Depth=1
	ds_write_b32 v0, v46
	s_trap 2
.LBB4_833:                              ;   in Loop: Header=BB4_81 Depth=1
	s_or_b64 exec, exec, s[52:53]
	;;#ASMSTART
	s_wakeup
	;;#ASMEND
.LBB4_834:                              ;   in Loop: Header=BB4_81 Depth=1
	s_or_b64 exec, exec, s[30:31]
.LBB4_835:                              ;   in Loop: Header=BB4_81 Depth=1
	s_andn2_saveexec_b64 s[28:29], s[28:29]
	s_cbranch_execz .LBB4_837
; %bb.836:                              ;   in Loop: Header=BB4_81 Depth=1
	s_waitcnt lgkmcnt(0)
	s_barrier
.LBB4_837:                              ;   in Loop: Header=BB4_81 Depth=1
	s_or_b64 exec, exec, s[28:29]
.LBB4_838:                              ;   in Loop: Header=BB4_81 Depth=1
	s_or_b64 exec, exec, s[24:25]
	s_trap 2
	ds_read_b32 v2, v0
	v_and_b32_e32 v1, 0x4000, v62
	v_cmp_ne_u32_e32 vcc, 0, v1
	s_xor_b64 s[24:25], s[2:3], -1
	s_and_b64 s[28:29], s[24:25], vcc
	s_and_saveexec_b64 s[24:25], s[28:29]
	s_cbranch_execz .LBB4_857
; %bb.839:                              ;   in Loop: Header=BB4_81 Depth=1
	s_and_saveexec_b64 s[28:29], s[42:43]
	s_xor_b64 s[28:29], exec, s[28:29]
	s_cbranch_execz .LBB4_854
; %bb.840:                              ;   in Loop: Header=BB4_81 Depth=1
	s_and_saveexec_b64 s[30:31], s[12:13]
	s_cbranch_execz .LBB4_853
; %bb.841:                              ;   in Loop: Header=BB4_81 Depth=1
	s_mov_b64 s[54:55], exec
	v_mbcnt_lo_u32_b32 v1, s54, 0
	v_mbcnt_hi_u32_b32 v1, s55, v1
	v_cmp_eq_u32_e32 vcc, 0, v1
	s_waitcnt lgkmcnt(0)
	s_and_saveexec_b64 s[52:53], vcc
	s_cbranch_execz .LBB4_843
; %bb.842:                              ;   in Loop: Header=BB4_81 Depth=1
	s_bcnt1_i32_b64 vcc_lo, s[54:55]
	v_mov_b32_e32 v48, vcc_lo
	ds_add_u64 v0, v[48:49]
	s_trap 2
.LBB4_843:                              ;   in Loop: Header=BB4_81 Depth=1
	s_or_b64 exec, exec, s[52:53]
	s_trap 2
	ds_read_b64 v[4:5], v0
	v_lshl_add_u64 v[14:15], v[14:15], 0, v[50:51]
	s_waitcnt lgkmcnt(0)
	v_cmp_lt_u64_e32 vcc, v[4:5], v[14:15]
	s_and_saveexec_b64 s[52:53], vcc
	s_cbranch_execz .LBB4_852
; %bb.844:                              ;   in Loop: Header=BB4_81 Depth=1
	s_mov_b32 s64, 0
	s_mov_b64 s[54:55], 0
                                        ; implicit-def: $sgpr56_sgpr57
                                        ; implicit-def: $sgpr58_sgpr59
	s_branch .LBB4_846
.LBB4_845:                              ;   in Loop: Header=BB4_846 Depth=2
	s_or_b64 exec, exec, s[62:63]
	s_and_b64 vcc, exec, vcc
	s_or_b64 s[54:55], vcc, s[54:55]
	s_andn2_b64 vcc, s[56:57], exec
	s_and_b64 s[56:57], s[58:59], exec
	s_or_b64 s[56:57], vcc, s[56:57]
	s_andn2_b64 exec, exec, s[54:55]
	s_cbranch_execz .LBB4_850
.LBB4_846:                              ;   Parent Loop BB4_81 Depth=1
                                        ; =>  This Inner Loop Header: Depth=2
	s_add_i32 s64, s64, 1
	s_cmpk_lg_i32 s64, 0x2710
	s_cselect_b64 s[60:61], -1, 0
	s_and_b64 vcc, exec, s[60:61]
                                        ; implicit-def: $sgpr62_sgpr63
	s_cbranch_vccnz .LBB4_848
; %bb.847:                              ;   in Loop: Header=BB4_846 Depth=2
	s_trap 2
	ds_read_b64 v[4:5], v0
	s_andn2_b64 s[60:61], s[60:61], exec
	s_mov_b32 s64, 0
	s_mov_b64 s[62:63], -1
	s_waitcnt vmcnt(0) lgkmcnt(0)
	flat_load_dword v1, v[4:5] sc0 sc1
	s_waitcnt vmcnt(0) lgkmcnt(0)
	buffer_inv sc0 sc1
	v_cmp_eq_u32_e32 vcc, 0, v1
	s_and_b64 vcc, vcc, exec
	s_or_b64 s[60:61], s[60:61], vcc
.LBB4_848:                              ;   in Loop: Header=BB4_846 Depth=2
	s_andn2_b64 s[58:59], s[58:59], exec
	s_and_b64 s[62:63], s[62:63], exec
	s_mov_b64 vcc, -1
	s_or_b64 s[58:59], s[58:59], s[62:63]
	s_and_saveexec_b64 s[62:63], s[60:61]
	s_cbranch_execz .LBB4_845
; %bb.849:                              ;   in Loop: Header=BB4_846 Depth=2
	s_sleep 1
	s_trap 2
	ds_read_b64 v[4:5], v0
	s_andn2_b64 s[58:59], s[58:59], exec
	s_waitcnt lgkmcnt(0)
	v_cmp_ge_u64_e32 vcc, v[4:5], v[14:15]
	s_orn2_b64 vcc, vcc, exec
	s_branch .LBB4_845
.LBB4_850:                              ;   in Loop: Header=BB4_81 Depth=1
	s_or_b64 exec, exec, s[54:55]
	s_and_saveexec_b64 vcc, s[56:57]
	s_xor_b64 vcc, exec, vcc
	s_cbranch_execz .LBB4_852
; %bb.851:                              ;   in Loop: Header=BB4_81 Depth=1
	ds_write_b32 v0, v46
	s_trap 2
.LBB4_852:                              ;   in Loop: Header=BB4_81 Depth=1
	s_or_b64 exec, exec, s[52:53]
	;;#ASMSTART
	s_wakeup
	;;#ASMEND
.LBB4_853:                              ;   in Loop: Header=BB4_81 Depth=1
	s_or_b64 exec, exec, s[30:31]
.LBB4_854:                              ;   in Loop: Header=BB4_81 Depth=1
	s_andn2_saveexec_b64 s[28:29], s[28:29]
	s_cbranch_execz .LBB4_856
; %bb.855:                              ;   in Loop: Header=BB4_81 Depth=1
	s_waitcnt lgkmcnt(0)
	s_barrier
.LBB4_856:                              ;   in Loop: Header=BB4_81 Depth=1
	s_or_b64 exec, exec, s[28:29]
.LBB4_857:                              ;   in Loop: Header=BB4_81 Depth=1
	s_or_b64 exec, exec, s[24:25]
	s_trap 2
	ds_read_b64 v[4:5], v0
	s_waitcnt lgkmcnt(0)
	v_readfirstlane_b32 s24, v4
	v_readfirstlane_b32 s25, v5
	s_cmp_eq_u64 s[24:25], 0
	s_cselect_b64 s[24:25], -1, 0
	s_or_b64 s[28:29], s[24:25], s[24:25]
	s_mov_b64 s[24:25], 0
	s_and_b64 vcc, exec, s[28:29]
	s_cbranch_vccnz .LBB4_864
; %bb.858:                              ;   in Loop: Header=BB4_81 Depth=1
	s_mov_b64 s[24:25], -1
	s_and_saveexec_b64 s[28:29], s[18:19]
	s_cbranch_execz .LBB4_860
; %bb.859:                              ;   in Loop: Header=BB4_81 Depth=1
	ds_read_b32 v1, v0 offset:720
	s_waitcnt lgkmcnt(0)
	v_and_b32_e32 v1, 15, v1
	v_cmp_eq_u32_e32 vcc, 0, v1
	s_orn2_b64 s[24:25], vcc, exec
.LBB4_860:                              ;   in Loop: Header=BB4_81 Depth=1
	s_or_b64 exec, exec, s[28:29]
	s_and_saveexec_b64 s[28:29], s[14:15]
	s_cbranch_execz .LBB4_862
; %bb.861:                              ;   in Loop: Header=BB4_81 Depth=1
	ds_read_b32 v1, v0 offset:784
	s_waitcnt lgkmcnt(0)
	v_and_b32_e32 v1, 15, v1
	v_cmp_eq_u32_e32 vcc, 0, v1
	s_and_b64 vcc, s[24:25], vcc
	s_andn2_b64 s[24:25], s[24:25], exec
	s_and_b64 vcc, vcc, exec
	s_or_b64 s[24:25], s[24:25], vcc
.LBB4_862:                              ;   in Loop: Header=BB4_81 Depth=1
	s_or_b64 exec, exec, s[28:29]
	s_xor_b64 s[24:25], s[24:25], -1
	v_cmp_eq_u32_e32 vcc, 0, v2
	v_cndmask_b32_e64 v1, 0, 1, s[24:25]
	;;#ASMSTART
	;;#ASMEND
	v_mov_b32_e32 v30, 0
	v_cndmask_b32_e32 v10, 0, v25, vcc
	s_mov_b64 s[30:31], -1
	v_cmp_ne_u32_e32 vcc, 0, v1
	v_mov_b32_e32 v1, v10
	v_mov_b32_e32 v6, v47
	v_accvgpr_read_b32 v4, a20
	s_cbranch_vccz .LBB4_876
; %bb.863:                              ;   in Loop: Header=BB4_81 Depth=1
	s_and_saveexec_b64 s[24:25], s[30:31]
	s_cbranch_execnz .LBB4_889
	s_branch .LBB4_897
.LBB4_864:                              ;   in Loop: Header=BB4_81 Depth=1
	s_and_saveexec_b64 s[28:29], s[4:5]
	s_cbranch_execz .LBB4_898
.LBB4_865:                              ;   in Loop: Header=BB4_81 Depth=1
	s_and_saveexec_b64 vcc, s[42:43]
	s_xor_b64 s[30:31], exec, vcc
	s_cbranch_execz .LBB4_906
; %bb.866:                              ;   in Loop: Header=BB4_81 Depth=1
	s_and_saveexec_b64 s[52:53], s[12:13]
	s_cbranch_execz .LBB4_905
; %bb.867:                              ;   in Loop: Header=BB4_81 Depth=1
	s_mov_b64 s[56:57], exec
	v_mbcnt_lo_u32_b32 v1, s56, 0
	v_mbcnt_hi_u32_b32 v1, s57, v1
	v_cmp_eq_u32_e32 vcc, 0, v1
	s_waitcnt lgkmcnt(0)
	s_and_saveexec_b64 s[54:55], vcc
	s_cbranch_execz .LBB4_869
; %bb.868:                              ;   in Loop: Header=BB4_81 Depth=1
	s_bcnt1_i32_b64 vcc_lo, s[56:57]
	v_mov_b32_e32 v48, vcc_lo
	ds_add_u64 v0, v[48:49]
	s_trap 2
.LBB4_869:                              ;   in Loop: Header=BB4_81 Depth=1
	s_or_b64 exec, exec, s[54:55]
	s_trap 2
	ds_read_b64 v[2:3], v0
	v_lshl_add_u64 v[14:15], v[14:15], 0, v[50:51]
	s_waitcnt lgkmcnt(0)
	v_cmp_lt_u64_e32 vcc, v[2:3], v[14:15]
	s_and_saveexec_b64 s[54:55], vcc
	s_cbranch_execz .LBB4_904
; %bb.870:                              ;   in Loop: Header=BB4_81 Depth=1
	s_mov_b32 s66, 0
	s_mov_b64 s[56:57], 0
                                        ; implicit-def: $sgpr58_sgpr59
                                        ; implicit-def: $sgpr60_sgpr61
	s_branch .LBB4_872
.LBB4_871:                              ;   in Loop: Header=BB4_872 Depth=2
	s_or_b64 exec, exec, s[64:65]
	s_and_b64 vcc, exec, vcc
	s_or_b64 s[56:57], vcc, s[56:57]
	s_andn2_b64 vcc, s[58:59], exec
	s_and_b64 s[58:59], s[60:61], exec
	s_or_b64 s[58:59], vcc, s[58:59]
	s_andn2_b64 exec, exec, s[56:57]
	s_cbranch_execz .LBB4_902
.LBB4_872:                              ;   Parent Loop BB4_81 Depth=1
                                        ; =>  This Inner Loop Header: Depth=2
	s_add_i32 s66, s66, 1
	s_cmpk_lg_i32 s66, 0x2710
	s_cselect_b64 s[62:63], -1, 0
	s_and_b64 vcc, exec, s[62:63]
                                        ; implicit-def: $sgpr64_sgpr65
	s_cbranch_vccnz .LBB4_874
; %bb.873:                              ;   in Loop: Header=BB4_872 Depth=2
	s_trap 2
	ds_read_b64 v[2:3], v0
	s_andn2_b64 s[62:63], s[62:63], exec
	s_mov_b32 s66, 0
	s_mov_b64 s[64:65], -1
	s_waitcnt vmcnt(0) lgkmcnt(0)
	flat_load_dword v1, v[2:3] sc0 sc1
	s_waitcnt vmcnt(0) lgkmcnt(0)
	buffer_inv sc0 sc1
	v_cmp_eq_u32_e32 vcc, 0, v1
	s_and_b64 vcc, vcc, exec
	s_or_b64 s[62:63], s[62:63], vcc
.LBB4_874:                              ;   in Loop: Header=BB4_872 Depth=2
	s_andn2_b64 s[60:61], s[60:61], exec
	s_and_b64 s[64:65], s[64:65], exec
	s_mov_b64 vcc, -1
	s_or_b64 s[60:61], s[60:61], s[64:65]
	s_and_saveexec_b64 s[64:65], s[62:63]
	s_cbranch_execz .LBB4_871
; %bb.875:                              ;   in Loop: Header=BB4_872 Depth=2
	s_sleep 1
	s_trap 2
	ds_read_b64 v[2:3], v0
	s_andn2_b64 s[60:61], s[60:61], exec
	s_waitcnt lgkmcnt(0)
	v_cmp_ge_u64_e32 vcc, v[2:3], v[14:15]
	s_orn2_b64 vcc, vcc, exec
	s_branch .LBB4_871
.LBB4_876:                              ;   in Loop: Header=BB4_81 Depth=1
	v_ashrrev_i32_e32 v1, 31, v10
	v_lshrrev_b32_e32 v1, 21, v1
	v_add_u32_e32 v1, v10, v1
	v_ashrrev_i32_e32 v1, 11, v1
	v_accvgpr_read_b32 v2, a20
	v_sub_u32_e32 v8, v1, v2
	v_cmp_lt_i32_e32 vcc, 0, v8
	s_and_saveexec_b64 s[24:25], vcc
	s_cbranch_execz .LBB4_880
; %bb.877:                              ;   in Loop: Header=BB4_81 Depth=1
	s_trap 2
	ds_read_b64 v[2:3], v0
	v_accvgpr_read_b32 v4, a32
	s_mov_b64 s[28:29], 0
	v_accvgpr_read_b32 v5, a33
.LBB4_878:                              ;   Parent Loop BB4_81 Depth=1
                                        ; =>  This Inner Loop Header: Depth=2
	s_waitcnt lgkmcnt(0)
	v_lshl_add_u64 v[6:7], v[2:3], 0, v[4:5]
	global_load_dwordx4 v[16:19], v[6:7], off nt
	global_load_dwordx4 v[30:33], v[6:7], off offset:1024 nt
	v_sub_u32_e32 v8, v8, v50
	v_cmp_gt_i32_e32 vcc, 1, v8
	v_lshl_add_u64 v[4:5], v[4:5], 0, v[60:61]
	s_or_b64 s[28:29], vcc, s[28:29]
	s_waitcnt vmcnt(0)
	global_store_dwordx4 v[6:7], v[16:19], off nt
	global_store_dwordx4 v[6:7], v[30:33], off offset:1024 nt
	s_andn2_b64 exec, exec, s[28:29]
	s_cbranch_execnz .LBB4_878
; %bb.879:                              ;   in Loop: Header=BB4_81 Depth=1
	s_or_b64 exec, exec, s[28:29]
	v_accvgpr_read_b32 v19, a7
	v_accvgpr_read_b32 v18, a6
.LBB4_880:                              ;   in Loop: Header=BB4_81 Depth=1
	s_or_b64 exec, exec, s[24:25]
	v_lshlrev_b32_e32 v7, 11, v1
	v_cmp_ne_u32_e32 vcc, v10, v7
	s_mov_b64 s[30:31], 0
	v_mov_b32_e32 v30, 0
                                        ; implicit-def: $vgpr1
                                        ; implicit-def: $vgpr6
                                        ; implicit-def: $vgpr4
	s_and_saveexec_b64 s[28:29], vcc
	s_cbranch_execz .LBB4_888
; %bb.881:                              ;   in Loop: Header=BB4_81 Depth=1
	v_lshlrev_b32_e32 v1, 6, v8
	v_accvgpr_read_b32 v3, a30
	v_sub_u32_e32 v1, v3, v1
	v_ashrrev_i32_e32 v3, 31, v1
	v_lshrrev_b32_e32 v3, 26, v3
	v_add_u32_e32 v3, v1, v3
	v_sub_u32_e32 v2, v10, v7
	v_ashrrev_i32_e32 v5, 6, v3
	v_and_b32_e32 v3, 0xffffffc0, v3
	v_sub_u32_e32 v8, v1, v3
	v_ashrrev_i32_e32 v3, 31, v2
	v_lshrrev_b32_e32 v3, 22, v3
	v_add_u32_e32 v3, v2, v3
	v_and_b32_e32 v9, 0xfffffc00, v3
	v_lshlrev_b32_e32 v1, 4, v8
	v_sub_u32_e32 v17, v2, v9
	v_lshl_add_u32 v4, v5, 10, v1
	v_ashrrev_i32_e32 v6, 10, v3
	v_cmp_lt_i32_e32 vcc, 15, v17
	v_sub_u32_e32 v1, v2, v4
	s_nop 0
	v_addc_co_u32_e64 v2, s[24:25], 0, v6, vcc
	v_sub_u32_e32 v16, v2, v5
	v_cmp_lt_i32_e64 s[24:25], 15, v1
	s_and_saveexec_b64 s[30:31], s[24:25]
	s_cbranch_execz .LBB4_885
; %bb.882:                              ;   in Loop: Header=BB4_81 Depth=1
	s_trap 2
	ds_read_b64 v[2:3], v0
	v_add_u32_e32 v4, v4, v7
	v_ashrrev_i32_e32 v5, 31, v4
	s_mov_b64 s[52:53], 0
.LBB4_883:                              ;   Parent Loop BB4_81 Depth=1
                                        ; =>  This Inner Loop Header: Depth=2
	s_waitcnt lgkmcnt(0)
	v_lshl_add_u64 v[18:19], v[2:3], 0, v[4:5]
	global_load_dwordx4 v[30:33], v[18:19], off nt
	v_sub_u32_e32 v1, v1, v29
	v_cmp_gt_i32_e64 s[24:25], 16, v1
	v_sub_u32_e32 v16, v16, v50
	v_lshl_add_u64 v[4:5], v[4:5], 0, v[22:23]
	s_or_b64 s[52:53], s[24:25], s[52:53]
	s_waitcnt vmcnt(0)
	global_store_dwordx4 v[18:19], v[30:33], off nt
	s_andn2_b64 exec, exec, s[52:53]
	s_cbranch_execnz .LBB4_883
; %bb.884:                              ;   in Loop: Header=BB4_81 Depth=1
	s_or_b64 exec, exec, s[52:53]
	v_accvgpr_read_b32 v19, a7
	v_accvgpr_read_b32 v18, a6
.LBB4_885:                              ;   in Loop: Header=BB4_81 Depth=1
	s_or_b64 exec, exec, s[30:31]
	v_and_b32_e32 v2, 15, v10
	v_cndmask_b32_e32 v1, v17, v2, vcc
	v_cmp_ne_u32_e64 s[24:25], 0, v1
	s_mov_b64 s[30:31], 0
	v_mov_b32_e32 v30, 0
                                        ; implicit-def: $vgpr6
                                        ; implicit-def: $vgpr4
	s_and_saveexec_b64 s[52:53], s[24:25]
	s_cbranch_execz .LBB4_887
; %bb.886:                              ;   in Loop: Header=BB4_81 Depth=1
	v_sub_u32_e32 v2, v17, v2
	v_cndmask_b32_e32 v2, 0, v2, vcc
	v_cmp_lt_i32_e32 vcc, 0, v16
	v_add3_u32 v30, v9, v7, v2
	s_mov_b64 s[30:31], exec
	v_cndmask_b32_e32 v2, 0, v50, vcc
	v_sub_u32_e32 v2, v2, v16
	v_lshl_add_u32 v6, v2, 6, v8
	v_ashrrev_i32_e32 v2, 31, v6
	v_lshrrev_b32_e32 v2, 26, v2
	v_add_u32_e32 v2, v6, v2
	v_ashrrev_i32_e32 v4, 6, v2
.LBB4_887:                              ;   in Loop: Header=BB4_81 Depth=1
	s_or_b64 exec, exec, s[52:53]
	s_and_b64 s[30:31], s[30:31], exec
.LBB4_888:                              ;   in Loop: Header=BB4_81 Depth=1
	s_or_b64 exec, exec, s[28:29]
	s_and_saveexec_b64 s[24:25], s[30:31]
	s_cbranch_execz .LBB4_897
.LBB4_889:                              ;   in Loop: Header=BB4_81 Depth=1
	v_ashrrev_i32_e32 v2, 31, v1
	v_lshrrev_b32_e32 v2, 23, v2
	v_add_u32_e32 v2, v1, v2
	v_ashrrev_i32_e32 v9, 9, v2
	v_sub_u32_e32 v7, v9, v4
	v_ashrrev_i32_e32 v2, 31, v6
	v_cmp_lt_i32_e32 vcc, 0, v7
	v_lshrrev_b32_e32 v8, 26, v2
	s_and_saveexec_b64 s[28:29], vcc
	s_cbranch_execz .LBB4_893
; %bb.890:                              ;   in Loop: Header=BB4_81 Depth=1
	s_trap 2
	ds_read_b64 v[2:3], v0
	v_add_u32_e32 v5, v6, v8
	v_and_b32_e32 v5, 0xffffffc0, v5
	v_sub_u32_e32 v5, v6, v5
	v_lshlrev_b32_e32 v4, 9, v4
	v_add3_u32 v4, v30, v5, v4
	v_mov_b32_e32 v52, v25
	v_ashrrev_i32_e32 v5, 31, v4
	s_mov_b64 s[30:31], 0
	s_waitcnt lgkmcnt(0)
	v_mov_b64_e32 v[24:25], v[2:3]
.LBB4_891:                              ;   Parent Loop BB4_81 Depth=1
                                        ; =>  This Inner Loop Header: Depth=2
	v_lshl_add_u64 v[16:17], v[4:5], 0, v[24:25]
	flat_load_ubyte v18, v[16:17] nt
	flat_load_ubyte v19, v[16:17] offset:64 nt
	flat_load_ubyte v31, v[16:17] offset:128 nt
	;; [unrolled: 1-line block ×7, first 2 shown]
	v_sub_u32_e32 v7, v7, v50
	v_cmp_gt_i32_e32 vcc, 1, v7
	v_lshl_add_u64 v[16:17], v[4:5], 0, v[2:3]
	v_lshl_add_u64 v[24:25], v[24:25], 0, v[56:57]
	;; [unrolled: 1-line block ×3, first 2 shown]
	s_or_b64 s[30:31], vcc, s[30:31]
	s_waitcnt vmcnt(0) lgkmcnt(0)
	flat_store_byte v[16:17], v18 nt
	flat_store_byte v[16:17], v19 offset:64 nt
	flat_store_byte v[16:17], v31 offset:128 nt
	;; [unrolled: 1-line block ×7, first 2 shown]
	s_andn2_b64 exec, exec, s[30:31]
	s_cbranch_execnz .LBB4_891
; %bb.892:                              ;   in Loop: Header=BB4_81 Depth=1
	s_or_b64 exec, exec, s[30:31]
	v_accvgpr_read_b32 v19, a7
	v_accvgpr_read_b32 v18, a6
	v_mov_b32_e32 v25, v52
.LBB4_893:                              ;   in Loop: Header=BB4_81 Depth=1
	s_or_b64 exec, exec, s[28:29]
	v_lshlrev_b32_e32 v2, 9, v9
	v_cmp_ne_u32_e32 vcc, v1, v2
	s_and_b64 exec, exec, vcc
	s_cbranch_execz .LBB4_897
; %bb.894:                              ;   in Loop: Header=BB4_81 Depth=1
	v_add_u32_e32 v3, v6, v8
	v_and_b32_e32 v3, 0xffffffc0, v3
	v_sub_u32_e32 v3, v6, v3
	v_lshlrev_b32_e32 v4, 6, v7
	v_sub_u32_e32 v3, v3, v4
	v_add_u32_e32 v4, v2, v3
	v_sub_u32_e32 v1, v1, v4
	v_cmp_lt_i32_e32 vcc, 0, v1
	s_and_b64 exec, exec, vcc
	s_cbranch_execz .LBB4_897
; %bb.895:                              ;   in Loop: Header=BB4_81 Depth=1
	s_trap 2
	ds_read_b64 v[2:3], v0
	v_add_u32_e32 v4, v4, v30
	v_ashrrev_i32_e32 v5, 31, v4
	s_mov_b64 s[28:29], 0
.LBB4_896:                              ;   Parent Loop BB4_81 Depth=1
                                        ; =>  This Inner Loop Header: Depth=2
	s_waitcnt lgkmcnt(0)
	v_lshl_add_u64 v[6:7], v[2:3], 0, v[4:5]
	flat_load_ubyte v8, v[6:7] nt
	v_sub_u32_e32 v1, v1, v11
	v_cmp_gt_i32_e32 vcc, 1, v1
	v_lshl_add_u64 v[4:5], v[4:5], 0, v[58:59]
	s_or_b64 s[28:29], vcc, s[28:29]
	s_waitcnt vmcnt(0) lgkmcnt(0)
	flat_store_byte v[6:7], v8 nt
	s_andn2_b64 exec, exec, s[28:29]
	s_cbranch_execnz .LBB4_896
.LBB4_897:                              ;   in Loop: Header=BB4_81 Depth=1
	s_or_b64 exec, exec, s[24:25]
	v_cmp_lt_i32_e64 s[24:25], 0, v10
	s_and_saveexec_b64 s[28:29], s[4:5]
	s_cbranch_execnz .LBB4_865
.LBB4_898:                              ;   in Loop: Header=BB4_81 Depth=1
	s_or_b64 exec, exec, s[28:29]
	s_and_saveexec_b64 s[28:29], s[20:21]
	s_xor_b64 s[28:29], exec, s[28:29]
	s_cbranch_execz .LBB4_909
.LBB4_899:                              ;   in Loop: Header=BB4_81 Depth=1
	v_and_b32_e32 v1, 16, v62
	v_cmp_ne_u32_e32 vcc, 0, v1
	s_and_b64 vcc, vcc, s[24:25]
	s_and_saveexec_b64 s[24:25], vcc
	s_cbranch_execz .LBB4_901
; %bb.900:                              ;   in Loop: Header=BB4_81 Depth=1
	buffer_wbl2 sc1
	s_waitcnt vmcnt(0) lgkmcnt(0)
	buffer_inv sc1
.LBB4_901:                              ;   in Loop: Header=BB4_81 Depth=1
	s_or_b64 exec, exec, s[24:25]
	s_andn2_saveexec_b64 s[24:25], s[28:29]
	s_cbranch_execz .LBB4_928
	s_branch .LBB4_910
.LBB4_902:                              ;   in Loop: Header=BB4_81 Depth=1
	s_or_b64 exec, exec, s[56:57]
	s_and_saveexec_b64 vcc, s[58:59]
	s_xor_b64 vcc, exec, vcc
	s_cbranch_execz .LBB4_904
; %bb.903:                              ;   in Loop: Header=BB4_81 Depth=1
	ds_write_b32 v0, v46
	s_trap 2
.LBB4_904:                              ;   in Loop: Header=BB4_81 Depth=1
	s_or_b64 exec, exec, s[54:55]
	;;#ASMSTART
	s_wakeup
	;;#ASMEND
.LBB4_905:                              ;   in Loop: Header=BB4_81 Depth=1
	s_or_b64 exec, exec, s[52:53]
.LBB4_906:                              ;   in Loop: Header=BB4_81 Depth=1
	s_andn2_saveexec_b64 vcc, s[30:31]
	s_cbranch_execz .LBB4_908
; %bb.907:                              ;   in Loop: Header=BB4_81 Depth=1
	s_waitcnt lgkmcnt(0)
	s_barrier
.LBB4_908:                              ;   in Loop: Header=BB4_81 Depth=1
	s_or_b64 exec, exec, vcc
	s_or_b64 exec, exec, s[28:29]
	s_and_saveexec_b64 s[28:29], s[20:21]
	s_xor_b64 s[28:29], exec, s[28:29]
	s_cbranch_execnz .LBB4_899
.LBB4_909:                              ;   in Loop: Header=BB4_81 Depth=1
	s_andn2_saveexec_b64 s[24:25], s[28:29]
	s_cbranch_execz .LBB4_928
.LBB4_910:                              ;   in Loop: Header=BB4_81 Depth=1
	s_and_saveexec_b64 s[28:29], s[42:43]
	s_xor_b64 s[28:29], exec, s[28:29]
	s_cbranch_execz .LBB4_925
; %bb.911:                              ;   in Loop: Header=BB4_81 Depth=1
	s_and_saveexec_b64 s[30:31], s[12:13]
	s_cbranch_execz .LBB4_924
; %bb.912:                              ;   in Loop: Header=BB4_81 Depth=1
	s_mov_b64 s[54:55], exec
	v_mbcnt_lo_u32_b32 v1, s54, 0
	v_mbcnt_hi_u32_b32 v1, s55, v1
	v_cmp_eq_u32_e32 vcc, 0, v1
	;;#ASMSTART
	s_waitcnt lgkmcnt(0) vmcnt(0)
	;;#ASMEND
	s_and_saveexec_b64 s[52:53], vcc
	s_cbranch_execz .LBB4_914
; %bb.913:                              ;   in Loop: Header=BB4_81 Depth=1
	s_bcnt1_i32_b64 vcc_lo, s[54:55]
	v_mov_b32_e32 v48, vcc_lo
	ds_add_u64 v0, v[48:49]
	s_trap 2
.LBB4_914:                              ;   in Loop: Header=BB4_81 Depth=1
	s_or_b64 exec, exec, s[52:53]
	s_trap 2
	ds_read_b64 v[2:3], v0
	v_lshl_add_u64 v[14:15], v[14:15], 0, v[50:51]
	s_waitcnt lgkmcnt(0)
	v_cmp_lt_u64_e32 vcc, v[2:3], v[14:15]
	s_and_saveexec_b64 s[52:53], vcc
	s_cbranch_execz .LBB4_923
; %bb.915:                              ;   in Loop: Header=BB4_81 Depth=1
	s_mov_b32 s64, 0
	s_mov_b64 s[54:55], 0
                                        ; implicit-def: $sgpr56_sgpr57
                                        ; implicit-def: $sgpr58_sgpr59
	s_branch .LBB4_917
.LBB4_916:                              ;   in Loop: Header=BB4_917 Depth=2
	s_or_b64 exec, exec, s[62:63]
	s_and_b64 vcc, exec, vcc
	s_or_b64 s[54:55], vcc, s[54:55]
	s_andn2_b64 vcc, s[56:57], exec
	s_and_b64 s[56:57], s[58:59], exec
	s_or_b64 s[56:57], vcc, s[56:57]
	s_andn2_b64 exec, exec, s[54:55]
	s_cbranch_execz .LBB4_921
.LBB4_917:                              ;   Parent Loop BB4_81 Depth=1
                                        ; =>  This Inner Loop Header: Depth=2
	s_add_i32 s64, s64, 1
	s_cmpk_lg_i32 s64, 0x2710
	s_cselect_b64 s[60:61], -1, 0
	s_and_b64 vcc, exec, s[60:61]
                                        ; implicit-def: $sgpr62_sgpr63
	s_cbranch_vccnz .LBB4_919
; %bb.918:                              ;   in Loop: Header=BB4_917 Depth=2
	s_trap 2
	ds_read_b64 v[2:3], v0
	s_andn2_b64 s[60:61], s[60:61], exec
	s_mov_b32 s64, 0
	s_mov_b64 s[62:63], -1
	s_waitcnt vmcnt(0) lgkmcnt(0)
	flat_load_dword v1, v[2:3] sc0 sc1
	s_waitcnt vmcnt(0) lgkmcnt(0)
	buffer_inv sc0 sc1
	v_cmp_eq_u32_e32 vcc, 0, v1
	s_and_b64 vcc, vcc, exec
	s_or_b64 s[60:61], s[60:61], vcc
.LBB4_919:                              ;   in Loop: Header=BB4_917 Depth=2
	s_andn2_b64 s[58:59], s[58:59], exec
	s_and_b64 s[62:63], s[62:63], exec
	s_mov_b64 vcc, -1
	s_or_b64 s[58:59], s[58:59], s[62:63]
	s_and_saveexec_b64 s[62:63], s[60:61]
	s_cbranch_execz .LBB4_916
; %bb.920:                              ;   in Loop: Header=BB4_917 Depth=2
	s_sleep 1
	s_trap 2
	ds_read_b64 v[2:3], v0
	s_andn2_b64 s[58:59], s[58:59], exec
	s_waitcnt lgkmcnt(0)
	v_cmp_ge_u64_e32 vcc, v[2:3], v[14:15]
	s_orn2_b64 vcc, vcc, exec
	s_branch .LBB4_916
.LBB4_921:                              ;   in Loop: Header=BB4_81 Depth=1
	s_or_b64 exec, exec, s[54:55]
	s_and_saveexec_b64 vcc, s[56:57]
	s_xor_b64 vcc, exec, vcc
	s_cbranch_execz .LBB4_923
; %bb.922:                              ;   in Loop: Header=BB4_81 Depth=1
	ds_write_b32 v0, v46
	s_trap 2
.LBB4_923:                              ;   in Loop: Header=BB4_81 Depth=1
	s_or_b64 exec, exec, s[52:53]
	;;#ASMSTART
	s_wakeup
	;;#ASMEND
.LBB4_924:                              ;   in Loop: Header=BB4_81 Depth=1
	s_or_b64 exec, exec, s[30:31]
.LBB4_925:                              ;   in Loop: Header=BB4_81 Depth=1
	s_andn2_saveexec_b64 s[28:29], s[28:29]
	s_cbranch_execz .LBB4_927
; %bb.926:                              ;   in Loop: Header=BB4_81 Depth=1
	;;#ASMSTART
	s_waitcnt lgkmcnt(0) vmcnt(0)
	;;#ASMEND
	s_barrier
.LBB4_927:                              ;   in Loop: Header=BB4_81 Depth=1
	s_or_b64 exec, exec, s[28:29]
.LBB4_928:                              ;   in Loop: Header=BB4_81 Depth=1
	s_or_b64 exec, exec, s[24:25]
	v_and_b32_e32 v1, 32, v62
	v_cmp_ne_u32_e32 vcc, 0, v1
	s_and_saveexec_b64 s[24:25], vcc
	s_cbranch_execz .LBB4_930
; %bb.929:                              ;   in Loop: Header=BB4_81 Depth=1
	v_lshl_add_u64 v[38:39], v[38:39], 0, 4
	flat_store_dwordx2 v[26:27], v[38:39] sc0 sc1
.LBB4_930:                              ;   in Loop: Header=BB4_81 Depth=1
	s_or_b64 exec, exec, s[24:25]
	v_mov_b32_e32 v10, v25
	v_mov_b32_e32 v24, v25
.LBB4_931:                              ;   in Loop: Header=BB4_81 Depth=1
	s_or_b64 exec, exec, s[26:27]
	s_mov_b64 s[24:25], exec
	v_accvgpr_read_b32 v35, a3
	s_and_b64 s[22:23], s[24:25], s[22:23]
	v_accvgpr_read_b32 v34, a2
	s_mov_b64 exec, s[22:23]
	s_cbranch_execz .LBB4_80
; %bb.932:                              ;   in Loop: Header=BB4_81 Depth=1
	v_and_b32_e32 v1, 4, v62
	v_cmp_ne_u32_e32 vcc, 0, v1
	s_mov_b64 s[26:27], -1
	s_and_saveexec_b64 s[22:23], vcc
	s_cbranch_execz .LBB4_942
; %bb.933:                              ;   in Loop: Header=BB4_81 Depth=1
	v_lshl_add_u64 v[2:3], v[38:39], 0, 4
	v_cmp_lt_u64_e32 vcc, v[36:37], v[2:3]
	v_mov_b32_e32 v1, 1
	s_and_saveexec_b64 s[26:27], vcc
	s_cbranch_execz .LBB4_957
; %bb.934:                              ;   in Loop: Header=BB4_81 Depth=1
	s_mov_b64 s[28:29], 0
	v_mov_b32_e32 v1, 0
                                        ; implicit-def: $sgpr30_sgpr31
	s_branch .LBB4_938
.LBB4_935:                              ;   in Loop: Header=BB4_938 Depth=2
	s_or_b64 exec, exec, s[58:59]
	v_mov_b32_e32 v4, 0
	s_orn2_b64 s[56:57], s[56:57], exec
.LBB4_936:                              ;   in Loop: Header=BB4_938 Depth=2
	s_or_b64 exec, exec, s[54:55]
	s_andn2_b64 vcc, s[30:31], exec
	s_and_b64 s[30:31], s[56:57], exec
	s_or_b64 s[30:31], vcc, s[30:31]
	v_mov_b32_e32 v1, v4
.LBB4_937:                              ;   in Loop: Header=BB4_938 Depth=2
	s_or_b64 exec, exec, s[52:53]
	s_waitcnt vmcnt(0) lgkmcnt(0)
	v_cmp_ge_u64_e32 vcc, v[36:37], v[2:3]
	s_xor_b64 s[52:53], s[30:31], -1
	s_or_b64 vcc, s[52:53], vcc
	s_and_b64 vcc, exec, vcc
	s_or_b64 s[28:29], vcc, s[28:29]
	s_andn2_b64 exec, exec, s[28:29]
	s_cbranch_execz .LBB4_956
.LBB4_938:                              ;   Parent Loop BB4_81 Depth=1
                                        ; =>  This Inner Loop Header: Depth=2
	s_sleep 1
	flat_load_dwordx2 v[36:37], v[26:27] sc0 sc1
	v_and_b32_e32 v4, 64, v62
	v_cmp_eq_u32_e32 vcc, 0, v4
	s_andn2_b64 s[30:31], s[30:31], exec
	s_and_saveexec_b64 s[52:53], vcc
	s_cbranch_execz .LBB4_937
; %bb.939:                              ;   in Loop: Header=BB4_938 Depth=2
	v_add_u32_e32 v4, 1, v1
	v_cmp_lt_i32_e32 vcc, s76, v1
	s_mov_b64 s[56:57], -1
	s_and_saveexec_b64 s[54:55], vcc
	s_cbranch_execz .LBB4_936
; %bb.940:                              ;   in Loop: Header=BB4_938 Depth=2
	s_trap 2
	ds_read_b64 v[4:5], v0
	s_waitcnt vmcnt(0) lgkmcnt(0)
	flat_load_dword v1, v[4:5] sc0 sc1
	s_waitcnt vmcnt(0) lgkmcnt(0)
	buffer_inv sc0 sc1
	v_cmp_ne_u32_e32 vcc, 0, v1
	s_and_saveexec_b64 s[58:59], vcc
	s_cbranch_execz .LBB4_935
; %bb.941:                              ;   in Loop: Header=BB4_938 Depth=2
	v_or_b32_e32 v62, 64, v62
	s_xor_b64 s[56:57], exec, -1
	ds_write_b32 v0, v1
	s_trap 2
	s_branch .LBB4_935
.LBB4_942:                              ;   in Loop: Header=BB4_81 Depth=1
	s_or_b64 exec, exec, s[22:23]
	s_xor_b64 s[22:23], s[26:27], -1
	s_and_saveexec_b64 s[26:27], s[22:23]
	s_cbranch_execz .LBB4_958
.LBB4_943:                              ;   in Loop: Header=BB4_81 Depth=1
	v_and_b32_e32 v1, 0x100, v62
	v_cmp_ne_u32_e32 vcc, 0, v1
	v_and_b32_e32 v1, 7, v38
	s_mov_b64 s[22:23], -1
                                        ; implicit-def: $vgpr2_vgpr3
	s_and_saveexec_b64 s[28:29], vcc
	s_cbranch_execz .LBB4_947
; %bb.944:                              ;   in Loop: Header=BB4_81 Depth=1
	v_accvgpr_read_b32 v2, a18
	v_accvgpr_read_b32 v3, a19
	v_mad_u64_u32 v[4:5], s[22:23], v1, 24, v[2:3]
	flat_load_dword v2, v[4:5]
	s_waitcnt vmcnt(0) lgkmcnt(0)
	v_cmp_ne_u32_e32 vcc, 1, v2
	v_cmp_eq_u32_e64 s[22:23], 1, v2
                                        ; implicit-def: $vgpr2_vgpr3
	s_and_saveexec_b64 s[30:31], s[22:23]
	s_cbranch_execz .LBB4_946
; %bb.945:                              ;   in Loop: Header=BB4_81 Depth=1
	flat_load_dword v2, v[4:5] offset:4 sc0 sc1
	s_waitcnt vmcnt(0) lgkmcnt(0)
	v_ashrrev_i32_e32 v3, 31, v2
.LBB4_946:                              ;   in Loop: Header=BB4_81 Depth=1
	s_or_b64 exec, exec, s[30:31]
	s_orn2_b64 s[22:23], vcc, exec
.LBB4_947:                              ;   in Loop: Header=BB4_81 Depth=1
	s_or_b64 exec, exec, s[28:29]
	s_and_saveexec_b64 s[28:29], s[22:23]
; %bb.948:                              ;   in Loop: Header=BB4_81 Depth=1
	v_mad_i64_i32 v[2:3], s[22:23], v1, v28, 0
; %bb.949:                              ;   in Loop: Header=BB4_81 Depth=1
	s_or_b64 exec, exec, s[28:29]
	v_and_b32_e32 v1, 0x2000, v62
	v_lshl_add_u64 v[2:3], v[12:13], 0, v[2:3]
	v_cmp_ne_u32_e32 vcc, 0, v1
	ds_write_b64 v0, v[2:3] offset:720
	s_and_saveexec_b64 s[22:23], vcc
	s_cbranch_execz .LBB4_951
; %bb.950:                              ;   in Loop: Header=BB4_81 Depth=1
	ds_read_b64 v[2:3], v0 offset:584
	s_waitcnt lgkmcnt(0)
	v_lshl_add_u64 v[2:3], v[2:3], 0, 1
	ds_write_b64 v0, v[2:3] offset:584
.LBB4_951:                              ;   in Loop: Header=BB4_81 Depth=1
	s_or_b64 exec, exec, s[22:23]
	v_lshl_add_u64 v[38:39], v[38:39], 0, 4
	s_or_b64 exec, exec, s[26:27]
	s_and_saveexec_b64 s[22:23], s[4:5]
	s_cbranch_execnz .LBB4_959
.LBB4_952:                              ;   in Loop: Header=BB4_81 Depth=1
	s_or_b64 exec, exec, s[22:23]
	s_and_saveexec_b64 s[22:23], s[20:21]
	s_xor_b64 s[22:23], exec, s[22:23]
	s_cbranch_execz .LBB4_977
.LBB4_953:                              ;   in Loop: Header=BB4_81 Depth=1
	s_trap 2
	ds_read_b32 v1, v0
	v_sub_u32_e32 v0, v0, v24
	v_min_i32_e32 v0, v10, v0
	v_cmp_lt_i32_e32 vcc, 0, v0
	v_and_b32_e32 v0, 16, v62
	s_waitcnt lgkmcnt(0)
	v_readfirstlane_b32 s26, v1
	s_cmp_eq_u32 s26, 0
	s_cselect_b64 s[26:27], -1, 0
	s_and_b64 s[26:27], vcc, s[26:27]
	v_cmp_ne_u32_e32 vcc, 0, v0
	s_and_b64 s[28:29], vcc, s[26:27]
	s_and_saveexec_b64 s[26:27], s[28:29]
	s_cbranch_execz .LBB4_955
; %bb.954:                              ;   in Loop: Header=BB4_81 Depth=1
	buffer_wbl2 sc1
	s_waitcnt vmcnt(0)
	buffer_inv sc1
.LBB4_955:                              ;   in Loop: Header=BB4_81 Depth=1
	s_or_b64 exec, exec, s[26:27]
	s_andn2_saveexec_b64 s[22:23], s[22:23]
	s_cbranch_execz .LBB4_996
	s_branch .LBB4_978
.LBB4_956:                              ;   in Loop: Header=BB4_81 Depth=1
	s_or_b64 exec, exec, s[28:29]
	v_and_b32_e32 v1, 4, v62
.LBB4_957:                              ;   in Loop: Header=BB4_81 Depth=1
	s_or_b64 exec, exec, s[26:27]
	v_cmp_eq_u32_e32 vcc, 0, v1
	s_orn2_b64 s[26:27], vcc, exec
	;;#ASMSTART
	s_wakeup
	;;#ASMEND
	s_or_b64 exec, exec, s[22:23]
	s_xor_b64 s[22:23], s[26:27], -1
	s_and_saveexec_b64 s[26:27], s[22:23]
	s_cbranch_execnz .LBB4_943
.LBB4_958:                              ;   in Loop: Header=BB4_81 Depth=1
	s_or_b64 exec, exec, s[26:27]
	s_and_saveexec_b64 s[22:23], s[4:5]
	s_cbranch_execz .LBB4_952
.LBB4_959:                              ;   in Loop: Header=BB4_81 Depth=1
	s_and_saveexec_b64 s[26:27], s[42:43]
	s_xor_b64 s[26:27], exec, s[26:27]
	s_cbranch_execz .LBB4_974
; %bb.960:                              ;   in Loop: Header=BB4_81 Depth=1
	s_and_saveexec_b64 s[28:29], s[12:13]
	s_cbranch_execz .LBB4_973
; %bb.961:                              ;   in Loop: Header=BB4_81 Depth=1
	s_mov_b64 s[52:53], exec
	v_mbcnt_lo_u32_b32 v1, s52, 0
	v_mbcnt_hi_u32_b32 v1, s53, v1
	v_cmp_eq_u32_e32 vcc, 0, v1
	s_waitcnt lgkmcnt(0)
	s_and_saveexec_b64 s[30:31], vcc
	s_cbranch_execz .LBB4_963
; %bb.962:                              ;   in Loop: Header=BB4_81 Depth=1
	s_bcnt1_i32_b64 vcc_lo, s[52:53]
	v_mov_b32_e32 v48, vcc_lo
	ds_add_u64 v0, v[48:49]
	s_trap 2
.LBB4_963:                              ;   in Loop: Header=BB4_81 Depth=1
	s_or_b64 exec, exec, s[30:31]
	s_trap 2
	ds_read_b64 v[2:3], v0
	v_lshl_add_u64 v[14:15], v[14:15], 0, v[50:51]
	s_waitcnt lgkmcnt(0)
	v_cmp_lt_u64_e32 vcc, v[2:3], v[14:15]
	s_and_saveexec_b64 s[30:31], vcc
	s_cbranch_execz .LBB4_972
; %bb.964:                              ;   in Loop: Header=BB4_81 Depth=1
	s_mov_b32 s62, 0
	s_mov_b64 s[52:53], 0
                                        ; implicit-def: $sgpr54_sgpr55
                                        ; implicit-def: $sgpr56_sgpr57
	s_branch .LBB4_966
.LBB4_965:                              ;   in Loop: Header=BB4_966 Depth=2
	s_or_b64 exec, exec, s[60:61]
	s_and_b64 vcc, exec, vcc
	s_or_b64 s[52:53], vcc, s[52:53]
	s_andn2_b64 vcc, s[54:55], exec
	s_and_b64 s[54:55], s[56:57], exec
	s_or_b64 s[54:55], vcc, s[54:55]
	s_andn2_b64 exec, exec, s[52:53]
	s_cbranch_execz .LBB4_970
.LBB4_966:                              ;   Parent Loop BB4_81 Depth=1
                                        ; =>  This Inner Loop Header: Depth=2
	s_add_i32 s62, s62, 1
	s_cmpk_lg_i32 s62, 0x2710
	s_cselect_b64 s[58:59], -1, 0
	s_and_b64 vcc, exec, s[58:59]
                                        ; implicit-def: $sgpr60_sgpr61
	s_cbranch_vccnz .LBB4_968
; %bb.967:                              ;   in Loop: Header=BB4_966 Depth=2
	s_trap 2
	ds_read_b64 v[2:3], v0
	s_andn2_b64 s[58:59], s[58:59], exec
	s_mov_b32 s62, 0
	s_mov_b64 s[60:61], -1
	s_waitcnt vmcnt(0) lgkmcnt(0)
	flat_load_dword v1, v[2:3] sc0 sc1
	s_waitcnt vmcnt(0) lgkmcnt(0)
	buffer_inv sc0 sc1
	v_cmp_eq_u32_e32 vcc, 0, v1
	s_and_b64 vcc, vcc, exec
	s_or_b64 s[58:59], s[58:59], vcc
.LBB4_968:                              ;   in Loop: Header=BB4_966 Depth=2
	s_andn2_b64 s[56:57], s[56:57], exec
	s_and_b64 s[60:61], s[60:61], exec
	s_mov_b64 vcc, -1
	s_or_b64 s[56:57], s[56:57], s[60:61]
	s_and_saveexec_b64 s[60:61], s[58:59]
	s_cbranch_execz .LBB4_965
; %bb.969:                              ;   in Loop: Header=BB4_966 Depth=2
	s_sleep 1
	s_trap 2
	ds_read_b64 v[2:3], v0
	s_andn2_b64 s[56:57], s[56:57], exec
	s_waitcnt lgkmcnt(0)
	v_cmp_ge_u64_e32 vcc, v[2:3], v[14:15]
	s_orn2_b64 vcc, vcc, exec
	s_branch .LBB4_965
.LBB4_970:                              ;   in Loop: Header=BB4_81 Depth=1
	s_or_b64 exec, exec, s[52:53]
	s_and_saveexec_b64 vcc, s[54:55]
	s_xor_b64 vcc, exec, vcc
	s_cbranch_execz .LBB4_972
; %bb.971:                              ;   in Loop: Header=BB4_81 Depth=1
	ds_write_b32 v0, v46
	s_trap 2
.LBB4_972:                              ;   in Loop: Header=BB4_81 Depth=1
	s_or_b64 exec, exec, s[30:31]
	;;#ASMSTART
	s_wakeup
	;;#ASMEND
.LBB4_973:                              ;   in Loop: Header=BB4_81 Depth=1
	s_or_b64 exec, exec, s[28:29]
.LBB4_974:                              ;   in Loop: Header=BB4_81 Depth=1
	s_andn2_saveexec_b64 s[26:27], s[26:27]
	s_cbranch_execz .LBB4_976
; %bb.975:                              ;   in Loop: Header=BB4_81 Depth=1
	s_waitcnt lgkmcnt(0)
	s_barrier
.LBB4_976:                              ;   in Loop: Header=BB4_81 Depth=1
	s_or_b64 exec, exec, s[26:27]
	s_or_b64 exec, exec, s[22:23]
	s_and_saveexec_b64 s[22:23], s[20:21]
	s_xor_b64 s[22:23], exec, s[22:23]
	s_cbranch_execnz .LBB4_953
.LBB4_977:                              ;   in Loop: Header=BB4_81 Depth=1
	s_andn2_saveexec_b64 s[22:23], s[22:23]
	s_cbranch_execz .LBB4_996
.LBB4_978:                              ;   in Loop: Header=BB4_81 Depth=1
	s_and_saveexec_b64 s[26:27], s[42:43]
	s_xor_b64 s[26:27], exec, s[26:27]
	s_cbranch_execz .LBB4_993
; %bb.979:                              ;   in Loop: Header=BB4_81 Depth=1
	s_and_saveexec_b64 s[28:29], s[12:13]
	s_cbranch_execz .LBB4_992
; %bb.980:                              ;   in Loop: Header=BB4_81 Depth=1
	s_mov_b64 s[52:53], exec
	v_mbcnt_lo_u32_b32 v0, s52, 0
	v_mbcnt_hi_u32_b32 v0, s53, v0
	v_cmp_eq_u32_e32 vcc, 0, v0
	;;#ASMSTART
	s_waitcnt lgkmcnt(0) vmcnt(0)
	;;#ASMEND
	s_and_saveexec_b64 s[30:31], vcc
	s_cbranch_execz .LBB4_982
; %bb.981:                              ;   in Loop: Header=BB4_81 Depth=1
	s_bcnt1_i32_b64 vcc_lo, s[52:53]
	v_mov_b32_e32 v48, vcc_lo
	ds_add_u64 v0, v[48:49]
	s_trap 2
.LBB4_982:                              ;   in Loop: Header=BB4_81 Depth=1
	s_or_b64 exec, exec, s[30:31]
	s_trap 2
	ds_read_b64 v[0:1], v0
	v_lshl_add_u64 v[14:15], v[14:15], 0, v[50:51]
	s_waitcnt lgkmcnt(0)
	v_cmp_lt_u64_e32 vcc, v[0:1], v[14:15]
	s_and_saveexec_b64 s[30:31], vcc
	s_cbranch_execz .LBB4_991
; %bb.983:                              ;   in Loop: Header=BB4_81 Depth=1
	s_mov_b32 s62, 0
	s_mov_b64 s[52:53], 0
                                        ; implicit-def: $sgpr54_sgpr55
                                        ; implicit-def: $sgpr56_sgpr57
	s_branch .LBB4_985
.LBB4_984:                              ;   in Loop: Header=BB4_985 Depth=2
	s_or_b64 exec, exec, s[60:61]
	s_and_b64 vcc, exec, vcc
	s_or_b64 s[52:53], vcc, s[52:53]
	s_andn2_b64 vcc, s[54:55], exec
	s_and_b64 s[54:55], s[56:57], exec
	s_or_b64 s[54:55], vcc, s[54:55]
	s_andn2_b64 exec, exec, s[52:53]
	s_cbranch_execz .LBB4_989
.LBB4_985:                              ;   Parent Loop BB4_81 Depth=1
                                        ; =>  This Inner Loop Header: Depth=2
	s_add_i32 s62, s62, 1
	s_cmpk_lg_i32 s62, 0x2710
	s_cselect_b64 s[58:59], -1, 0
	s_and_b64 vcc, exec, s[58:59]
                                        ; implicit-def: $sgpr60_sgpr61
	s_cbranch_vccnz .LBB4_987
; %bb.986:                              ;   in Loop: Header=BB4_985 Depth=2
	s_trap 2
	ds_read_b64 v[0:1], v0
	s_andn2_b64 s[58:59], s[58:59], exec
	s_mov_b32 s62, 0
	s_mov_b64 s[60:61], -1
	s_waitcnt vmcnt(0) lgkmcnt(0)
	flat_load_dword v0, v[0:1] sc0 sc1
	s_waitcnt vmcnt(0) lgkmcnt(0)
	buffer_inv sc0 sc1
	v_cmp_eq_u32_e32 vcc, 0, v0
	s_and_b64 vcc, vcc, exec
	s_or_b64 s[58:59], s[58:59], vcc
.LBB4_987:                              ;   in Loop: Header=BB4_985 Depth=2
	s_andn2_b64 s[56:57], s[56:57], exec
	s_and_b64 s[60:61], s[60:61], exec
	s_mov_b64 vcc, -1
	s_or_b64 s[56:57], s[56:57], s[60:61]
	s_and_saveexec_b64 s[60:61], s[58:59]
	s_cbranch_execz .LBB4_984
; %bb.988:                              ;   in Loop: Header=BB4_985 Depth=2
	s_sleep 1
	s_trap 2
	ds_read_b64 v[0:1], v0
	s_andn2_b64 s[56:57], s[56:57], exec
	s_waitcnt lgkmcnt(0)
	v_cmp_ge_u64_e32 vcc, v[0:1], v[14:15]
	s_orn2_b64 vcc, vcc, exec
	s_branch .LBB4_984
.LBB4_989:                              ;   in Loop: Header=BB4_81 Depth=1
	s_or_b64 exec, exec, s[52:53]
	s_and_saveexec_b64 vcc, s[54:55]
	s_xor_b64 vcc, exec, vcc
	s_cbranch_execz .LBB4_991
; %bb.990:                              ;   in Loop: Header=BB4_81 Depth=1
	ds_write_b32 v0, v46
	s_trap 2
.LBB4_991:                              ;   in Loop: Header=BB4_81 Depth=1
	s_or_b64 exec, exec, s[30:31]
	;;#ASMSTART
	s_wakeup
	;;#ASMEND
.LBB4_992:                              ;   in Loop: Header=BB4_81 Depth=1
	s_or_b64 exec, exec, s[28:29]
.LBB4_993:                              ;   in Loop: Header=BB4_81 Depth=1
	s_andn2_saveexec_b64 s[26:27], s[26:27]
	s_cbranch_execz .LBB4_995
; %bb.994:                              ;   in Loop: Header=BB4_81 Depth=1
	;;#ASMSTART
	s_waitcnt lgkmcnt(0) vmcnt(0)
	;;#ASMEND
	s_barrier
.LBB4_995:                              ;   in Loop: Header=BB4_81 Depth=1
	s_or_b64 exec, exec, s[26:27]
.LBB4_996:                              ;   in Loop: Header=BB4_81 Depth=1
	s_or_b64 exec, exec, s[22:23]
	v_and_b32_e32 v0, 32, v62
	v_cmp_ne_u32_e32 vcc, 0, v0
	s_and_saveexec_b64 s[22:23], vcc
	s_cbranch_execz .LBB4_79
; %bb.997:                              ;   in Loop: Header=BB4_81 Depth=1
	v_lshl_add_u64 v[38:39], v[38:39], 0, 4
	flat_store_dwordx2 v[26:27], v[38:39] sc0 sc1
	s_branch .LBB4_79
.LBB4_998:
	s_or_b64 exec, exec, s[40:41]
	v_accvgpr_read_b32 v25, a17
	v_accvgpr_read_b32 v16, a0
	;; [unrolled: 1-line block ×5, first 2 shown]
.LBB4_999:
	s_or_b64 exec, exec, s[38:39]
	v_and_b32_e32 v0, 0x800, v62
	v_cmp_eq_u32_e32 vcc, 0, v0
	s_and_saveexec_b64 s[0:1], vcc
	s_cbranch_execz .LBB4_1034
; %bb.1000:
	v_and_b32_e32 v0, 48, v62
	v_cmp_ne_u32_e32 vcc, 0, v0
	s_and_saveexec_b64 s[2:3], vcc
	s_cbranch_execz .LBB4_1002
; %bb.1001:
	flat_store_dwordx2 v[24:25], v[38:39] offset:104
.LBB4_1002:
	s_or_b64 exec, exec, s[2:3]
	s_movk_i32 s2, 0x88
	v_and_b32_e32 v0, 0x88, v62
	v_cmp_eq_u32_e32 vcc, s2, v0
	s_and_saveexec_b64 s[2:3], vcc
	s_cbranch_execz .LBB4_1014
; %bb.1003:
	v_and_b32_e32 v0, 7, v38
	v_accvgpr_read_b32 v2, a18
	v_xor_b32_e32 v0, 4, v0
	v_accvgpr_read_b32 v3, a19
	v_mad_u64_u32 v[0:1], s[4:5], v0, 24, v[2:3]
	v_lshl_add_u64 v[2:3], v[0:1], 0, 8
	s_mov_b64 s[4:5], 0
	v_mov_b32_e32 v0, 0
	s_movk_i32 s20, 0x270e
                                        ; implicit-def: $sgpr6_sgpr7
	s_branch .LBB4_1008
.LBB4_1004:                             ;   in Loop: Header=BB4_1008 Depth=1
	s_or_b64 exec, exec, s[18:19]
	v_mov_b32_e32 v1, 0
	s_orn2_b64 s[16:17], s[16:17], exec
.LBB4_1005:                             ;   in Loop: Header=BB4_1008 Depth=1
	s_or_b64 exec, exec, s[14:15]
	s_and_b64 s[14:15], s[16:17], exec
	v_mov_b32_e32 v0, v1
.LBB4_1006:                             ;   in Loop: Header=BB4_1008 Depth=1
	s_or_b64 exec, exec, s[12:13]
	s_xor_b64 s[12:13], s[14:15], -1
	s_andn2_b64 s[6:7], s[6:7], exec
	s_and_b64 s[12:13], s[12:13], exec
	s_or_b64 s[6:7], s[6:7], s[12:13]
.LBB4_1007:                             ;   in Loop: Header=BB4_1008 Depth=1
	s_or_b64 exec, exec, s[10:11]
	s_and_b64 s[10:11], exec, s[6:7]
	s_or_b64 s[4:5], s[10:11], s[4:5]
	s_andn2_b64 exec, exec, s[4:5]
	s_cbranch_execz .LBB4_1013
.LBB4_1008:                             ; =>This Inner Loop Header: Depth=1
	flat_load_dwordx2 v[4:5], v[2:3] sc0 sc1
	s_waitcnt vmcnt(0)
	s_or_b64 s[6:7], s[6:7], exec
	s_waitcnt lgkmcnt(0)
	v_cmp_ne_u64_e32 vcc, -1, v[4:5]
	s_and_saveexec_b64 s[10:11], vcc
	s_cbranch_execz .LBB4_1007
; %bb.1009:                             ;   in Loop: Header=BB4_1008 Depth=1
	v_and_b32_e32 v1, 64, v62
	v_cmp_eq_u32_e32 vcc, 0, v1
	s_mov_b64 s[14:15], 0
	s_and_saveexec_b64 s[12:13], vcc
	s_cbranch_execz .LBB4_1006
; %bb.1010:                             ;   in Loop: Header=BB4_1008 Depth=1
	v_add_u32_e32 v1, 1, v0
	v_cmp_lt_i32_e32 vcc, s20, v0
	s_mov_b64 s[16:17], -1
	s_and_saveexec_b64 s[14:15], vcc
	s_cbranch_execz .LBB4_1005
; %bb.1011:                             ;   in Loop: Header=BB4_1008 Depth=1
	s_trap 2
	ds_read_b64 v[0:1], v0
	s_waitcnt lgkmcnt(0)
	flat_load_dword v0, v[0:1] sc0 sc1
	s_waitcnt vmcnt(0) lgkmcnt(0)
	buffer_inv sc0 sc1
	v_cmp_ne_u32_e32 vcc, 0, v0
	s_and_saveexec_b64 s[18:19], vcc
	s_cbranch_execz .LBB4_1004
; %bb.1012:                             ;   in Loop: Header=BB4_1008 Depth=1
	v_or_b32_e32 v62, 64, v62
	s_xor_b64 s[16:17], exec, -1
	ds_write_b32 v0, v0
	s_trap 2
	s_branch .LBB4_1004
.LBB4_1013:
	s_or_b64 exec, exec, s[4:5]
.LBB4_1014:
	s_or_b64 exec, exec, s[2:3]
	v_and_b32_e32 v0, 0x2000, v62
	v_cmp_ne_u32_e32 vcc, 0, v0
	s_and_saveexec_b64 s[2:3], vcc
	s_cbranch_execz .LBB4_1016
; %bb.1015:
	s_trap 2
	ds_read_b64 v[0:1], v0
	v_accvgpr_read_b32 v2, a14
	v_accvgpr_read_b32 v3, a15
	s_waitcnt lgkmcnt(0)
	flat_store_dwordx2 v[2:3], v[0:1] offset:16
.LBB4_1016:
	s_or_b64 exec, exec, s[2:3]
	v_cmp_ne_u32_e32 vcc, 64, v16
	s_and_b64 exec, exec, vcc
	s_cbranch_execz .LBB4_1034
; %bb.1017:
	v_cmp_ne_u32_sdwa s[2:3], v17, v16 src0_sel:WORD_0 src1_sel:DWORD
	s_and_saveexec_b64 s[4:5], s[2:3]
	s_xor_b64 s[2:3], exec, s[4:5]
	s_cbranch_execz .LBB4_1032
; %bb.1018:
	v_and_b32_e32 v0, 63, v31
	v_cmp_eq_u32_e32 vcc, 0, v0
	s_and_saveexec_b64 s[4:5], vcc
	s_cbranch_execz .LBB4_1031
; %bb.1019:
	s_mov_b64 s[10:11], exec
	v_mbcnt_lo_u32_b32 v0, s10, 0
	v_mbcnt_hi_u32_b32 v0, s11, v0
	v_cmp_eq_u32_e32 vcc, 0, v0
	s_waitcnt lgkmcnt(0)
	s_and_saveexec_b64 s[6:7], vcc
	s_cbranch_execz .LBB4_1021
; %bb.1020:
	s_bcnt1_i32_b64 s10, s[10:11]
	v_mov_b32_e32 v0, s10
	v_mov_b32_e32 v1, 0
	ds_add_u64 v0, v[0:1]
	s_trap 2
.LBB4_1021:
	s_or_b64 exec, exec, s[6:7]
	v_ashrrev_i32_e32 v0, 31, v16
	v_lshrrev_b32_e32 v0, 26, v0
	s_trap 2
	ds_read_b64 v[2:3], v0
	v_add_u32_e32 v0, v16, v0
	v_ashrrev_i32_e32 v0, 6, v0
	v_ashrrev_i32_e32 v1, 31, v0
	v_lshl_add_u64 v[0:1], v[14:15], 0, v[0:1]
	s_waitcnt lgkmcnt(0)
	v_cmp_lt_u64_e32 vcc, v[2:3], v[0:1]
	s_and_saveexec_b64 s[6:7], vcc
	s_cbranch_execz .LBB4_1030
; %bb.1022:
	s_mov_b32 s22, 0
	s_mov_b64 s[10:11], 0
                                        ; implicit-def: $sgpr12_sgpr13
                                        ; implicit-def: $sgpr14_sgpr15
	s_branch .LBB4_1024
.LBB4_1023:                             ;   in Loop: Header=BB4_1024 Depth=1
	s_or_b64 exec, exec, s[20:21]
	s_and_b64 s[16:17], exec, s[18:19]
	s_or_b64 s[10:11], s[16:17], s[10:11]
	s_andn2_b64 s[12:13], s[12:13], exec
	s_and_b64 s[16:17], s[14:15], exec
	s_or_b64 s[12:13], s[12:13], s[16:17]
	s_andn2_b64 exec, exec, s[10:11]
	s_cbranch_execz .LBB4_1028
.LBB4_1024:                             ; =>This Inner Loop Header: Depth=1
	s_add_i32 s22, s22, 1
	s_cmpk_lg_i32 s22, 0x2710
	s_cselect_b64 s[16:17], -1, 0
	s_and_b64 vcc, exec, s[16:17]
                                        ; implicit-def: $sgpr20_sgpr21
	s_cbranch_vccnz .LBB4_1026
; %bb.1025:                             ;   in Loop: Header=BB4_1024 Depth=1
	s_trap 2
	ds_read_b64 v[2:3], v0
	s_andn2_b64 s[16:17], s[16:17], exec
	s_mov_b32 s22, 0
	s_mov_b64 s[20:21], -1
	s_waitcnt vmcnt(0) lgkmcnt(0)
	flat_load_dword v2, v[2:3] sc0 sc1
	s_waitcnt vmcnt(0) lgkmcnt(0)
	buffer_inv sc0 sc1
	v_cmp_eq_u32_e32 vcc, 0, v2
	s_and_b64 s[18:19], vcc, exec
	s_or_b64 s[16:17], s[16:17], s[18:19]
.LBB4_1026:                             ;   in Loop: Header=BB4_1024 Depth=1
	s_andn2_b64 s[14:15], s[14:15], exec
	s_and_b64 s[20:21], s[20:21], exec
	s_mov_b64 s[18:19], -1
	s_or_b64 s[14:15], s[14:15], s[20:21]
	s_and_saveexec_b64 s[20:21], s[16:17]
	s_cbranch_execz .LBB4_1023
; %bb.1027:                             ;   in Loop: Header=BB4_1024 Depth=1
	s_sleep 1
	s_trap 2
	ds_read_b64 v[2:3], v0
	s_andn2_b64 s[14:15], s[14:15], exec
	s_waitcnt lgkmcnt(0)
	v_cmp_ge_u64_e32 vcc, v[2:3], v[0:1]
	s_orn2_b64 s[18:19], vcc, exec
	s_branch .LBB4_1023
.LBB4_1028:
	s_or_b64 exec, exec, s[10:11]
	s_and_saveexec_b64 s[10:11], s[12:13]
	s_xor_b64 s[10:11], exec, s[10:11]
	s_cbranch_execz .LBB4_1030
; %bb.1029:
	v_mov_b32_e32 v0, 1
	ds_write_b32 v0, v0
	s_trap 2
.LBB4_1030:
	s_or_b64 exec, exec, s[6:7]
	;;#ASMSTART
	s_wakeup
	;;#ASMEND
.LBB4_1031:
	s_or_b64 exec, exec, s[4:5]
.LBB4_1032:
	s_andn2_saveexec_b64 s[2:3], s[2:3]
	s_cbranch_execz .LBB4_1034
; %bb.1033:
	s_waitcnt lgkmcnt(0)
	s_barrier
.LBB4_1034:
	s_or_b64 exec, exec, s[0:1]
.LBB4_1035:
	s_andn2_saveexec_b64 s[22:23], s[36:37]
	s_cbranch_execz .LBB4_1037
; %bb.1036:
	s_getpc_b64 s[0:1]
	s_add_u32 s0, s0, __PRETTY_FUNCTION__._ZN10PrimitivesIa7FuncSumIaE12FanSymmetricILi1EELi0E11ProtoSimpleILi1ELi4ELi0ELi1ELi0ELi0EELi0ELb0ELi0ELi0ELi0EEC2EiiPKiS8_PKvPvmhhhP15ncclDevWorkCollP14ncclDevWorkP2pii@rel32@lo+4
	s_addc_u32 s1, s1, __PRETTY_FUNCTION__._ZN10PrimitivesIa7FuncSumIaE12FanSymmetricILi1EELi0E11ProtoSimpleILi1ELi4ELi0ELi1ELi0ELi0EELi0ELb0ELi0ELi0ELi0EEC2EiiPKiS8_PKvPvmhhhP15ncclDevWorkCollP14ncclDevWorkP2pii@rel32@hi+12
	v_mov_b32_e32 v0, s0
	v_mov_b32_e32 v1, s1
	s_getpc_b64 s[2:3]
	s_add_u32 s2, s2, __assert_fail@rel32@lo+4
	s_addc_u32 s3, s3, __assert_fail@rel32@hi+12
	s_swappc_b64 s[30:31], s[2:3]
	; divergent unreachable
.LBB4_1037:
	s_or_b64 exec, exec, s[22:23]
.LBB4_1038:
	s_or_b64 exec, exec, s[34:35]
	scratch_load_dword a34, off, s33        ; 4-byte Folded Reload
	scratch_load_dword a33, off, s33 offset:4 ; 4-byte Folded Reload
	scratch_load_dword a32, off, s33 offset:8 ; 4-byte Folded Reload
	;; [unrolled: 1-line block ×17, first 2 shown]
	v_readlane_b32 s30, v63, 47
	v_readlane_b32 s31, v63, 48
	;; [unrolled: 1-line block ×50, first 2 shown]
	s_or_saveexec_b64 s[2:3], -1
	scratch_load_dword v63, off, s33 offset:72 ; 4-byte Folded Reload
	s_mov_b64 exec, s[2:3]
	s_addk_i32 s32, 0xffb0
	s_mov_b32 s33, s0
	s_waitcnt vmcnt(0) lgkmcnt(0)
	s_setpc_b64 s[30:31]
.Lfunc_end4:
	.size	_ZN12_GLOBAL__N_17runRingIa7FuncSumIaE11ProtoSimpleILi1ELi4ELi0ELi1ELi0ELi0EELi0ELi1ELi0ELb0EEEviiP15ncclDevWorkColl, .Lfunc_end4-_ZN12_GLOBAL__N_17runRingIa7FuncSumIaE11ProtoSimpleILi1ELi4ELi0ELi1ELi0ELi0EELi0ELi1ELi0ELb0EEEviiP15ncclDevWorkColl
                                        ; -- End function
	.section	.AMDGPU.csdata,"",@progbits
; Function info:
; codeLenInByte = 30580
; NumSgprs: 87
; NumVgprs: 64
; NumAgprs: 35
; TotalNumVgprs: 99
; ScratchSize: 144
; MemoryBound: 0
	.text
	.p2align	2                               ; -- Begin function _ZN12_GLOBAL__N_17runRingIa7FuncSumIaE11ProtoSimpleILi2ELi2ELi0ELi1ELi0ELi0EELi0ELi1ELi0ELb0EEEviiP15ncclDevWorkColl
	.type	_ZN12_GLOBAL__N_17runRingIa7FuncSumIaE11ProtoSimpleILi2ELi2ELi0ELi1ELi0ELi0EELi0ELi1ELi0ELb0EEEviiP15ncclDevWorkColl,@function
_ZN12_GLOBAL__N_17runRingIa7FuncSumIaE11ProtoSimpleILi2ELi2ELi0ELi1ELi0ELi0EELi0ELi1ELi0ELb0EEEviiP15ncclDevWorkColl: ; @_ZN12_GLOBAL__N_17runRingIa7FuncSumIaE11ProtoSimpleILi2ELi2ELi0ELi1ELi0ELi0EELi0ELi1ELi0ELb0EEEviiP15ncclDevWorkColl
; %bb.0:
	s_waitcnt vmcnt(0) expcnt(0) lgkmcnt(0)
	s_mov_b32 s0, s33
	s_mov_b32 s33, s32
	s_or_saveexec_b64 s[2:3], -1
	scratch_store_dword off, v63, s33 offset:80 ; 4-byte Folded Spill
	s_mov_b64 exec, s[2:3]
	v_writelane_b32 v63, s0, 46
	s_addk_i32 s32, 0x60
	scratch_store_dword off, v40, s33 offset:76 ; 4-byte Folded Spill
	scratch_store_dword off, v41, s33 offset:72 ; 4-byte Folded Spill
	scratch_store_dword off, v42, s33 offset:68 ; 4-byte Folded Spill
	scratch_store_dword off, v43, s33 offset:64 ; 4-byte Folded Spill
	scratch_store_dword off, v44, s33 offset:60 ; 4-byte Folded Spill
	scratch_store_dword off, v45, s33 offset:56 ; 4-byte Folded Spill
	scratch_store_dword off, v46, s33 offset:52 ; 4-byte Folded Spill
	scratch_store_dword off, v47, s33 offset:48 ; 4-byte Folded Spill
	scratch_store_dword off, v56, s33 offset:44 ; 4-byte Folded Spill
	scratch_store_dword off, v57, s33 offset:40 ; 4-byte Folded Spill
	scratch_store_dword off, v58, s33 offset:36 ; 4-byte Folded Spill
	scratch_store_dword off, v59, s33 offset:32 ; 4-byte Folded Spill
	scratch_store_dword off, v60, s33 offset:28 ; 4-byte Folded Spill
	scratch_store_dword off, v61, s33 offset:24 ; 4-byte Folded Spill
	scratch_store_dword off, v62, s33 offset:20 ; 4-byte Folded Spill
	scratch_store_dword off, a32, s33 offset:16 ; 4-byte Folded Spill
	scratch_store_dword off, a34, s33 offset:12 ; 4-byte Folded Spill
	scratch_store_dword off, a35, s33 offset:8 ; 4-byte Folded Spill
	scratch_store_dword off, a36, s33 offset:4 ; 4-byte Folded Spill
	scratch_store_dword off, a37, s33       ; 4-byte Folded Spill
	v_writelane_b32 v63, s34, 0
	v_writelane_b32 v63, s35, 1
	;; [unrolled: 1-line block ×45, first 2 shown]
	s_nop 1
	v_writelane_b32 v63, s31, 45
	s_trap 2
	flat_load_dword v9, v[2:3]
	flat_load_dwordx4 v[20:23], v[2:3] offset:72
	flat_load_dwordx2 v[4:5], v[2:3] offset:88
	v_mov_b32_e32 v16, v1
	ds_read_b32 v1, v0
	ds_read_b64 a[4:5], v0
	v_mov_b32_e32 v53, v0
                                        ; implicit-def: $vgpr18_vgpr19
                                        ; implicit-def: $agpr8_agpr9
	s_waitcnt lgkmcnt(0)
	v_readfirstlane_b32 s70, v1
	s_waitcnt vmcnt(0)
	v_not_b32_sdwa v8, v9 dst_sel:DWORD dst_unused:UNUSED_PAD src0_sel:BYTE_0
	v_add_u32_sdwa v0, v9, v8 dst_sel:DWORD dst_unused:UNUSED_PAD src0_sel:BYTE_1 src1_sel:DWORD
	v_ashrrev_i32_e32 v10, 31, v0
	v_mul_lo_u32 v11, v23, v0
	v_mad_u64_u32 v[6:7], s[0:1], v22, v0, 0
	v_mul_lo_u32 v0, v22, v10
	v_add3_u32 v7, v7, v0, v11
	v_cmp_ne_u32_sdwa s[0:1], v9, v1 src0_sel:BYTE_0 src1_sel:DWORD
	s_and_saveexec_b64 s[2:3], s[0:1]
	s_xor_b64 s[0:1], exec, s[2:3]
	s_cbranch_execz .LBB5_6
; %bb.1:
	v_cmp_ne_u32_sdwa s[2:3], v9, v1 src0_sel:BYTE_1 src1_sel:DWORD
                                        ; implicit-def: $vgpr18_vgpr19
                                        ; implicit-def: $agpr8_agpr9
	s_and_saveexec_b64 s[4:5], s[2:3]
	s_xor_b64 s[2:3], exec, s[4:5]
	s_cbranch_execz .LBB5_3
; %bb.2:
	flat_load_dwordx2 v[10:11], v[2:3] offset:96
	v_add_u32_e32 v0, v1, v8
	v_ashrrev_i32_e32 v1, 31, v0
	v_mul_lo_u32 v1, v22, v1
	v_mul_lo_u32 v8, v23, v0
	v_mad_u64_u32 v[12:13], s[4:5], v22, v0, v[20:21]
	v_add3_u32 v13, v8, v13, v1
	v_accvgpr_write_b32 a8, v12
	v_accvgpr_write_b32 a9, v13
	s_waitcnt vmcnt(0) lgkmcnt(0)
	v_lshrrev_b64 v[18:19], 21, v[10:11]
.LBB5_3:
	s_andn2_saveexec_b64 s[2:3], s[2:3]
	s_cbranch_execz .LBB5_5
; %bb.4:
	flat_load_dword v0, v[2:3] offset:100
	v_lshl_add_u64 v[8:9], v[6:7], 0, v[20:21]
	v_accvgpr_write_b32 a8, v8
	v_accvgpr_write_b32 a9, v9
	v_mov_b64_e32 v[22:23], v[4:5]
	s_waitcnt vmcnt(0) lgkmcnt(0)
	v_lshrrev_b32_e32 v18, 10, v0
.LBB5_5:
	s_or_b64 exec, exec, s[2:3]
.LBB5_6:
	s_andn2_saveexec_b64 s[0:1], s[0:1]
	s_cbranch_execz .LBB5_8
; %bb.7:
	flat_load_dwordx2 v[18:19], v[2:3] offset:96
	v_mov_b64_e32 v[0:1], 0
	v_accvgpr_write_b32 a9, v1
	v_accvgpr_write_b32 a8, v0
	v_mov_b64_e32 v[22:23], v[20:21]
.LBB5_8:
	s_or_b64 exec, exec, s[0:1]
	flat_load_dwordx4 v[32:35], v[2:3] offset:16
	v_lshl_add_u64 v[0:1], v[4:5], 0, v[20:21]
	v_lshl_add_u64 v[20:21], v[0:1], 0, v[6:7]
	v_cmp_ge_i32_e32 vcc, v53, v16
	s_and_saveexec_b64 s[0:1], vcc
	s_xor_b64 s[0:1], exec, s[0:1]
	s_cbranch_execz .LBB5_41
; %bb.9:
	v_accvgpr_read_b32 v0, a4
	v_accvgpr_read_b32 v1, a5
	flat_load_dword v1, v[0:1]
	s_waitcnt vmcnt(0) lgkmcnt(0)
	v_ashrrev_i32_e32 v0, 31, v1
	v_mul_lo_u32 v2, v21, v1
	v_mul_lo_u32 v3, v20, v0
	v_mad_u64_u32 v[4:5], s[2:3], v20, v1, v[32:33]
	v_add3_u32 v5, v2, v5, v3
	v_cmp_ne_u64_e32 vcc, v[34:35], v[4:5]
	s_and_saveexec_b64 s[2:3], vcc
	s_cbranch_execz .LBB5_40
; %bb.10:
	v_accvgpr_read_b32 v4, a8
	v_mad_u64_u32 v[0:1], s[4:5], v20, v1, 0
	v_accvgpr_read_b32 v5, a9
	v_add3_u32 v1, v1, v3, v2
	v_lshl_add_u64 v[2:3], v[34:35], 0, v[4:5]
	v_lshl_add_u64 v[4:5], v[32:33], 0, v[4:5]
	;; [unrolled: 1-line block ×3, first 2 shown]
	v_sub_u32_e32 v1, v53, v16
	v_ashrrev_i32_e32 v0, 31, v1
	v_lshrrev_b32_e32 v0, 26, v0
	v_add_u32_e32 v0, v1, v0
	v_and_b32_e32 v6, 0xffffffc0, v0
	v_sub_u32_e32 v18, v1, v6
	v_cmp_gt_i32_e32 vcc, 1, v18
	v_mov_b32_e32 v1, 0
	s_and_saveexec_b64 s[4:5], vcc
; %bb.11:
	v_or_b32_e32 v1, v2, v4
	v_and_b32_e32 v1, 15, v1
	v_cmp_ne_u32_e32 vcc, 0, v1
	s_nop 1
	v_cndmask_b32_e64 v1, 0, 1, vcc
; %bb.12:
	s_or_b64 exec, exec, s[4:5]
	v_ashrrev_i32_e32 v19, 6, v0
	;;#ASMSTART
	;;#ASMEND
	s_nop 0
	v_cmp_ne_u32_e32 vcc, 0, v1
	s_cbranch_vccz .LBB5_14
; %bb.13:
	s_mov_b64 s[14:15], -1
	s_mov_b64 s[10:11], 0
	v_mov_b64_e32 v[10:11], 0
	s_mov_b64 s[4:5], 0
                                        ; implicit-def: $vgpr8_vgpr9
                                        ; implicit-def: $vgpr0_vgpr1
	v_mov_b32_e32 v15, v18
	v_mov_b32_e32 v17, v19
	s_and_saveexec_b64 s[6:7], s[14:15]
	s_cbranch_execnz .LBB5_25
	s_branch .LBB5_34
.LBB5_14:
	v_ashrrev_i32_e32 v0, 31, v23
	v_lshrrev_b32_e32 v0, 21, v0
	v_mov_b32_e32 v1, 0
	v_lshl_add_u64 v[0:1], v[22:23], 0, v[0:1]
	v_ashrrev_i64 v[6:7], 11, v[0:1]
	v_ashrrev_i32_e32 v0, 31, v19
	v_sub_co_u32_e32 v14, vcc, v6, v19
	s_mov_b64 s[14:15], 0
	s_nop 0
	v_subb_co_u32_e32 v15, vcc, v7, v0, vcc
	v_cmp_gt_i64_e32 vcc, 1, v[14:15]
	s_mov_b64 s[4:5], -1
	v_mov_b64_e32 v[10:11], 0
	s_mov_b64 s[10:11], 0
                                        ; implicit-def: $vgpr8_vgpr9
                                        ; implicit-def: $vgpr0_vgpr1
                                        ; implicit-def: $vgpr15
                                        ; implicit-def: $vgpr17
	s_and_saveexec_b64 s[6:7], vcc
	s_cbranch_execz .LBB5_24
; %bb.15:
	v_lshlrev_b64 v[0:1], 11, v[6:7]
	v_cmp_ne_u64_e32 vcc, v[22:23], v[0:1]
	v_mov_b64_e32 v[10:11], 0
                                        ; implicit-def: $vgpr8_vgpr9
                                        ; implicit-def: $vgpr15
                                        ; implicit-def: $vgpr17
	s_and_saveexec_b64 s[4:5], vcc
	s_cbranch_execz .LBB5_23
; %bb.16:
	v_sub_co_u32_e32 v10, vcc, v22, v0
	v_mov_b32_e32 v9, 0
	s_nop 0
	v_subb_co_u32_e32 v11, vcc, v23, v1, vcc
	v_ashrrev_i32_e32 v6, 31, v11
	v_lshrrev_b32_e32 v8, 22, v6
	v_lshl_add_u64 v[6:7], v[10:11], 0, v[8:9]
	v_ashrrev_i64 v[16:17], 10, v[6:7]
	v_and_b32_e32 v6, 0xfffffc00, v6
	v_lshl_add_u64 v[12:13], v[6:7], 0, v[0:1]
	v_sub_co_u32_e32 v6, vcc, v10, v6
	s_nop 1
	v_subb_co_u32_e32 v7, vcc, v11, v7, vcc
	v_cmp_lt_i64_e32 vcc, 15, v[6:7]
	s_and_saveexec_b64 s[10:11], vcc
; %bb.17:
	v_and_b32_e32 v8, 15, v22
	v_sub_co_u32_e32 v6, vcc, v6, v8
	v_lshl_add_u64 v[16:17], v[16:17], 0, 1
	s_nop 0
	v_subbrev_co_u32_e32 v7, vcc, 0, v7, vcc
	v_lshl_add_u64 v[12:13], v[6:7], 0, v[12:13]
	v_mov_b64_e32 v[6:7], v[8:9]
; %bb.18:
	s_or_b64 exec, exec, s[10:11]
	v_lshlrev_b32_e32 v8, 6, v14
	v_sub_u32_e32 v8, v18, v8
	v_ashrrev_i32_e32 v9, 31, v8
	v_lshrrev_b32_e32 v9, 26, v9
	v_add_u32_e32 v9, v8, v9
	v_ashrrev_i32_e32 v14, 6, v9
	v_and_b32_e32 v9, 0xffffffc0, v9
	v_sub_u32_e32 v20, v8, v9
	v_lshlrev_b32_e32 v8, 4, v20
	v_lshl_add_u32 v8, v14, 10, v8
	v_ashrrev_i32_e32 v9, 31, v8
	v_sub_co_u32_e32 v10, vcc, v10, v8
	s_mov_b64 s[16:17], -1
	s_nop 0
	v_subb_co_u32_e32 v11, vcc, v11, v9, vcc
	v_cmp_gt_i64_e32 vcc, 16, v[10:11]
	v_mov_b64_e32 v[10:11], 0
                                        ; implicit-def: $vgpr22_vgpr23
                                        ; implicit-def: $vgpr15
                                        ; implicit-def: $vgpr17
	s_and_saveexec_b64 s[10:11], vcc
	s_cbranch_execz .LBB5_22
; %bb.19:
	v_cmp_ne_u64_e32 vcc, 0, v[6:7]
	v_mov_b64_e32 v[10:11], 0
                                        ; implicit-def: $vgpr15
                                        ; implicit-def: $vgpr17
	s_and_saveexec_b64 s[16:17], vcc
; %bb.20:
	v_sub_u32_e32 v10, v14, v16
	v_lshl_add_u32 v10, v10, 6, v20
	v_ashrrev_i32_e32 v11, 31, v10
	v_lshrrev_b32_e32 v11, 26, v11
	v_add_u32_e32 v11, v10, v11
	v_and_b32_e32 v14, 0xffffffc0, v11
	s_mov_b64 s[14:15], exec
	v_sub_u32_e32 v15, v10, v14
	v_ashrrev_i32_e32 v17, 6, v11
	v_mov_b64_e32 v[10:11], v[12:13]
; %bb.21:
	s_or_b64 exec, exec, s[16:17]
	s_xor_b64 s[16:17], exec, -1
	s_and_b64 s[14:15], s[14:15], exec
	v_mov_b64_e32 v[22:23], v[6:7]
.LBB5_22:
	s_or_b64 exec, exec, s[10:11]
	s_and_b64 s[10:11], s[16:17], exec
	s_and_b64 s[14:15], s[14:15], exec
.LBB5_23:
	s_or_b64 exec, exec, s[4:5]
	s_xor_b64 s[4:5], exec, -1
	s_and_b64 s[10:11], s[10:11], exec
	s_and_b64 s[14:15], s[14:15], exec
.LBB5_24:
	s_or_b64 exec, exec, s[6:7]
	s_and_saveexec_b64 s[6:7], s[14:15]
	s_cbranch_execz .LBB5_34
.LBB5_25:
	v_ashrrev_i32_e32 v6, 31, v23
	v_lshrrev_b32_e32 v6, 23, v6
	v_mov_b32_e32 v7, 0
	v_lshl_add_u64 v[6:7], v[22:23], 0, v[6:7]
	v_ashrrev_i64 v[12:13], 9, v[6:7]
	v_ashrrev_i32_e32 v7, 31, v17
	v_sub_co_u32_e32 v6, vcc, v12, v17
	s_nop 1
	v_subb_co_u32_e32 v7, vcc, v13, v7, vcc
	v_cmp_gt_i64_e32 vcc, 1, v[6:7]
	s_and_saveexec_b64 s[14:15], vcc
	s_xor_b64 s[14:15], exec, s[14:15]
	s_cbranch_execz .LBB5_31
; %bb.26:
	v_lshlrev_b64 v[12:13], 9, v[12:13]
	v_cmp_ne_u64_e32 vcc, v[22:23], v[12:13]
	s_and_saveexec_b64 s[16:17], vcc
	s_cbranch_execz .LBB5_30
; %bb.27:
	v_lshlrev_b32_e32 v6, 6, v6
	v_sub_co_u32_e32 v16, vcc, v22, v12
	v_sub_u32_e32 v6, v15, v6
	s_nop 0
	v_subb_co_u32_e32 v17, vcc, v23, v13, vcc
	v_ashrrev_i32_e32 v7, 31, v6
	v_cmp_gt_i64_e32 vcc, v[16:17], v[6:7]
	s_and_b64 exec, exec, vcc
	s_cbranch_execz .LBB5_30
; %bb.28:
	v_lshl_add_u64 v[10:11], v[12:13], 0, v[10:11]
	v_lshl_add_u64 v[6:7], v[10:11], 0, v[6:7]
	;; [unrolled: 1-line block ×3, first 2 shown]
	flat_load_ubyte v10, v[10:11]
	v_lshl_add_u64 v[6:7], v[6:7], 0, v[4:5]
	s_and_b64 vcc, exec, -1
	s_waitcnt vmcnt(0) lgkmcnt(0)
	flat_store_byte v[6:7], v10 nt
.LBB5_29:                               ; =>This Inner Loop Header: Depth=1
	s_mov_b64 vcc, vcc
	s_cbranch_vccnz .LBB5_29
.LBB5_30:
	s_or_b64 exec, exec, s[16:17]
                                        ; implicit-def: $vgpr17
                                        ; implicit-def: $vgpr15
                                        ; implicit-def: $vgpr10_vgpr11
.LBB5_31:
	s_andn2_saveexec_b64 s[14:15], s[14:15]
	s_cbranch_execz .LBB5_34
; %bb.32:
	v_lshl_add_u32 v6, v17, 9, v15
	v_ashrrev_i32_e32 v7, 31, v6
	v_lshl_add_u64 v[10:11], v[10:11], 0, v[6:7]
	v_lshl_add_u64 v[6:7], v[10:11], 0, v[4:5]
	;; [unrolled: 1-line block ×3, first 2 shown]
	s_and_b64 vcc, exec, 0
.LBB5_33:                               ; =>This Inner Loop Header: Depth=1
	flat_load_ubyte v12, v[10:11] nt
	flat_load_ubyte v13, v[10:11] offset:64 nt
	flat_load_ubyte v14, v[10:11] offset:128 nt
	;; [unrolled: 1-line block ×7, first 2 shown]
	s_waitcnt vmcnt(0) lgkmcnt(0)
	flat_store_byte v[6:7], v12 nt
	flat_store_byte v[6:7], v13 offset:64 nt
	flat_store_byte v[6:7], v14 offset:128 nt
	;; [unrolled: 1-line block ×7, first 2 shown]
	s_mov_b64 vcc, vcc
	s_cbranch_vccz .LBB5_33
.LBB5_34:
	s_or_b64 exec, exec, s[6:7]
	s_and_saveexec_b64 s[6:7], s[10:11]
	s_cbranch_execz .LBB5_37
; %bb.35:
	v_lshl_add_u64 v[6:7], v[0:1], 0, v[8:9]
	v_lshl_add_u64 v[0:1], v[6:7], 0, v[4:5]
	;; [unrolled: 1-line block ×3, first 2 shown]
	s_and_b64 vcc, exec, 0
.LBB5_36:                               ; =>This Inner Loop Header: Depth=1
	global_load_dwordx4 v[8:11], v[6:7], off nt
	s_waitcnt vmcnt(0)
	global_store_dwordx4 v[0:1], v[8:11], off nt
	s_mov_b64 vcc, vcc
	s_cbranch_vccz .LBB5_36
.LBB5_37:
	s_or_b64 exec, exec, s[6:7]
	s_and_saveexec_b64 s[6:7], s[4:5]
	s_xor_b64 s[6:7], exec, s[6:7]
	s_cbranch_execz .LBB5_40
; %bb.38:
	v_lshlrev_b32_e32 v0, 4, v18
	v_lshl_add_u32 v6, v19, 11, v0
	v_ashrrev_i32_e32 v7, 31, v6
	v_lshl_add_u64 v[0:1], v[4:5], 0, v[6:7]
	v_lshl_add_u64 v[2:3], v[2:3], 0, v[6:7]
	s_and_b64 vcc, exec, 0
.LBB5_39:                               ; =>This Inner Loop Header: Depth=1
	global_load_dwordx4 v[4:7], v[2:3], off nt
	global_load_dwordx4 v[8:11], v[2:3], off offset:1024 nt
	s_waitcnt vmcnt(0)
	global_store_dwordx4 v[0:1], v[4:7], off nt
	global_store_dwordx4 v[0:1], v[8:11], off offset:1024 nt
	s_mov_b64 vcc, vcc
	s_cbranch_vccz .LBB5_39
.LBB5_40:
	s_or_b64 exec, exec, s[2:3]
                                        ; implicit-def: $vgpr22_vgpr23
                                        ; implicit-def: $agpr8_agpr9
                                        ; implicit-def: $vgpr18_vgpr19
                                        ; implicit-def: $vgpr20_vgpr21
                                        ; implicit-def: $vgpr53
                                        ; implicit-def: $vgpr16
                                        ; implicit-def: $agpr4_agpr5
                                        ; implicit-def: $vgpr31
                                        ; implicit-def: $vgpr34_vgpr35
                                        ; implicit-def: $vgpr2_vgpr3
.LBB5_41:
	s_andn2_saveexec_b64 s[34:35], s[0:1]
	s_cbranch_execz .LBB5_1059
; %bb.42:
	s_trap 2
	ds_read_b64 v[0:1], v0
	s_waitcnt lgkmcnt(0)
	v_cmp_ne_u32_e32 vcc, -1, v0
	s_nop 1
	v_cndmask_b32_e64 v7, 0, 1, vcc
	v_cmp_ne_u32_e32 vcc, -1, v1
	s_nop 1
	v_addc_co_u32_e64 v6, s[0:1], 0, v7, vcc
	v_lshlrev_b32_e32 v0, 1, v6
	v_cmp_le_i32_e64 s[0:1], v0, v16
	s_and_saveexec_b64 s[2:3], s[0:1]
	s_xor_b64 s[30:31], exec, s[2:3]
	s_cbranch_execz .LBB5_1056
; %bb.43:
	flat_load_dwordx2 v[4:5], v[2:3] offset:104
	flat_load_ushort v9, v[2:3] offset:8
	flat_load_dword v8, v[2:3] offset:4
	s_trap 2
	s_load_dword s0, s[8:9], 0x0
	v_mov_b32_e32 v0, 0
	v_mov_b32_e32 v62, 4
	s_waitcnt lgkmcnt(0)
	s_cmp_lt_u32 s12, s0
	s_cselect_b32 s0, 12, 18
	s_add_u32 s0, s8, s0
	s_addc_u32 s1, s9, 0
	global_load_ushort v17, v0, s[0:1]
	ds_read_b32 v0, v0
	v_cmp_ge_i32_e64 s[0:1], v53, v7
	s_waitcnt lgkmcnt(0)
	v_readfirstlane_b32 s14, v0
	s_and_saveexec_b64 s[2:3], s[0:1]
	s_cbranch_execz .LBB5_53
; %bb.44:
	v_cmp_le_u32_e64 s[0:1], v6, v53
                                        ; implicit-def: $vgpr62
	s_and_saveexec_b64 s[4:5], s[0:1]
	s_xor_b64 s[0:1], exec, s[4:5]
	s_cbranch_execz .LBB5_50
; %bb.45:
	v_cndmask_b32_e64 v0, 0, 1, vcc
	v_sub_u32_e32 v0, v16, v0
	v_cmp_ge_u32_e32 vcc, v53, v0
                                        ; implicit-def: $sgpr6
	s_and_saveexec_b64 s[4:5], vcc
	s_xor_b64 s[4:5], exec, s[4:5]
; %bb.46:
	s_mov_b32 s6, 16
                                        ; implicit-def: $vgpr6
; %bb.47:
	s_or_saveexec_b64 s[4:5], s[4:5]
	v_mov_b32_e32 v62, s6
	s_xor_b64 exec, exec, s[4:5]
; %bb.48:
	v_sub_u32_e32 v0, v16, v6
	v_cmp_ge_i32_e32 vcc, v53, v0
	s_nop 1
	v_cndmask_b32_e64 v0, 0, 1, vcc
	v_lshlrev_b32_e32 v62, 5, v0
; %bb.49:
	s_or_b64 exec, exec, s[4:5]
.LBB5_50:
	s_andn2_saveexec_b64 s[0:1], s[0:1]
; %bb.51:
	v_mov_b32_e32 v62, 8
; %bb.52:
	s_or_b64 exec, exec, s[0:1]
.LBB5_53:
	s_or_b64 exec, exec, s[2:3]
	v_and_b32_e32 v0, 36, v62
	v_cmp_ne_u32_e32 vcc, 0, v0
	v_mov_b32_e32 v14, -1
	s_and_saveexec_b64 s[0:1], vcc
	s_cbranch_execz .LBB5_55
; %bb.54:
	s_trap 2
	ds_read_b32 v14, v0
.LBB5_55:
	s_or_b64 exec, exec, s[0:1]
	v_and_b32_e32 v0, 24, v62
	v_cmp_ne_u32_e64 s[0:1], 0, v0
	s_and_saveexec_b64 s[2:3], s[0:1]
	s_cbranch_execz .LBB5_57
; %bb.56:
	s_trap 2
	s_waitcnt lgkmcnt(0)
	ds_read_b32 v14, v0
.LBB5_57:
	s_or_b64 exec, exec, s[2:3]
	v_mov_b64_e32 v[24:25], 0
	s_waitcnt vmcnt(0)
	v_lshrrev_b64 v[0:1], 31, v[8:9]
	v_accvgpr_write_b32 a20, v24
	v_and_b32_e32 v6, 3, v0
	v_accvgpr_write_b32 a21, v25
                                        ; implicit-def: $agpr16_agpr17
                                        ; implicit-def: $vgpr52
                                        ; implicit-def: $vgpr50_vgpr51
                                        ; implicit-def: $vgpr12_vgpr13
                                        ; implicit-def: $vgpr36_vgpr37
                                        ; implicit-def: $vgpr26_vgpr27
	s_and_saveexec_b64 s[0:1], vcc
	s_cbranch_execz .LBB5_67
; %bb.58:
	s_trap 2
	ds_read_b64 v[0:1], v0
	s_waitcnt lgkmcnt(1)
	v_ashrrev_i32_e32 v15, 31, v14
	v_and_b32_e32 v8, 0xffff, v6
	s_movk_i32 s2, 0xa8
                                        ; implicit-def: $agpr16_agpr17
	s_waitcnt lgkmcnt(0)
	v_lshl_add_u64 v[0:1], v[14:15], 3, v[0:1]
	flat_load_dwordx2 v[0:1], v[0:1]
	s_waitcnt vmcnt(0) lgkmcnt(0)
	v_mad_u64_u32 v[0:1], s[2:3], v8, s2, v[0:1]
	flat_load_dword v8, v[0:1] offset:640
	s_mov_b64 s[2:3], 0x1f8
	v_lshl_add_u64 v[24:25], v[0:1], 0, s[2:3]
	s_waitcnt vmcnt(0) lgkmcnt(0)
	v_cmp_eq_u32_e32 vcc, 1, v8
	s_and_saveexec_b64 s[2:3], vcc
	s_cbranch_execz .LBB5_60
; %bb.59:
	flat_load_dwordx2 v[8:9], v[24:25] offset:144
	v_or_b32_e32 v62, 0x2000, v62
	s_waitcnt vmcnt(0) lgkmcnt(0)
	flat_load_dwordx2 v[0:1], v[8:9]
	s_trap 2
	v_accvgpr_write_b32 a17, v9
	v_accvgpr_write_b32 a16, v8
	s_waitcnt vmcnt(0) lgkmcnt(0)
	ds_write_b64 v0, v[0:1]
	flat_load_dwordx2 v[0:1], v[8:9] offset:8
	s_waitcnt vmcnt(0) lgkmcnt(0)
	ds_write_b64 v0, v[0:1]
	flat_load_dwordx2 v[0:1], v[8:9] offset:16
	s_waitcnt vmcnt(0) lgkmcnt(0)
	ds_write_b64 v0, v[0:1]
.LBB5_60:
	s_or_b64 exec, exec, s[2:3]
	flat_load_dwordx2 v[0:1], v[24:25] offset:104
	v_and_b32_e32 v8, 32, v62
	v_cmp_ne_u32_e32 vcc, 0, v8
                                        ; implicit-def: $vgpr26_vgpr27
	s_waitcnt vmcnt(0) lgkmcnt(0)
	v_lshl_add_u64 v[50:51], v[0:1], 0, 3
	v_and_b32_e32 v50, -4, v50
	s_and_saveexec_b64 s[2:3], vcc
	s_cbranch_execz .LBB5_62
; %bb.61:
	flat_load_dwordx2 v[26:27], v[24:25] offset:56
	s_waitcnt vmcnt(0) lgkmcnt(0)
	flat_store_dwordx2 v[26:27], v[50:51] sc0 sc1
.LBB5_62:
	s_or_b64 exec, exec, s[2:3]
	v_and_b32_e32 v0, 4, v62
	v_cmp_ne_u32_e32 vcc, 0, v0
	v_mov_b64_e32 v[0:1], 0
	v_accvgpr_write_b32 a21, v1
	v_accvgpr_write_b32 a20, v0
                                        ; implicit-def: $vgpr52
                                        ; implicit-def: $vgpr12_vgpr13
                                        ; implicit-def: $vgpr36_vgpr37
	s_and_saveexec_b64 s[2:3], vcc
	s_cbranch_execz .LBB5_66
; %bb.63:
	v_and_b32_e32 v0, 0x800, v62
	v_cmp_eq_u32_e32 vcc, 0, v0
	s_and_saveexec_b64 s[4:5], vcc
	s_cbranch_execz .LBB5_65
; %bb.64:
	s_trap 2
	ds_write_b64 v0, v[24:25]
.LBB5_65:
	s_or_b64 exec, exec, s[4:5]
	flat_load_dwordx2 v[26:27], v[24:25] offset:48
	v_or_b32_e32 v0, 0x100, v62
	s_waitcnt vmcnt(0) lgkmcnt(0)
	flat_load_dwordx2 v[36:37], v[26:27] sc0 sc1
	flat_load_dwordx2 v[8:9], v[24:25] offset:96
	flat_load_dword v52, v[24:25] offset:72
	flat_load_dwordx2 v[12:13], v[24:25] offset:16
	s_waitcnt vmcnt(0) lgkmcnt(0)
	v_accvgpr_write_b32 a21, v9
	v_cmp_eq_u64_e32 vcc, 0, v[8:9]
	v_accvgpr_write_b32 a20, v8
	s_nop 0
	v_cndmask_b32_e32 v62, v0, v62, vcc
.LBB5_66:
	s_or_b64 exec, exec, s[2:3]
.LBB5_67:
	s_or_b64 exec, exec, s[0:1]
	v_and_b32_e32 v0, 24, v62
	v_cmp_ne_u32_e32 vcc, 0, v0
                                        ; implicit-def: $vgpr0_vgpr1
	s_and_saveexec_b64 s[0:1], vcc
	s_cbranch_execz .LBB5_75
; %bb.68:
	s_trap 2
	ds_read_b64 v[0:1], v0
	s_waitcnt lgkmcnt(0)
	v_ashrrev_i32_e32 v15, 31, v14
	v_and_b32_e32 v6, 0xffff, v6
	s_movk_i32 s2, 0xa8
	v_lshl_add_u64 v[0:1], v[14:15], 3, v[0:1]
	flat_load_dwordx2 v[0:1], v[0:1]
	s_waitcnt vmcnt(0) lgkmcnt(0)
	v_mad_u64_u32 v[24:25], s[2:3], v6, s2, v[0:1]
	flat_load_dwordx4 v[8:11], v[24:25] offset:96
	v_or_b32_e32 v0, 0x100, v62
	s_waitcnt vmcnt(0) lgkmcnt(0)
	v_cmp_eq_u64_e32 vcc, 0, v[8:9]
	s_nop 1
	v_cndmask_b32_e32 v62, v0, v62, vcc
	v_accvgpr_write_b32 a23, v11
	v_and_b32_e32 v0, 16, v62
	v_accvgpr_write_b32 a22, v10
	v_accvgpr_write_b32 a21, v9
	;; [unrolled: 1-line block ×3, first 2 shown]
	v_cmp_ne_u32_e32 vcc, 0, v0
                                        ; implicit-def: $vgpr0_vgpr1
	s_and_saveexec_b64 s[2:3], vcc
	s_cbranch_execz .LBB5_70
; %bb.69:
	flat_load_dwordx2 v[0:1], v[24:25] offset:120
	flat_load_dwordx2 v[26:27], v[24:25] offset:48
	flat_load_dwordx2 v[12:13], v[24:25] offset:16
.LBB5_70:
	s_or_b64 exec, exec, s[2:3]
	v_accvgpr_read_b32 v8, a20
	v_accvgpr_read_b32 v10, a22
	;; [unrolled: 1-line block ×3, first 2 shown]
	v_lshl_add_u64 v[50:51], v[10:11], 0, 3
	v_and_b32_e32 v6, 8, v62
	v_and_b32_e32 v50, -4, v50
	v_cmp_ne_u32_e32 vcc, 0, v6
	v_accvgpr_read_b32 v9, a21
	s_and_saveexec_b64 s[2:3], vcc
	s_cbranch_execz .LBB5_74
; %bb.71:
	v_and_b32_e32 v6, 0x800, v62
	v_cmp_eq_u32_e32 vcc, 0, v6
	s_and_saveexec_b64 s[4:5], vcc
	s_cbranch_execz .LBB5_73
; %bb.72:
	s_trap 2
	s_waitcnt vmcnt(0) lgkmcnt(0)
	ds_write_b64 v0, v[24:25]
.LBB5_73:
	s_or_b64 exec, exec, s[4:5]
	s_waitcnt vmcnt(0) lgkmcnt(0)
	flat_load_dwordx2 v[26:27], v[24:25] offset:56
	s_waitcnt vmcnt(0) lgkmcnt(0)
	flat_load_dwordx2 v[36:37], v[26:27] sc0 sc1
	flat_load_dword v52, v[24:25] offset:72
	flat_load_dwordx2 v[12:13], v[24:25] offset:16
.LBB5_74:
	s_or_b64 exec, exec, s[2:3]
.LBB5_75:
	s_or_b64 exec, exec, s[0:1]
	v_cmp_eq_u32_e64 s[0:1], 0, v53
	s_and_saveexec_b64 s[2:3], s[0:1]
	s_cbranch_execz .LBB5_77
; %bb.76:
	flat_load_dwordx2 v[8:9], v[2:3] offset:32
	v_mov_b32_e32 v10, v34
	v_mov_b32_e32 v11, v35
	s_waitcnt lgkmcnt(0)
	v_mov_b32_e32 v14, v32
	v_mov_b32_e32 v15, v33
	s_waitcnt vmcnt(0)
	ds_write2_b64 v0, v[10:11], v[14:15] offset1:1
	s_trap 2
	ds_write_b64 v0, v[8:9]
	ds_write_b64 v0, v[4:5]
.LBB5_77:
	s_or_b64 exec, exec, s[2:3]
	s_mov_b64 s[38:39], 0
	v_cmp_ne_u64_e32 vcc, 0, v[22:23]
	s_waitcnt lgkmcnt(0)
	v_mov_b64_e32 v[14:15], 0
	s_and_saveexec_b64 s[36:37], vcc
	s_cbranch_execz .LBB5_1020
; %bb.78:
	flat_load_dword v6, v[2:3] offset:4
	v_lshlrev_b32_e32 v4, 9, v18
	v_cvt_f64_u32_e32 v[2:3], 0
	s_ashr_i32 s12, s14, 31
	v_and_b32_e32 v5, 63, v31
	v_lshrrev_b32_e32 v48, 6, v16
	v_ashrrev_i32_e32 v8, 31, v53
	v_lshlrev_b32_e32 v14, 4, v53
	v_mov_b64_e32 v[18:19], v[22:23]
	v_mov_b32_e32 v10, 0xfffff800
	v_and_b32_e32 v22, 0x3ffffe00, v4
	v_ldexp_f64 v[2:3], v[2:3], 32
	s_lshr_b32 s15, s12, 25
	v_cmp_eq_u32_e64 s[12:13], 0, v5
	v_lshrrev_b32_e32 v5, 26, v8
	v_ashrrev_i32_e32 v15, 31, v14
	v_lshl_add_u32 v8, v48, 11, v10
	v_cvt_f64_u32_e32 v[10:11], v22
	v_accvgpr_write_b32 a23, v15
	v_add_f64 v[2:3], v[2:3], v[10:11]
	v_accvgpr_write_b32 a10, v32
	v_accvgpr_write_b32 a22, v14
	v_add_u32_e32 v14, v53, v5
	v_accvgpr_write_b32 a29, v3
	v_accvgpr_write_b32 a11, v33
	;; [unrolled: 1-line block ×5, first 2 shown]
	v_ashrrev_i32_e32 v34, 6, v14
	v_and_b32_e32 v2, 0xffffffc0, v14
	v_mov_b32_e32 v9, 0xfffffe00
	v_sub_u32_e32 v3, v53, v2
	v_sub_u32_e32 v2, 0, v34
	v_lshl_add_u32 v4, v48, 9, v9
	v_accvgpr_write_b32 a32, v2
	v_lshlrev_b32_e32 v2, 11, v34
	s_mov_b64 s[16:17], 0x200
	s_mov_b64 s[18:19], 0x800
	s_add_i32 s14, s14, s15
	v_ashrrev_i32_e32 v5, 31, v4
	v_ashrrev_i32_e32 v9, 31, v8
	v_lshl_add_u32 v2, v3, 4, v2
	v_accvgpr_write_b32 a18, v24
	s_ashr_i32 s74, s14, 7
	v_lshl_add_u64 v[56:57], v[4:5], 0, s[16:17]
	v_lshl_add_u64 v[60:61], v[8:9], 0, s[18:19]
	v_cmp_gt_i32_e64 s[14:15], 1, v3
	v_cmp_le_i32_e64 s[16:17], v3, v7
	v_accvgpr_write_b32 a31, v3
	v_cmp_lt_i32_e64 s[18:19], v3, v7
	v_ashrrev_i32_e32 v3, 31, v2
	v_accvgpr_write_b32 a19, v25
	v_mov_b32_e32 v39, 0
	v_cmp_eq_u32_e64 s[2:3], 64, v16
	v_cmp_ne_u32_e64 s[4:5], 64, v16
	v_cmp_ne_u32_sdwa s[40:41], v17, v16 src0_sel:WORD_0 src1_sel:DWORD
	v_accvgpr_write_b32 a0, v16
	v_and_b32_e32 v24, 0xffffffc0, v16
	v_lshlrev_b32_e32 v16, 10, v48
	v_accvgpr_write_b32 a35, v3
	v_mov_b32_e32 v23, v39
	v_subrev_u32_e32 v42, 64, v24
	v_add_u32_e32 v44, 0xfffffc00, v16
	v_accvgpr_write_b32 a34, v2
	s_waitcnt vmcnt(0)
	v_ashrrev_i32_e32 v35, 31, v52
	s_mov_b64 s[42:43], 0x400
	v_mov_b64_e32 v[46:47], 0
	v_accvgpr_write_b32 a27, v23
	v_ashrrev_i32_e32 v43, 31, v42
	v_ashrrev_i32_e32 v45, 31, v44
	s_cmp_gt_i32 s70, 2
	v_accvgpr_write_b32 a1, v31
	v_accvgpr_write_b32 a6, v17
	s_movk_i32 s71, 0xffc0
	v_cmp_eq_u64_e64 s[6:7], 0, v[0:1]
	v_cmp_ne_u64_e64 s[10:11], 0, v[0:1]
	s_movk_i32 s72, 0x270e
	v_mov_b32_e32 v25, 1
	s_mov_b64 s[44:45], 0x1c0
	s_movk_i32 s73, 0x108
	s_waitcnt lgkmcnt(0)
	v_and_b32_e32 v2, 1, v6
	v_cmp_eq_u32_e64 s[20:21], 1, v2
	v_mov_b32_e32 v49, v39
	v_accvgpr_write_b32 a26, v22
	v_lshl_add_u64 v[58:59], v[42:43], 0, 64
	v_lshl_add_u64 v[22:23], v[44:45], 0, s[42:43]
	s_cselect_b64 s[46:47], -1, 0
	s_add_i32 s75, s70, -2
	s_xor_b64 s[48:49], s[20:21], -1
	v_mov_b64_e32 v[14:15], v[46:47]
	v_accvgpr_write_b32 a7, v35
	v_accvgpr_write_b32 a30, v34
	s_trap 2
	s_branch .LBB5_81
.LBB5_79:                               ;   in Loop: Header=BB5_81 Depth=1
	s_or_b64 exec, exec, s[26:27]
.LBB5_80:                               ;   in Loop: Header=BB5_81 Depth=1
	s_or_b64 exec, exec, s[24:25]
	v_accvgpr_read_b32 v2, a26
	v_accvgpr_read_b32 v3, a27
	;; [unrolled: 1-line block ×3, first 2 shown]
	v_lshl_add_u64 v[46:47], v[46:47], 0, v[2:3]
	v_accvgpr_read_b32 v18, a2
	v_cmp_ge_u64_e32 vcc, v[46:47], v[18:19]
	v_accvgpr_read_b32 v21, a15
	s_or_b64 s[38:39], vcc, s[38:39]
	v_accvgpr_read_b32 v20, a14
	s_andn2_b64 exec, exec, s[38:39]
	s_cbranch_execz .LBB5_1019
.LBB5_81:                               ; =>This Loop Header: Depth=1
                                        ;     Child Loop BB5_86 Depth 2
                                        ;       Child Loop BB5_94 Depth 3
                                        ;       Child Loop BB5_118 Depth 3
                                        ;       Child Loop BB5_137 Depth 3
                                        ;       Child Loop BB5_158 Depth 3
                                        ;         Child Loop BB5_159 Depth 4
                                        ;       Child Loop BB5_165 Depth 3
                                        ;         Child Loop BB5_166 Depth 4
                                        ;       Child Loop BB5_175 Depth 3
                                        ;       Child Loop BB5_180 Depth 3
                                        ;         Child Loop BB5_181 Depth 4
                                        ;       Child Loop BB5_194 Depth 3
                                        ;       Child Loop BB5_199 Depth 3
	;; [unrolled: 1-line block ×6, first 2 shown]
                                        ;     Child Loop BB5_407 Depth 2
                                        ;       Child Loop BB5_413 Depth 3
                                        ;       Child Loop BB5_437 Depth 3
	;; [unrolled: 1-line block ×3, first 2 shown]
                                        ;     Child Loop BB5_265 Depth 2
                                        ;       Child Loop BB5_273 Depth 3
                                        ;       Child Loop BB5_297 Depth 3
	;; [unrolled: 1-line block ×9, first 2 shown]
                                        ;     Child Loop BB5_479 Depth 2
                                        ;       Child Loop BB5_485 Depth 3
                                        ;       Child Loop BB5_509 Depth 3
	;; [unrolled: 1-line block ×3, first 2 shown]
                                        ;     Child Loop BB5_550 Depth 2
                                        ;       Child Loop BB5_553 Depth 3
                                        ;         Child Loop BB5_561 Depth 4
                                        ;         Child Loop BB5_587 Depth 4
	;; [unrolled: 1-line block ×4, first 2 shown]
                                        ;           Child Loop BB5_628 Depth 5
                                        ;         Child Loop BB5_634 Depth 4
                                        ;           Child Loop BB5_635 Depth 5
                                        ;         Child Loop BB5_644 Depth 4
                                        ;         Child Loop BB5_649 Depth 4
                                        ;           Child Loop BB5_650 Depth 5
                                        ;         Child Loop BB5_663 Depth 4
                                        ;         Child Loop BB5_668 Depth 4
	;; [unrolled: 1-line block ×6, first 2 shown]
                                        ;       Child Loop BB5_733 Depth 3
                                        ;         Child Loop BB5_739 Depth 4
                                        ;         Child Loop BB5_777 Depth 4
	;; [unrolled: 1-line block ×3, first 2 shown]
                                        ;     Child Loop BB5_814 Depth 2
                                        ;       Child Loop BB5_822 Depth 3
                                        ;       Child Loop BB5_846 Depth 3
                                        ;       Child Loop BB5_865 Depth 3
                                        ;       Child Loop BB5_906 Depth 3
                                        ;       Child Loop BB5_911 Depth 3
                                        ;       Child Loop BB5_885 Depth 3
                                        ;       Child Loop BB5_890 Depth 3
                                        ;       Child Loop BB5_900 Depth 3
                                        ;       Child Loop BB5_937 Depth 3
                                        ;     Child Loop BB5_953 Depth 2
                                        ;       Child Loop BB5_959 Depth 3
                                        ;       Child Loop BB5_983 Depth 3
	;; [unrolled: 1-line block ×3, first 2 shown]
	v_sub_co_u32_e32 v4, vcc, v18, v46
	v_cvt_f64_u32_e32 v[4:5], v4
	s_nop 0
	v_subb_co_u32_e32 v2, vcc, v19, v47, vcc
	v_cvt_f64_u32_e32 v[2:3], v2
	v_ldexp_f64 v[2:3], v[2:3], 32
	v_add_f64 v[2:3], v[2:3], v[4:5]
	v_accvgpr_read_b32 v4, a28
	v_accvgpr_read_b32 v5, a29
	v_max_f64 v[4:5], v[4:5], v[4:5]
	v_min_f64 v[2:3], v[4:5], v[2:3]
	v_cvt_i32_f64_e32 v6, v[2:3]
	v_accvgpr_read_b32 v2, a8
	v_accvgpr_read_b32 v3, a9
	v_lshl_add_u64 v[28:29], v[46:47], 0, v[2:3]
	v_accvgpr_read_b32 v2, a4
	v_accvgpr_read_b32 v3, a5
	flat_load_dword v2, v[2:3]
	v_accvgpr_write_b32 a2, v18
	v_accvgpr_write_b32 a3, v19
	v_accvgpr_read_b32 v8, a10
	v_accvgpr_read_b32 v9, a11
	v_accvgpr_read_b32 v10, a12
	v_accvgpr_read_b32 v11, a13
	v_max_i32_e32 v54, 0, v6
	v_accvgpr_write_b32 a14, v20
	v_accvgpr_write_b32 a37, v29
	;; [unrolled: 1-line block ×4, first 2 shown]
	s_waitcnt vmcnt(0) lgkmcnt(0)
	v_ashrrev_i32_e32 v3, 31, v2
	v_mul_lo_u32 v4, v21, v2
	v_mul_lo_u32 v3, v20, v3
	v_mad_u64_u32 v[18:19], s[22:23], v20, v2, v[28:29]
	v_add3_u32 v19, v4, v19, v3
	v_lshl_add_u64 v[2:3], v[10:11], 0, v[28:29]
	v_lshl_add_u64 v[4:5], v[8:9], 0, v[18:19]
	v_cmp_ne_u64_e32 vcc, v[2:3], v[4:5]
	v_add_u32_e32 v2, 31, v54
	v_ashrrev_i32_e32 v3, 31, v2
	v_lshrrev_b32_e32 v3, 27, v3
	v_add_u32_e32 v2, v2, v3
	v_ashrrev_i32_e32 v2, 5, v2
	v_lshlrev_b32_e32 v2, 4, v2
	v_max_i32_e32 v17, s74, v2
	v_cmp_lt_i32_e64 s[22:23], 0, v6
	s_and_saveexec_b64 s[24:25], vcc
	s_xor_b64 s[50:51], exec, s[24:25]
	s_cbranch_execz .LBB5_260
; %bb.82:                               ;   in Loop: Header=BB5_81 Depth=1
	v_accvgpr_write_b32 a24, v46
	v_accvgpr_write_b32 a25, v47
	v_mov_b32_e32 v2, 0
	v_mov_b32_e32 v46, v17
	;; [unrolled: 1-line block ×3, first 2 shown]
	s_and_saveexec_b64 s[52:53], s[22:23]
	s_cbranch_execz .LBB5_403
; %bb.83:                               ;   in Loop: Header=BB5_81 Depth=1
	s_mov_b32 s76, 1
	s_mov_b64 s[56:57], -1
	s_mov_b64 s[54:55], 0
	v_mov_b32_e32 v40, 0
	v_mov_b32_e32 v46, v17
	s_branch .LBB5_86
.LBB5_84:                               ;   in Loop: Header=BB5_86 Depth=2
	s_or_b64 exec, exec, s[26:27]
	v_lshl_add_u64 v[50:51], v[50:51], 0, 2
	flat_store_dwordx2 v[26:27], v[50:51] sc0 sc1
.LBB5_85:                               ;   in Loop: Header=BB5_86 Depth=2
	s_or_b64 exec, exec, s[24:25]
	v_add_u32_e32 v40, v46, v40
	v_cmp_ge_i32_e32 vcc, v40, v54
	s_xor_b64 s[24:25], s[56:57], -1
	s_or_b64 s[24:25], s[24:25], vcc
	s_and_b64 s[24:25], exec, s[24:25]
	s_or_b64 s[54:55], s[24:25], s[54:55]
	s_mov_b64 s[56:57], 0
	v_mov_b32_e32 v2, s76
	s_mov_b32 s76, 2
	s_andn2_b64 exec, exec, s[54:55]
	s_cbranch_execz .LBB5_402
.LBB5_86:                               ;   Parent Loop BB5_81 Depth=1
                                        ; =>  This Loop Header: Depth=2
                                        ;       Child Loop BB5_94 Depth 3
                                        ;       Child Loop BB5_118 Depth 3
	;; [unrolled: 1-line block ×4, first 2 shown]
                                        ;         Child Loop BB5_159 Depth 4
                                        ;       Child Loop BB5_165 Depth 3
                                        ;         Child Loop BB5_166 Depth 4
                                        ;       Child Loop BB5_175 Depth 3
                                        ;       Child Loop BB5_180 Depth 3
                                        ;         Child Loop BB5_181 Depth 4
                                        ;       Child Loop BB5_194 Depth 3
                                        ;       Child Loop BB5_199 Depth 3
	;; [unrolled: 1-line block ×6, first 2 shown]
	s_and_saveexec_b64 s[24:25], s[0:1]
	s_cbranch_execz .LBB5_88
; %bb.87:                               ;   in Loop: Header=BB5_86 Depth=2
	s_trap 2
	ds_read2_b64 v[2:5], v0 offset1:1
	ds_read_b64 v[6:7], v0
	v_accvgpr_read_b32 v8, a36
	v_accvgpr_read_b32 v9, a37
	v_ashrrev_i32_e32 v41, 31, v40
	s_waitcnt lgkmcnt(0)
	v_lshl_add_u64 v[2:3], v[2:3], 0, v[8:9]
	v_lshl_add_u64 v[4:5], v[4:5], 0, v[18:19]
	;; [unrolled: 1-line block ×3, first 2 shown]
	ds_write_b64 v0, v[2:3]
	v_lshl_add_u64 v[2:3], v[4:5], 0, v[40:41]
	ds_write_b64 v0, v[2:3]
	s_waitcnt lgkmcnt(2)
	v_lshl_add_u64 v[2:3], v[6:7], 0, v[18:19]
	v_lshl_add_u64 v[2:3], v[2:3], 0, v[40:41]
	v_cmp_ne_u64_e32 vcc, 0, v[6:7]
	s_nop 1
	v_cndmask_b32_e32 v3, 0, v3, vcc
	v_cndmask_b32_e32 v2, 0, v2, vcc
	ds_write_b64 v0, v[2:3]
.LBB5_88:                               ;   in Loop: Header=BB5_86 Depth=2
	s_or_b64 exec, exec, s[24:25]
	v_and_b32_e32 v2, 8, v62
	v_cmp_ne_u32_e32 vcc, 0, v2
	s_mov_b64 s[26:27], -1
	v_lshl_add_u64 v[2:3], v[50:51], 0, 2
	s_and_saveexec_b64 s[24:25], vcc
	s_cbranch_execz .LBB5_100
; %bb.89:                               ;   in Loop: Header=BB5_86 Depth=2
	v_lshl_add_u64 v[6:7], v[36:37], 0, 8
	v_lshl_add_u64 v[4:5], v[50:51], 0, 2
	v_cmp_lt_u64_e32 vcc, v[6:7], v[4:5]
	v_mov_b32_e32 v6, 1
	s_and_saveexec_b64 s[26:27], vcc
	s_cbranch_execz .LBB5_99
; %bb.90:                               ;   in Loop: Header=BB5_86 Depth=2
	s_mov_b64 s[28:29], 0
	v_mov_b32_e32 v6, 0
                                        ; implicit-def: $sgpr58_sgpr59
	s_branch .LBB5_94
.LBB5_91:                               ;   in Loop: Header=BB5_94 Depth=3
	s_or_b64 exec, exec, s[66:67]
	v_mov_b32_e32 v7, 0
	s_orn2_b64 s[64:65], s[64:65], exec
.LBB5_92:                               ;   in Loop: Header=BB5_94 Depth=3
	s_or_b64 exec, exec, s[62:63]
	s_andn2_b64 vcc, s[58:59], exec
	s_and_b64 s[58:59], s[64:65], exec
	s_or_b64 s[58:59], vcc, s[58:59]
	v_mov_b32_e32 v6, v7
.LBB5_93:                               ;   in Loop: Header=BB5_94 Depth=3
	s_or_b64 exec, exec, s[60:61]
	s_waitcnt vmcnt(0) lgkmcnt(0)
	v_lshl_add_u64 v[8:9], v[36:37], 0, 8
	v_cmp_ge_u64_e32 vcc, v[8:9], v[4:5]
	s_xor_b64 s[60:61], s[58:59], -1
	s_or_b64 vcc, s[60:61], vcc
	s_and_b64 vcc, exec, vcc
	s_or_b64 s[28:29], vcc, s[28:29]
	s_andn2_b64 exec, exec, s[28:29]
	s_cbranch_execz .LBB5_98
.LBB5_94:                               ;   Parent Loop BB5_81 Depth=1
                                        ;     Parent Loop BB5_86 Depth=2
                                        ; =>    This Inner Loop Header: Depth=3
	s_sleep 1
	flat_load_dwordx2 v[36:37], v[26:27] sc0 sc1
	v_and_b32_e32 v7, 64, v62
	v_cmp_eq_u32_e32 vcc, 0, v7
	s_andn2_b64 s[58:59], s[58:59], exec
	s_and_saveexec_b64 s[60:61], vcc
	s_cbranch_execz .LBB5_93
; %bb.95:                               ;   in Loop: Header=BB5_94 Depth=3
	v_add_u32_e32 v7, 1, v6
	v_cmp_lt_i32_e32 vcc, s72, v6
	s_mov_b64 s[64:65], -1
	s_and_saveexec_b64 s[62:63], vcc
	s_cbranch_execz .LBB5_92
; %bb.96:                               ;   in Loop: Header=BB5_94 Depth=3
	s_trap 2
	ds_read_b64 v[6:7], v0
	s_waitcnt vmcnt(0) lgkmcnt(0)
	flat_load_dword v6, v[6:7] sc0 sc1
	s_waitcnt vmcnt(0) lgkmcnt(0)
	buffer_inv sc0 sc1
	v_cmp_ne_u32_e32 vcc, 0, v6
	s_and_saveexec_b64 s[66:67], vcc
	s_cbranch_execz .LBB5_91
; %bb.97:                               ;   in Loop: Header=BB5_94 Depth=3
	v_or_b32_e32 v62, 64, v62
	s_xor_b64 s[64:65], exec, -1
	ds_write_b32 v0, v6
	s_trap 2
	s_branch .LBB5_91
.LBB5_98:                               ;   in Loop: Header=BB5_86 Depth=2
	s_or_b64 exec, exec, s[28:29]
	v_and_b32_e32 v6, 8, v62
.LBB5_99:                               ;   in Loop: Header=BB5_86 Depth=2
	s_or_b64 exec, exec, s[26:27]
	v_cmp_eq_u32_e32 vcc, 0, v6
	s_orn2_b64 s[26:27], vcc, exec
	;;#ASMSTART
	s_wakeup
	;;#ASMEND
.LBB5_100:                              ;   in Loop: Header=BB5_86 Depth=2
	s_or_b64 exec, exec, s[24:25]
	v_sub_u32_e32 v4, v54, v40
	s_xor_b64 s[24:25], s[26:27], -1
	v_min_i32_e32 v46, v46, v4
	s_and_saveexec_b64 s[26:27], s[24:25]
	s_cbranch_execz .LBB5_110
; %bb.101:                              ;   in Loop: Header=BB5_86 Depth=2
	v_and_b32_e32 v4, 0x100, v62
	v_cmp_ne_u32_e32 vcc, 0, v4
	v_and_b32_e32 v8, 7, v50
	s_mov_b64 s[24:25], -1
                                        ; implicit-def: $vgpr4_vgpr5
	s_and_saveexec_b64 s[28:29], vcc
	s_cbranch_execz .LBB5_105
; %bb.102:                              ;   in Loop: Header=BB5_86 Depth=2
	v_accvgpr_read_b32 v4, a20
	v_accvgpr_read_b32 v5, a21
	v_mad_u64_u32 v[6:7], s[24:25], v8, 24, v[4:5]
	flat_load_dword v4, v[6:7]
	v_ashrrev_i32_e32 v47, 31, v46
	flat_store_dwordx2 v[6:7], v[46:47] offset:8
	s_waitcnt vmcnt(0) lgkmcnt(0)
	v_cmp_ne_u32_e32 vcc, 1, v4
	v_cmp_eq_u32_e64 s[24:25], 1, v4
                                        ; implicit-def: $vgpr4_vgpr5
	s_and_saveexec_b64 s[58:59], s[24:25]
	s_cbranch_execz .LBB5_104
; %bb.103:                              ;   in Loop: Header=BB5_86 Depth=2
	flat_load_dword v4, v[6:7] offset:4 sc0 sc1
	s_waitcnt vmcnt(0) lgkmcnt(0)
	v_ashrrev_i32_e32 v5, 31, v4
.LBB5_104:                              ;   in Loop: Header=BB5_86 Depth=2
	s_or_b64 exec, exec, s[58:59]
	s_orn2_b64 s[24:25], vcc, exec
.LBB5_105:                              ;   in Loop: Header=BB5_86 Depth=2
	s_or_b64 exec, exec, s[28:29]
	s_and_saveexec_b64 s[28:29], s[24:25]
; %bb.106:                              ;   in Loop: Header=BB5_86 Depth=2
	v_mad_i64_i32 v[4:5], s[24:25], v8, v52, 0
; %bb.107:                              ;   in Loop: Header=BB5_86 Depth=2
	s_or_b64 exec, exec, s[28:29]
	v_lshl_add_u64 v[4:5], v[12:13], 0, v[4:5]
	ds_write_b64 v0, v[4:5] offset:792
	v_and_b32_e32 v4, 0x2000, v62
	v_cmp_ne_u32_e32 vcc, 0, v4
	s_and_saveexec_b64 s[24:25], vcc
	s_cbranch_execz .LBB5_109
; %bb.108:                              ;   in Loop: Header=BB5_86 Depth=2
	ds_read_b64 v[4:5], v0 offset:584
	s_waitcnt lgkmcnt(0)
	v_lshl_add_u64 v[4:5], v[4:5], 0, 1
	ds_write_b64 v0, v[4:5] offset:584
.LBB5_109:                              ;   in Loop: Header=BB5_86 Depth=2
	s_or_b64 exec, exec, s[24:25]
	v_mov_b64_e32 v[50:51], v[2:3]
.LBB5_110:                              ;   in Loop: Header=BB5_86 Depth=2
	s_or_b64 exec, exec, s[26:27]
	s_and_saveexec_b64 s[24:25], s[4:5]
	s_cbranch_execz .LBB5_129
; %bb.111:                              ;   in Loop: Header=BB5_86 Depth=2
	s_and_saveexec_b64 s[26:27], s[40:41]
	s_xor_b64 s[26:27], exec, s[26:27]
	s_cbranch_execz .LBB5_126
; %bb.112:                              ;   in Loop: Header=BB5_86 Depth=2
	s_and_saveexec_b64 s[28:29], s[12:13]
	s_cbranch_execz .LBB5_125
; %bb.113:                              ;   in Loop: Header=BB5_86 Depth=2
	s_mov_b64 s[60:61], exec
	v_mbcnt_lo_u32_b32 v2, s60, 0
	v_mbcnt_hi_u32_b32 v2, s61, v2
	v_cmp_eq_u32_e32 vcc, 0, v2
	s_waitcnt lgkmcnt(0)
	s_and_saveexec_b64 s[58:59], vcc
	s_cbranch_execz .LBB5_115
; %bb.114:                              ;   in Loop: Header=BB5_86 Depth=2
	s_bcnt1_i32_b64 vcc_lo, s[60:61]
	v_mov_b32_e32 v38, vcc_lo
	ds_add_u64 v0, v[38:39]
	s_trap 2
.LBB5_115:                              ;   in Loop: Header=BB5_86 Depth=2
	s_or_b64 exec, exec, s[58:59]
	s_trap 2
	ds_read_b64 v[2:3], v0
	v_lshl_add_u64 v[14:15], v[14:15], 0, v[48:49]
	s_waitcnt lgkmcnt(0)
	v_cmp_lt_u64_e32 vcc, v[2:3], v[14:15]
	s_and_saveexec_b64 s[58:59], vcc
	s_cbranch_execz .LBB5_124
; %bb.116:                              ;   in Loop: Header=BB5_86 Depth=2
	s_mov_b32 s77, 0
	s_mov_b64 s[60:61], 0
                                        ; implicit-def: $sgpr62_sgpr63
                                        ; implicit-def: $sgpr64_sgpr65
	s_branch .LBB5_118
.LBB5_117:                              ;   in Loop: Header=BB5_118 Depth=3
	s_or_b64 exec, exec, s[68:69]
	s_and_b64 vcc, exec, vcc
	s_or_b64 s[60:61], vcc, s[60:61]
	s_andn2_b64 vcc, s[62:63], exec
	s_and_b64 s[62:63], s[64:65], exec
	s_or_b64 s[62:63], vcc, s[62:63]
	s_andn2_b64 exec, exec, s[60:61]
	s_cbranch_execz .LBB5_122
.LBB5_118:                              ;   Parent Loop BB5_81 Depth=1
                                        ;     Parent Loop BB5_86 Depth=2
                                        ; =>    This Inner Loop Header: Depth=3
	s_add_i32 s77, s77, 1
	s_cmpk_lg_i32 s77, 0x2710
	s_cselect_b64 s[66:67], -1, 0
	s_and_b64 vcc, exec, s[66:67]
                                        ; implicit-def: $sgpr68_sgpr69
	s_cbranch_vccnz .LBB5_120
; %bb.119:                              ;   in Loop: Header=BB5_118 Depth=3
	s_trap 2
	ds_read_b64 v[2:3], v0
	s_andn2_b64 s[66:67], s[66:67], exec
	s_mov_b32 s77, 0
	s_mov_b64 s[68:69], -1
	s_waitcnt lgkmcnt(0)
	flat_load_dword v2, v[2:3] sc0 sc1
	s_waitcnt vmcnt(0) lgkmcnt(0)
	buffer_inv sc0 sc1
	v_cmp_eq_u32_e32 vcc, 0, v2
	s_and_b64 vcc, vcc, exec
	s_or_b64 s[66:67], s[66:67], vcc
.LBB5_120:                              ;   in Loop: Header=BB5_118 Depth=3
	s_andn2_b64 s[64:65], s[64:65], exec
	s_and_b64 s[68:69], s[68:69], exec
	s_mov_b64 vcc, -1
	s_or_b64 s[64:65], s[64:65], s[68:69]
	s_and_saveexec_b64 s[68:69], s[66:67]
	s_cbranch_execz .LBB5_117
; %bb.121:                              ;   in Loop: Header=BB5_118 Depth=3
	s_sleep 1
	s_trap 2
	ds_read_b64 v[2:3], v0
	s_andn2_b64 s[64:65], s[64:65], exec
	s_waitcnt lgkmcnt(0)
	v_cmp_ge_u64_e32 vcc, v[2:3], v[14:15]
	s_orn2_b64 vcc, vcc, exec
	s_branch .LBB5_117
.LBB5_122:                              ;   in Loop: Header=BB5_86 Depth=2
	s_or_b64 exec, exec, s[60:61]
	s_and_saveexec_b64 vcc, s[62:63]
	s_xor_b64 vcc, exec, vcc
	s_cbranch_execz .LBB5_124
; %bb.123:                              ;   in Loop: Header=BB5_86 Depth=2
	ds_write_b32 v0, v25
	s_trap 2
.LBB5_124:                              ;   in Loop: Header=BB5_86 Depth=2
	s_or_b64 exec, exec, s[58:59]
	;;#ASMSTART
	s_wakeup
	;;#ASMEND
.LBB5_125:                              ;   in Loop: Header=BB5_86 Depth=2
	s_or_b64 exec, exec, s[28:29]
.LBB5_126:                              ;   in Loop: Header=BB5_86 Depth=2
	s_andn2_saveexec_b64 s[26:27], s[26:27]
	s_cbranch_execz .LBB5_128
; %bb.127:                              ;   in Loop: Header=BB5_86 Depth=2
	s_waitcnt lgkmcnt(0)
	s_barrier
.LBB5_128:                              ;   in Loop: Header=BB5_86 Depth=2
	s_or_b64 exec, exec, s[26:27]
.LBB5_129:                              ;   in Loop: Header=BB5_86 Depth=2
	s_or_b64 exec, exec, s[24:25]
	s_trap 2
	ds_read_b32 v2, v0
	v_and_b32_e32 v3, 0x4000, v62
	v_cmp_ne_u32_e32 vcc, 0, v3
	s_xor_b64 s[24:25], s[2:3], -1
	s_and_b64 s[26:27], s[24:25], vcc
	s_and_saveexec_b64 s[24:25], s[26:27]
	s_cbranch_execz .LBB5_148
; %bb.130:                              ;   in Loop: Header=BB5_86 Depth=2
	s_and_saveexec_b64 s[26:27], s[40:41]
	s_xor_b64 s[26:27], exec, s[26:27]
	s_cbranch_execz .LBB5_145
; %bb.131:                              ;   in Loop: Header=BB5_86 Depth=2
	s_and_saveexec_b64 s[28:29], s[12:13]
	s_cbranch_execz .LBB5_144
; %bb.132:                              ;   in Loop: Header=BB5_86 Depth=2
	s_mov_b64 s[60:61], exec
	v_mbcnt_lo_u32_b32 v3, s60, 0
	v_mbcnt_hi_u32_b32 v3, s61, v3
	v_cmp_eq_u32_e32 vcc, 0, v3
	s_waitcnt lgkmcnt(0)
	s_and_saveexec_b64 s[58:59], vcc
	s_cbranch_execz .LBB5_134
; %bb.133:                              ;   in Loop: Header=BB5_86 Depth=2
	s_bcnt1_i32_b64 vcc_lo, s[60:61]
	v_mov_b32_e32 v38, vcc_lo
	ds_add_u64 v0, v[38:39]
	s_trap 2
.LBB5_134:                              ;   in Loop: Header=BB5_86 Depth=2
	s_or_b64 exec, exec, s[58:59]
	s_trap 2
	ds_read_b64 v[4:5], v0
	v_lshl_add_u64 v[14:15], v[14:15], 0, v[48:49]
	s_waitcnt lgkmcnt(0)
	v_cmp_lt_u64_e32 vcc, v[4:5], v[14:15]
	s_and_saveexec_b64 s[58:59], vcc
	s_cbranch_execz .LBB5_143
; %bb.135:                              ;   in Loop: Header=BB5_86 Depth=2
	s_mov_b32 s77, 0
	s_mov_b64 s[60:61], 0
                                        ; implicit-def: $sgpr62_sgpr63
                                        ; implicit-def: $sgpr64_sgpr65
	s_branch .LBB5_137
.LBB5_136:                              ;   in Loop: Header=BB5_137 Depth=3
	s_or_b64 exec, exec, s[68:69]
	s_and_b64 vcc, exec, vcc
	s_or_b64 s[60:61], vcc, s[60:61]
	s_andn2_b64 vcc, s[62:63], exec
	s_and_b64 s[62:63], s[64:65], exec
	s_or_b64 s[62:63], vcc, s[62:63]
	s_andn2_b64 exec, exec, s[60:61]
	s_cbranch_execz .LBB5_141
.LBB5_137:                              ;   Parent Loop BB5_81 Depth=1
                                        ;     Parent Loop BB5_86 Depth=2
                                        ; =>    This Inner Loop Header: Depth=3
	s_add_i32 s77, s77, 1
	s_cmpk_lg_i32 s77, 0x2710
	s_cselect_b64 s[66:67], -1, 0
	s_and_b64 vcc, exec, s[66:67]
                                        ; implicit-def: $sgpr68_sgpr69
	s_cbranch_vccnz .LBB5_139
; %bb.138:                              ;   in Loop: Header=BB5_137 Depth=3
	s_trap 2
	ds_read_b64 v[4:5], v0
	s_andn2_b64 s[66:67], s[66:67], exec
	s_mov_b32 s77, 0
	s_mov_b64 s[68:69], -1
	s_waitcnt lgkmcnt(0)
	flat_load_dword v3, v[4:5] sc0 sc1
	s_waitcnt vmcnt(0) lgkmcnt(0)
	buffer_inv sc0 sc1
	v_cmp_eq_u32_e32 vcc, 0, v3
	s_and_b64 vcc, vcc, exec
	s_or_b64 s[66:67], s[66:67], vcc
.LBB5_139:                              ;   in Loop: Header=BB5_137 Depth=3
	s_andn2_b64 s[64:65], s[64:65], exec
	s_and_b64 s[68:69], s[68:69], exec
	s_mov_b64 vcc, -1
	s_or_b64 s[64:65], s[64:65], s[68:69]
	s_and_saveexec_b64 s[68:69], s[66:67]
	s_cbranch_execz .LBB5_136
; %bb.140:                              ;   in Loop: Header=BB5_137 Depth=3
	s_sleep 1
	s_trap 2
	ds_read_b64 v[4:5], v0
	s_andn2_b64 s[64:65], s[64:65], exec
	s_waitcnt lgkmcnt(0)
	v_cmp_ge_u64_e32 vcc, v[4:5], v[14:15]
	s_orn2_b64 vcc, vcc, exec
	s_branch .LBB5_136
.LBB5_141:                              ;   in Loop: Header=BB5_86 Depth=2
	s_or_b64 exec, exec, s[60:61]
	s_and_saveexec_b64 vcc, s[62:63]
	s_xor_b64 vcc, exec, vcc
	s_cbranch_execz .LBB5_143
; %bb.142:                              ;   in Loop: Header=BB5_86 Depth=2
	ds_write_b32 v0, v25
	s_trap 2
.LBB5_143:                              ;   in Loop: Header=BB5_86 Depth=2
	s_or_b64 exec, exec, s[58:59]
	;;#ASMSTART
	s_wakeup
	;;#ASMEND
.LBB5_144:                              ;   in Loop: Header=BB5_86 Depth=2
	s_or_b64 exec, exec, s[28:29]
.LBB5_145:                              ;   in Loop: Header=BB5_86 Depth=2
	s_andn2_saveexec_b64 s[26:27], s[26:27]
	s_cbranch_execz .LBB5_147
; %bb.146:                              ;   in Loop: Header=BB5_86 Depth=2
	s_waitcnt lgkmcnt(0)
	s_barrier
.LBB5_147:                              ;   in Loop: Header=BB5_86 Depth=2
	s_or_b64 exec, exec, s[26:27]
.LBB5_148:                              ;   in Loop: Header=BB5_86 Depth=2
	s_or_b64 exec, exec, s[24:25]
	s_trap 2
	ds_read_b64 v[4:5], v0
	v_mov_b32_e32 v41, 0
	s_waitcnt lgkmcnt(0)
	v_readfirstlane_b32 s24, v4
	v_readfirstlane_b32 s25, v5
	s_cmp_eq_u64 s[24:25], 0
	s_cselect_b64 s[24:25], -1, 0
	s_or_b64 s[24:25], s[24:25], s[24:25]
	s_and_b64 vcc, exec, s[24:25]
	s_cbranch_vccnz .LBB5_215
; %bb.149:                              ;   in Loop: Header=BB5_86 Depth=2
	s_trap 2
	ds_read_b64 v[4:5], v0
	v_cmp_eq_u32_e64 s[24:25], 0, v2
	s_waitcnt lgkmcnt(0)
	v_cmp_ne_u64_e32 vcc, 0, v[4:5]
	v_cndmask_b32_e64 v41, 0, v46, s[24:25]
	s_mov_b64 s[24:25], -1
	s_cbranch_vccz .LBB5_185
; %bb.150:                              ;   in Loop: Header=BB5_86 Depth=2
	s_and_saveexec_b64 s[26:27], s[14:15]
	s_cbranch_execz .LBB5_152
; %bb.151:                              ;   in Loop: Header=BB5_86 Depth=2
	ds_read_b32 v2, v0 offset:720
	s_waitcnt lgkmcnt(0)
	v_and_b32_e32 v2, 15, v2
	v_cmp_eq_u32_e32 vcc, 0, v2
	s_orn2_b64 s[24:25], vcc, exec
.LBB5_152:                              ;   in Loop: Header=BB5_86 Depth=2
	s_or_b64 exec, exec, s[26:27]
	s_and_saveexec_b64 s[26:27], s[16:17]
	s_cbranch_execz .LBB5_154
; %bb.153:                              ;   in Loop: Header=BB5_86 Depth=2
	ds_read_b32 v2, v0 offset:784
	s_waitcnt lgkmcnt(0)
	v_and_b32_e32 v2, 15, v2
	v_cmp_eq_u32_e32 vcc, 0, v2
	s_and_b64 s[28:29], s[24:25], vcc
	s_andn2_b64 s[24:25], s[24:25], exec
	s_and_b64 s[28:29], s[28:29], exec
	s_or_b64 s[24:25], s[24:25], s[28:29]
.LBB5_154:                              ;   in Loop: Header=BB5_86 Depth=2
	s_or_b64 exec, exec, s[26:27]
	s_xor_b64 s[24:25], s[24:25], -1
	v_cndmask_b32_e64 v2, 0, 1, s[24:25]
	;;#ASMSTART
	;;#ASMEND
	s_mov_b64 s[26:27], -1
	v_cmp_ne_u32_e32 vcc, 0, v2
	v_mov_b32_e32 v6, 0
	v_mov_b32_e32 v7, v41
	;; [unrolled: 1-line block ×4, first 2 shown]
	s_cbranch_vccz .LBB5_156
; %bb.155:                              ;   in Loop: Header=BB5_86 Depth=2
	s_and_saveexec_b64 s[28:29], s[26:27]
	s_cbranch_execnz .LBB5_173
	s_branch .LBB5_184
.LBB5_156:                              ;   in Loop: Header=BB5_86 Depth=2
	v_accvgpr_read_b32 v2, a22
	v_sub_u32_e32 v31, v41, v2
	v_ashrrev_i32_e32 v2, 31, v41
	v_lshrrev_b32_e32 v2, 22, v2
	v_add_u32_e32 v2, v41, v2
	v_and_b32_e32 v20, 0xfffffc00, v2
	v_accvgpr_read_b32 v3, a23
	v_sub_u32_e32 v30, v41, v20
	v_ashrrev_i32_e32 v3, 10, v2
	v_cmp_lt_i32_e64 s[24:25], 15, v30
	v_accvgpr_read_b32 v2, a32
	s_nop 0
	v_addc_co_u32_e64 v21, vcc, v3, v2, s[24:25]
	v_cmp_lt_i32_e32 vcc, 15, v31
	s_and_saveexec_b64 s[58:59], vcc
	s_cbranch_execz .LBB5_162
; %bb.157:                              ;   in Loop: Header=BB5_86 Depth=2
	s_trap 2
	ds_read_b64 v[6:7], v0
	ds_read_b128 v[2:5], v0
	v_accvgpr_read_b32 v29, a23
	v_accvgpr_read_b32 v28, a22
	s_mov_b64 s[60:61], 0
	s_waitcnt lgkmcnt(0)
	v_lshl_add_u64 v[8:9], v[6:7], 0, v[28:29]
	s_waitcnt lgkmcnt(0)
	v_lshl_add_u64 v[10:11], v[2:3], 0, v[28:29]
	v_lshl_add_u64 v[6:7], v[4:5], 0, v[28:29]
.LBB5_158:                              ;   Parent Loop BB5_81 Depth=1
                                        ;     Parent Loop BB5_86 Depth=2
                                        ; =>    This Loop Header: Depth=3
                                        ;         Child Loop BB5_159 Depth 4
	global_load_dwordx4 v[2:5], v[8:9], off nt
	s_mov_b64 s[64:65], -1
	s_mov_b64 s[62:63], 0
	s_waitcnt vmcnt(0)
.LBB5_159:                              ;   Parent Loop BB5_81 Depth=1
                                        ;     Parent Loop BB5_86 Depth=2
                                        ;       Parent Loop BB5_158 Depth=3
                                        ; =>      This Inner Loop Header: Depth=4
	s_cmp_eq_u32 s62, 0
	s_cselect_b64 s[26:27], -1, 0
	s_cmp_eq_u32 s62, 1
	v_cndmask_b32_e64 v28, 0, 1, s[64:65]
	s_cselect_b64 s[28:29], -1, 0
	v_cmp_ne_u32_e32 vcc, 1, v28
	v_cndmask_b32_e64 v29, v11, v7, s[28:29]
	v_cndmask_b32_e64 v28, v10, v6, s[28:29]
	global_store_dwordx4 v[28:29], v[2:5], off nt
	v_lshl_add_u64 v[28:29], v[28:29], 0, s[42:43]
	s_mov_b64 s[64:65], 0
	s_mov_b64 s[62:63], 1
	s_and_b64 vcc, exec, vcc
	v_cndmask_b32_e64 v7, v7, v29, s[28:29]
	v_cndmask_b32_e64 v6, v6, v28, s[28:29]
	;; [unrolled: 1-line block ×4, first 2 shown]
	s_cbranch_vccz .LBB5_159
; %bb.160:                              ;   in Loop: Header=BB5_158 Depth=3
	v_sub_u32_e32 v31, v31, v16
	v_cmp_gt_i32_e32 vcc, 16, v31
	v_lshl_add_u64 v[10:11], v[10:11], 0, v[44:45]
	v_lshl_add_u64 v[6:7], v[6:7], 0, v[44:45]
	;; [unrolled: 1-line block ×3, first 2 shown]
	s_or_b64 s[60:61], vcc, s[60:61]
	v_sub_u32_e32 v21, v21, v48
	s_andn2_b64 exec, exec, s[60:61]
	s_cbranch_execnz .LBB5_158
; %bb.161:                              ;   in Loop: Header=BB5_86 Depth=2
	s_or_b64 exec, exec, s[60:61]
.LBB5_162:                              ;   in Loop: Header=BB5_86 Depth=2
	s_or_b64 exec, exec, s[58:59]
	v_and_b32_e32 v3, 15, v41
	v_cndmask_b32_e64 v47, v30, v3, s[24:25]
	v_cmp_ne_u32_e32 vcc, 0, v47
	s_mov_b64 s[26:27], 0
	v_mov_b32_e32 v6, 0
                                        ; implicit-def: $vgpr7
                                        ; implicit-def: $vgpr10
                                        ; implicit-def: $vgpr2
	s_and_saveexec_b64 s[58:59], vcc
	s_cbranch_execz .LBB5_172
; %bb.163:                              ;   in Loop: Header=BB5_86 Depth=2
	v_sub_u32_e32 v2, v30, v3
	v_cndmask_b32_e64 v2, 0, v2, s[24:25]
	v_cmp_lt_i32_e32 vcc, 0, v21
	v_add_u32_e32 v32, v2, v20
	v_accvgpr_read_b32 v3, a31
	v_cndmask_b32_e32 v2, 0, v48, vcc
	v_sub_u32_e32 v2, v2, v21
	v_lshl_add_u32 v2, v2, 6, v3
	v_ashrrev_i32_e32 v3, 31, v2
	v_lshrrev_b32_e32 v3, 26, v3
	v_add_u32_e32 v3, v2, v3
	v_ashrrev_i32_e32 v4, 6, v3
	v_and_b32_e32 v3, 0xffffffc0, v3
	v_sub_u32_e32 v55, v2, v3
	v_ashrrev_i32_e32 v3, 31, v47
	v_lshrrev_b32_e32 v3, 22, v3
	v_add_u32_e32 v3, v47, v3
	v_and_b32_e32 v38, 0xfffffc00, v3
	v_lshlrev_b32_e32 v2, 4, v55
	v_sub_u32_e32 v31, v47, v38
	v_lshl_add_u32 v2, v4, 10, v2
	v_ashrrev_i32_e32 v5, 10, v3
	v_cmp_lt_i32_e64 s[24:25], 15, v31
	v_sub_u32_e32 v20, v47, v2
	s_nop 0
	v_addc_co_u32_e64 v3, vcc, 0, v5, s[24:25]
	v_sub_u32_e32 v30, v3, v4
	v_cmp_lt_i32_e32 vcc, 15, v20
	s_and_saveexec_b64 s[60:61], vcc
	s_cbranch_execz .LBB5_169
; %bb.164:                              ;   in Loop: Header=BB5_86 Depth=2
	s_trap 2
	ds_read_b64 v[8:9], v0
	ds_read_b128 v[4:7], v0
	v_add_u32_e32 v2, v2, v32
	v_ashrrev_i32_e32 v3, 31, v2
	s_mov_b64 s[62:63], 0
	s_waitcnt lgkmcnt(0)
	v_lshl_add_u64 v[8:9], v[8:9], 0, v[2:3]
	s_waitcnt lgkmcnt(0)
	v_lshl_add_u64 v[10:11], v[4:5], 0, v[2:3]
	v_lshl_add_u64 v[6:7], v[6:7], 0, v[2:3]
.LBB5_165:                              ;   Parent Loop BB5_81 Depth=1
                                        ;     Parent Loop BB5_86 Depth=2
                                        ; =>    This Loop Header: Depth=3
                                        ;         Child Loop BB5_166 Depth 4
	global_load_dwordx4 v[2:5], v[8:9], off nt
	s_mov_b64 s[66:67], -1
	s_mov_b64 s[64:65], 0
	s_waitcnt vmcnt(0)
.LBB5_166:                              ;   Parent Loop BB5_81 Depth=1
                                        ;     Parent Loop BB5_86 Depth=2
                                        ;       Parent Loop BB5_165 Depth=3
                                        ; =>      This Inner Loop Header: Depth=4
	s_cmp_eq_u32 s64, 0
	s_cselect_b64 s[26:27], -1, 0
	s_cmp_eq_u32 s64, 1
	s_cselect_b64 s[28:29], -1, 0
	v_cndmask_b32_e64 v21, 0, 1, s[66:67]
	v_cndmask_b32_e64 v29, v11, v7, s[28:29]
	;; [unrolled: 1-line block ×3, first 2 shown]
	v_cmp_ne_u32_e32 vcc, 1, v21
	global_store_dwordx4 v[28:29], v[2:5], off nt
	v_lshl_add_u64 v[28:29], v[28:29], 0, s[42:43]
	s_mov_b64 s[66:67], 0
	s_mov_b64 s[64:65], 1
	s_and_b64 vcc, exec, vcc
	v_cndmask_b32_e64 v7, v7, v29, s[28:29]
	v_cndmask_b32_e64 v6, v6, v28, s[28:29]
	;; [unrolled: 1-line block ×4, first 2 shown]
	s_cbranch_vccz .LBB5_166
; %bb.167:                              ;   in Loop: Header=BB5_165 Depth=3
	v_sub_u32_e32 v20, v20, v16
	v_cmp_gt_i32_e32 vcc, 16, v20
	v_lshl_add_u64 v[10:11], v[10:11], 0, v[44:45]
	v_lshl_add_u64 v[6:7], v[6:7], 0, v[44:45]
	;; [unrolled: 1-line block ×3, first 2 shown]
	s_or_b64 s[62:63], vcc, s[62:63]
	v_sub_u32_e32 v30, v30, v48
	s_andn2_b64 exec, exec, s[62:63]
	s_cbranch_execnz .LBB5_165
; %bb.168:                              ;   in Loop: Header=BB5_86 Depth=2
	s_or_b64 exec, exec, s[62:63]
.LBB5_169:                              ;   in Loop: Header=BB5_86 Depth=2
	s_or_b64 exec, exec, s[60:61]
	v_and_b32_e32 v3, 15, v47
	v_cndmask_b32_e64 v7, v31, v3, s[24:25]
	v_cmp_ne_u32_e32 vcc, 0, v7
	s_mov_b64 s[26:27], 0
	v_mov_b32_e32 v6, 0
                                        ; implicit-def: $vgpr10
                                        ; implicit-def: $vgpr2
	s_and_saveexec_b64 s[28:29], vcc
	s_cbranch_execz .LBB5_171
; %bb.170:                              ;   in Loop: Header=BB5_86 Depth=2
	v_sub_u32_e32 v2, v31, v3
	v_cndmask_b32_e64 v2, 0, v2, s[24:25]
	v_cmp_lt_i32_e32 vcc, 0, v30
	v_add3_u32 v6, v38, v32, v2
	s_mov_b64 s[26:27], exec
	v_cndmask_b32_e32 v2, 0, v48, vcc
	v_sub_u32_e32 v2, v2, v30
	v_lshl_add_u32 v10, v2, 6, v55
	v_ashrrev_i32_e32 v2, 31, v10
	v_lshrrev_b32_e32 v2, 26, v2
	v_add_u32_e32 v2, v10, v2
	v_ashrrev_i32_e32 v2, 6, v2
.LBB5_171:                              ;   in Loop: Header=BB5_86 Depth=2
	s_or_b64 exec, exec, s[28:29]
	s_and_b64 s[26:27], s[26:27], exec
.LBB5_172:                              ;   in Loop: Header=BB5_86 Depth=2
	s_or_b64 exec, exec, s[58:59]
	s_and_saveexec_b64 s[28:29], s[26:27]
	s_cbranch_execz .LBB5_184
.LBB5_173:                              ;   in Loop: Header=BB5_86 Depth=2
	v_ashrrev_i32_e32 v3, 31, v7
	v_lshrrev_b32_e32 v3, 23, v3
	v_add_u32_e32 v3, v7, v3
	v_ashrrev_i32_e32 v38, 9, v3
	v_sub_u32_e32 v11, v38, v2
	v_cmp_lt_i32_e32 vcc, 0, v11
	s_and_saveexec_b64 s[24:25], vcc
	s_cbranch_execz .LBB5_177
; %bb.174:                              ;   in Loop: Header=BB5_86 Depth=2
	v_ashrrev_i32_e32 v3, 31, v10
	v_lshrrev_b32_e32 v3, 26, v3
	s_trap 2
	v_add_u32_e32 v3, v10, v3
	ds_read_b64 v[8:9], v0
	ds_read_b128 v[28:31], v0
	v_and_b32_e32 v3, 0xffffffc0, v3
	v_sub_u32_e32 v3, v10, v3
	v_lshlrev_b32_e32 v2, 9, v2
	v_add3_u32 v20, v6, v3, v2
	v_ashrrev_i32_e32 v21, 31, v20
	s_waitcnt lgkmcnt(0)
	v_lshl_add_u64 v[8:9], v[8:9], 0, s[44:45]
	s_waitcnt lgkmcnt(0)
	v_lshl_add_u64 v[2:3], v[28:29], 0, v[20:21]
	v_lshl_add_u64 v[4:5], v[30:31], 0, v[20:21]
	v_lshl_add_u64 v[8:9], v[8:9], 0, v[20:21]
	s_mov_b64 s[26:27], 0
.LBB5_175:                              ;   Parent Loop BB5_81 Depth=1
                                        ;     Parent Loop BB5_86 Depth=2
                                        ; =>    This Inner Loop Header: Depth=3
	v_add_co_u32_e32 v20, vcc, 0xfffffe40, v8
	flat_load_ubyte v30, v[8:9] nt
	s_nop 0
	v_addc_co_u32_e32 v21, vcc, -1, v9, vcc
	v_add_co_u32_e32 v28, vcc, 0xfffffe80, v8
	flat_load_ubyte v31, v[20:21] nt
	s_nop 0
	v_addc_co_u32_e32 v29, vcc, -1, v9, vcc
	;; [unrolled: 4-line block ×7, first 2 shown]
	flat_load_ubyte v20, v[20:21] nt
	v_sub_u32_e32 v11, v11, v48
	v_cmp_gt_i32_e32 vcc, 1, v11
	s_or_b64 s[26:27], vcc, s[26:27]
	v_lshl_add_u64 v[8:9], v[8:9], 0, v[56:57]
	s_waitcnt vmcnt(0) lgkmcnt(0)
	flat_store_byte v[2:3], v30 offset:448 nt
	flat_store_byte v[2:3], v31 nt
	flat_store_byte v[2:3], v32 offset:64 nt
	flat_store_byte v[2:3], v33 offset:128 nt
	;; [unrolled: 1-line block ×6, first 2 shown]
	flat_store_byte v[4:5], v31 nt
	flat_store_byte v[4:5], v32 offset:64 nt
	flat_store_byte v[4:5], v33 offset:128 nt
	flat_store_byte v[4:5], v34 offset:192 nt
	flat_store_byte v[4:5], v35 offset:256 nt
	flat_store_byte v[4:5], v28 offset:320 nt
	flat_store_byte v[4:5], v20 offset:384 nt
	flat_store_byte v[4:5], v30 offset:448 nt
	v_lshl_add_u64 v[2:3], v[2:3], 0, v[56:57]
	v_lshl_add_u64 v[4:5], v[4:5], 0, v[56:57]
	s_andn2_b64 exec, exec, s[26:27]
	s_cbranch_execnz .LBB5_175
; %bb.176:                              ;   in Loop: Header=BB5_86 Depth=2
	s_or_b64 exec, exec, s[26:27]
	v_accvgpr_read_b32 v35, a7
	v_accvgpr_read_b32 v34, a30
.LBB5_177:                              ;   in Loop: Header=BB5_86 Depth=2
	s_or_b64 exec, exec, s[24:25]
	v_lshlrev_b32_e32 v2, 9, v38
	v_cmp_ne_u32_e32 vcc, v7, v2
	s_and_saveexec_b64 s[58:59], vcc
	s_cbranch_execz .LBB5_183
; %bb.178:                              ;   in Loop: Header=BB5_86 Depth=2
	v_ashrrev_i32_e32 v3, 31, v10
	v_lshrrev_b32_e32 v3, 26, v3
	v_add_u32_e32 v3, v10, v3
	v_and_b32_e32 v3, 0xffffffc0, v3
	v_sub_u32_e32 v3, v10, v3
	v_lshlrev_b32_e32 v4, 6, v11
	v_sub_u32_e32 v3, v3, v4
	v_add_u32_e32 v2, v2, v3
	v_sub_u32_e32 v8, v7, v2
	v_cmp_lt_i32_e32 vcc, 0, v8
	s_and_b64 exec, exec, vcc
	s_cbranch_execz .LBB5_183
; %bb.179:                              ;   in Loop: Header=BB5_86 Depth=2
	s_trap 2
	ds_read_b64 v[4:5], v0
	ds_read_b128 v[28:31], v0
	v_add_u32_e32 v6, v2, v6
	v_ashrrev_i32_e32 v7, 31, v6
	s_mov_b64 s[60:61], 0
	s_waitcnt lgkmcnt(0)
	v_lshl_add_u64 v[2:3], v[4:5], 0, v[6:7]
	v_lshl_add_u64 v[4:5], v[28:29], 0, v[6:7]
	;; [unrolled: 1-line block ×3, first 2 shown]
.LBB5_180:                              ;   Parent Loop BB5_81 Depth=1
                                        ;     Parent Loop BB5_86 Depth=2
                                        ; =>    This Loop Header: Depth=3
                                        ;         Child Loop BB5_181 Depth 4
	flat_load_ubyte v9, v[2:3] nt
	s_mov_b64 s[62:63], -1
	s_mov_b64 s[64:65], 0
	s_waitcnt vmcnt(0)
.LBB5_181:                              ;   Parent Loop BB5_81 Depth=1
                                        ;     Parent Loop BB5_86 Depth=2
                                        ;       Parent Loop BB5_180 Depth=3
                                        ; =>      This Inner Loop Header: Depth=4
	s_cmp_eq_u32 s64, 1
	s_cselect_b64 vcc, -1, 0
	v_cndmask_b32_e32 v11, v5, v7, vcc
	s_cmp_eq_u32 s64, 0
	v_cndmask_b32_e32 v10, v4, v6, vcc
	s_waitcnt lgkmcnt(0)
	flat_store_byte v[10:11], v9 nt
	v_lshl_add_u64 v[10:11], v[10:11], 0, 64
	s_cselect_b64 s[24:25], -1, 0
	s_and_b64 s[26:27], exec, s[62:63]
	s_mov_b64 s[64:65], 1
	s_mov_b64 s[62:63], 0
	v_cndmask_b32_e32 v7, v7, v11, vcc
	v_cndmask_b32_e32 v6, v6, v10, vcc
	v_cndmask_b32_e64 v5, v5, v11, s[24:25]
	v_cndmask_b32_e64 v4, v4, v10, s[24:25]
	s_mov_b64 vcc, s[26:27]
	s_cbranch_vccnz .LBB5_181
; %bb.182:                              ;   in Loop: Header=BB5_180 Depth=3
	v_sub_u32_e32 v8, v8, v24
	v_cmp_gt_i32_e32 vcc, 1, v8
	v_lshl_add_u64 v[4:5], v[4:5], 0, v[42:43]
	v_lshl_add_u64 v[6:7], v[6:7], 0, v[42:43]
	s_or_b64 s[60:61], vcc, s[60:61]
	v_lshl_add_u64 v[2:3], v[58:59], 0, v[2:3]
	s_andn2_b64 exec, exec, s[60:61]
	s_cbranch_execnz .LBB5_180
.LBB5_183:                              ;   in Loop: Header=BB5_86 Depth=2
	s_or_b64 exec, exec, s[58:59]
.LBB5_184:                              ;   in Loop: Header=BB5_86 Depth=2
	s_or_b64 exec, exec, s[28:29]
	s_mov_b64 s[24:25], 0
.LBB5_185:                              ;   in Loop: Header=BB5_86 Depth=2
	s_and_b64 vcc, exec, s[24:25]
	s_cbranch_vccz .LBB5_215
; %bb.186:                              ;   in Loop: Header=BB5_86 Depth=2
	s_mov_b64 s[24:25], -1
	s_and_saveexec_b64 s[26:27], s[14:15]
	s_cbranch_execz .LBB5_188
; %bb.187:                              ;   in Loop: Header=BB5_86 Depth=2
	ds_read_b32 v2, v0 offset:720
	s_waitcnt lgkmcnt(0)
	v_and_b32_e32 v2, 15, v2
	v_cmp_eq_u32_e32 vcc, 0, v2
	s_orn2_b64 s[24:25], vcc, exec
.LBB5_188:                              ;   in Loop: Header=BB5_86 Depth=2
	s_or_b64 exec, exec, s[26:27]
	s_and_saveexec_b64 s[26:27], s[14:15]
	s_cbranch_execz .LBB5_190
; %bb.189:                              ;   in Loop: Header=BB5_86 Depth=2
	ds_read_b32 v2, v0 offset:784
	s_waitcnt lgkmcnt(0)
	v_and_b32_e32 v2, 15, v2
	v_cmp_eq_u32_e32 vcc, 0, v2
	s_and_b64 s[28:29], s[24:25], vcc
	s_andn2_b64 s[24:25], s[24:25], exec
	s_and_b64 s[28:29], s[28:29], exec
	s_or_b64 s[24:25], s[24:25], s[28:29]
.LBB5_190:                              ;   in Loop: Header=BB5_86 Depth=2
	s_or_b64 exec, exec, s[26:27]
	s_xor_b64 s[24:25], s[24:25], -1
	v_cndmask_b32_e64 v2, 0, 1, s[24:25]
	s_mov_b64 s[28:29], -1
	;;#ASMSTART
	;;#ASMEND
	v_mov_b32_e32 v8, 0
	v_cmp_ne_u32_e32 vcc, 0, v2
	v_mov_b32_e32 v9, v41
	v_mov_b32_e32 v10, v53
	;; [unrolled: 1-line block ×3, first 2 shown]
	s_cbranch_vccz .LBB5_192
; %bb.191:                              ;   in Loop: Header=BB5_86 Depth=2
	s_and_saveexec_b64 s[24:25], s[28:29]
	s_cbranch_execnz .LBB5_205
	s_branch .LBB5_214
.LBB5_192:                              ;   in Loop: Header=BB5_86 Depth=2
	v_ashrrev_i32_e32 v2, 31, v41
	v_lshrrev_b32_e32 v2, 21, v2
	v_add_u32_e32 v2, v41, v2
	v_ashrrev_i32_e32 v6, 11, v2
	v_sub_u32_e32 v7, v6, v34
	v_cmp_lt_i32_e32 vcc, 0, v7
	s_and_saveexec_b64 s[24:25], vcc
	s_cbranch_execz .LBB5_196
; %bb.193:                              ;   in Loop: Header=BB5_86 Depth=2
	s_trap 2
	ds_read_b64 v[2:3], v0
	v_accvgpr_read_b32 v4, a34
	s_mov_b64 s[26:27], 0
	v_accvgpr_read_b32 v5, a35
.LBB5_194:                              ;   Parent Loop BB5_81 Depth=1
                                        ;     Parent Loop BB5_86 Depth=2
                                        ; =>    This Inner Loop Header: Depth=3
	s_waitcnt lgkmcnt(0)
	v_lshl_add_u64 v[20:21], v[2:3], 0, v[4:5]
	global_load_dwordx4 v[8:11], v[20:21], off nt
	global_load_dwordx4 v[28:31], v[20:21], off offset:1024 nt
	v_sub_u32_e32 v7, v7, v48
	v_cmp_gt_i32_e32 vcc, 1, v7
	v_lshl_add_u64 v[4:5], v[4:5], 0, v[60:61]
	s_or_b64 s[26:27], vcc, s[26:27]
	s_waitcnt vmcnt(0)
	global_store_dwordx4 v[20:21], v[8:11], off nt
	global_store_dwordx4 v[20:21], v[28:31], off offset:1024 nt
	s_andn2_b64 exec, exec, s[26:27]
	s_cbranch_execnz .LBB5_194
; %bb.195:                              ;   in Loop: Header=BB5_86 Depth=2
	s_or_b64 exec, exec, s[26:27]
.LBB5_196:                              ;   in Loop: Header=BB5_86 Depth=2
	s_or_b64 exec, exec, s[24:25]
	v_lshlrev_b32_e32 v6, 11, v6
	v_cmp_ne_u32_e32 vcc, v41, v6
	s_mov_b64 s[28:29], 0
	v_mov_b32_e32 v8, 0
                                        ; implicit-def: $vgpr9
                                        ; implicit-def: $vgpr10
                                        ; implicit-def: $vgpr4
	s_and_saveexec_b64 s[26:27], vcc
	s_cbranch_execz .LBB5_204
; %bb.197:                              ;   in Loop: Header=BB5_86 Depth=2
	v_lshlrev_b32_e32 v3, 6, v7
	v_accvgpr_read_b32 v4, a31
	v_sub_u32_e32 v3, v4, v3
	v_ashrrev_i32_e32 v4, 31, v3
	v_lshrrev_b32_e32 v4, 26, v4
	v_add_u32_e32 v4, v3, v4
	v_ashrrev_i32_e32 v5, 6, v4
	v_and_b32_e32 v4, 0xffffffc0, v4
	v_sub_u32_e32 v7, v3, v4
	v_sub_u32_e32 v2, v41, v6
	v_lshlrev_b32_e32 v3, 4, v7
	v_lshl_add_u32 v4, v5, 10, v3
	v_ashrrev_i32_e32 v3, 31, v2
	v_lshrrev_b32_e32 v3, 22, v3
	v_add_u32_e32 v3, v2, v3
	v_and_b32_e32 v11, 0xfffffc00, v3
	v_sub_u32_e32 v21, v2, v11
	v_ashrrev_i32_e32 v9, 10, v3
	v_cmp_lt_i32_e32 vcc, 15, v21
	v_sub_u32_e32 v8, v2, v4
	s_nop 0
	v_addc_co_u32_e64 v2, s[24:25], 0, v9, vcc
	v_sub_u32_e32 v20, v2, v5
	v_cmp_lt_i32_e64 s[24:25], 15, v8
	s_and_saveexec_b64 s[28:29], s[24:25]
	s_cbranch_execz .LBB5_201
; %bb.198:                              ;   in Loop: Header=BB5_86 Depth=2
	s_trap 2
	ds_read_b64 v[2:3], v0
	v_add_u32_e32 v4, v4, v6
	v_ashrrev_i32_e32 v5, 31, v4
	s_mov_b64 s[58:59], 0
.LBB5_199:                              ;   Parent Loop BB5_81 Depth=1
                                        ;     Parent Loop BB5_86 Depth=2
                                        ; =>    This Inner Loop Header: Depth=3
	s_waitcnt lgkmcnt(0)
	v_lshl_add_u64 v[32:33], v[2:3], 0, v[4:5]
	global_load_dwordx4 v[28:31], v[32:33], off nt
	v_sub_u32_e32 v8, v8, v16
	v_cmp_gt_i32_e64 s[24:25], 16, v8
	v_sub_u32_e32 v20, v20, v48
	v_lshl_add_u64 v[4:5], v[4:5], 0, v[22:23]
	s_or_b64 s[58:59], s[24:25], s[58:59]
	s_waitcnt vmcnt(0)
	global_store_dwordx4 v[32:33], v[28:31], off nt
	s_andn2_b64 exec, exec, s[58:59]
	s_cbranch_execnz .LBB5_199
; %bb.200:                              ;   in Loop: Header=BB5_86 Depth=2
	s_or_b64 exec, exec, s[58:59]
.LBB5_201:                              ;   in Loop: Header=BB5_86 Depth=2
	s_or_b64 exec, exec, s[28:29]
	v_and_b32_e32 v2, 15, v41
	v_cndmask_b32_e32 v9, v21, v2, vcc
	v_cmp_ne_u32_e64 s[24:25], 0, v9
	s_mov_b64 s[28:29], 0
	v_mov_b32_e32 v8, 0
                                        ; implicit-def: $vgpr10
                                        ; implicit-def: $vgpr4
	s_and_saveexec_b64 s[58:59], s[24:25]
	s_cbranch_execz .LBB5_203
; %bb.202:                              ;   in Loop: Header=BB5_86 Depth=2
	v_sub_u32_e32 v2, v21, v2
	v_cndmask_b32_e32 v2, 0, v2, vcc
	v_cmp_lt_i32_e32 vcc, 0, v20
	v_add3_u32 v8, v11, v6, v2
	s_mov_b64 s[28:29], exec
	v_cndmask_b32_e32 v2, 0, v48, vcc
	v_sub_u32_e32 v2, v2, v20
	v_lshl_add_u32 v10, v2, 6, v7
	v_ashrrev_i32_e32 v2, 31, v10
	v_lshrrev_b32_e32 v2, 26, v2
	v_add_u32_e32 v2, v10, v2
	v_ashrrev_i32_e32 v4, 6, v2
.LBB5_203:                              ;   in Loop: Header=BB5_86 Depth=2
	s_or_b64 exec, exec, s[58:59]
	s_and_b64 s[28:29], s[28:29], exec
.LBB5_204:                              ;   in Loop: Header=BB5_86 Depth=2
	s_or_b64 exec, exec, s[26:27]
	s_and_saveexec_b64 s[24:25], s[28:29]
	s_cbranch_execz .LBB5_214
.LBB5_205:                              ;   in Loop: Header=BB5_86 Depth=2
	v_ashrrev_i32_e32 v2, 31, v9
	v_lshrrev_b32_e32 v2, 23, v2
	v_add_u32_e32 v2, v9, v2
	v_ashrrev_i32_e32 v20, 9, v2
	v_sub_u32_e32 v11, v20, v4
	v_cmp_lt_i32_e32 vcc, 0, v11
	s_and_saveexec_b64 s[26:27], vcc
	s_cbranch_execz .LBB5_209
; %bb.206:                              ;   in Loop: Header=BB5_86 Depth=2
	v_ashrrev_i32_e32 v5, 31, v10
	s_trap 2
	ds_read_b64 v[2:3], v0
	v_lshrrev_b32_e32 v5, 26, v5
	v_add_u32_e32 v5, v10, v5
	v_and_b32_e32 v5, 0xffffffc0, v5
	v_sub_u32_e32 v5, v10, v5
	v_lshlrev_b32_e32 v4, 9, v4
	v_add3_u32 v4, v8, v5, v4
	v_ashrrev_i32_e32 v5, 31, v4
	s_mov_b64 s[28:29], 0
	s_waitcnt lgkmcnt(0)
	v_mov_b64_e32 v[6:7], v[2:3]
.LBB5_207:                              ;   Parent Loop BB5_81 Depth=1
                                        ;     Parent Loop BB5_86 Depth=2
                                        ; =>    This Inner Loop Header: Depth=3
	v_lshl_add_u64 v[28:29], v[4:5], 0, v[6:7]
	flat_load_ubyte v21, v[28:29] nt
	flat_load_ubyte v30, v[28:29] offset:64 nt
	flat_load_ubyte v31, v[28:29] offset:128 nt
	;; [unrolled: 1-line block ×7, first 2 shown]
	v_sub_u32_e32 v11, v11, v48
	v_cmp_gt_i32_e32 vcc, 1, v11
	v_lshl_add_u64 v[28:29], v[4:5], 0, v[2:3]
	v_lshl_add_u64 v[6:7], v[6:7], 0, v[56:57]
	v_lshl_add_u64 v[2:3], v[2:3], 0, v[56:57]
	s_or_b64 s[28:29], vcc, s[28:29]
	s_waitcnt vmcnt(0) lgkmcnt(0)
	flat_store_byte v[28:29], v21 nt
	flat_store_byte v[28:29], v30 offset:64 nt
	flat_store_byte v[28:29], v31 offset:128 nt
	;; [unrolled: 1-line block ×7, first 2 shown]
	s_andn2_b64 exec, exec, s[28:29]
	s_cbranch_execnz .LBB5_207
; %bb.208:                              ;   in Loop: Header=BB5_86 Depth=2
	s_or_b64 exec, exec, s[28:29]
	v_accvgpr_read_b32 v35, a7
	v_accvgpr_read_b32 v34, a30
.LBB5_209:                              ;   in Loop: Header=BB5_86 Depth=2
	s_or_b64 exec, exec, s[26:27]
	v_lshlrev_b32_e32 v2, 9, v20
	v_cmp_ne_u32_e32 vcc, v9, v2
	s_and_saveexec_b64 s[26:27], vcc
	s_cbranch_execz .LBB5_213
; %bb.210:                              ;   in Loop: Header=BB5_86 Depth=2
	v_ashrrev_i32_e32 v3, 31, v10
	v_lshrrev_b32_e32 v3, 26, v3
	v_add_u32_e32 v3, v10, v3
	v_and_b32_e32 v3, 0xffffffc0, v3
	v_sub_u32_e32 v3, v10, v3
	v_lshlrev_b32_e32 v4, 6, v11
	v_sub_u32_e32 v3, v3, v4
	v_add_u32_e32 v4, v2, v3
	v_sub_u32_e32 v6, v9, v4
	v_cmp_lt_i32_e32 vcc, 0, v6
	s_and_b64 exec, exec, vcc
	s_cbranch_execz .LBB5_213
; %bb.211:                              ;   in Loop: Header=BB5_86 Depth=2
	s_trap 2
	ds_read_b64 v[2:3], v0
	v_add_u32_e32 v4, v4, v8
	v_ashrrev_i32_e32 v5, 31, v4
	s_mov_b64 s[28:29], 0
.LBB5_212:                              ;   Parent Loop BB5_81 Depth=1
                                        ;     Parent Loop BB5_86 Depth=2
                                        ; =>    This Inner Loop Header: Depth=3
	s_waitcnt lgkmcnt(0)
	v_lshl_add_u64 v[8:9], v[2:3], 0, v[4:5]
	flat_load_ubyte v7, v[8:9] nt
	v_sub_u32_e32 v6, v6, v24
	v_cmp_gt_i32_e32 vcc, 1, v6
	v_lshl_add_u64 v[4:5], v[4:5], 0, v[58:59]
	s_or_b64 s[28:29], vcc, s[28:29]
	s_waitcnt vmcnt(0) lgkmcnt(0)
	flat_store_byte v[8:9], v7 nt
	s_andn2_b64 exec, exec, s[28:29]
	s_cbranch_execnz .LBB5_212
.LBB5_213:                              ;   in Loop: Header=BB5_86 Depth=2
	s_or_b64 exec, exec, s[26:27]
.LBB5_214:                              ;   in Loop: Header=BB5_86 Depth=2
	s_or_b64 exec, exec, s[24:25]
.LBB5_215:                              ;   in Loop: Header=BB5_86 Depth=2
	s_and_saveexec_b64 s[24:25], s[4:5]
	s_cbranch_execz .LBB5_234
; %bb.216:                              ;   in Loop: Header=BB5_86 Depth=2
	s_and_saveexec_b64 s[26:27], s[40:41]
	s_xor_b64 s[26:27], exec, s[26:27]
	s_cbranch_execz .LBB5_231
; %bb.217:                              ;   in Loop: Header=BB5_86 Depth=2
	s_and_saveexec_b64 s[28:29], s[12:13]
	s_cbranch_execz .LBB5_230
; %bb.218:                              ;   in Loop: Header=BB5_86 Depth=2
	s_mov_b64 s[60:61], exec
	v_mbcnt_lo_u32_b32 v2, s60, 0
	v_mbcnt_hi_u32_b32 v2, s61, v2
	v_cmp_eq_u32_e32 vcc, 0, v2
	s_waitcnt lgkmcnt(0)
	s_and_saveexec_b64 s[58:59], vcc
	s_cbranch_execz .LBB5_220
; %bb.219:                              ;   in Loop: Header=BB5_86 Depth=2
	s_bcnt1_i32_b64 vcc_lo, s[60:61]
	v_mov_b32_e32 v38, vcc_lo
	ds_add_u64 v0, v[38:39]
	s_trap 2
.LBB5_220:                              ;   in Loop: Header=BB5_86 Depth=2
	s_or_b64 exec, exec, s[58:59]
	s_trap 2
	ds_read_b64 v[2:3], v0
	v_lshl_add_u64 v[14:15], v[14:15], 0, v[48:49]
	s_waitcnt lgkmcnt(0)
	v_cmp_lt_u64_e32 vcc, v[2:3], v[14:15]
	s_and_saveexec_b64 s[58:59], vcc
	s_cbranch_execz .LBB5_229
; %bb.221:                              ;   in Loop: Header=BB5_86 Depth=2
	s_mov_b32 s77, 0
	s_mov_b64 s[60:61], 0
                                        ; implicit-def: $sgpr62_sgpr63
                                        ; implicit-def: $sgpr64_sgpr65
	s_branch .LBB5_223
.LBB5_222:                              ;   in Loop: Header=BB5_223 Depth=3
	s_or_b64 exec, exec, s[68:69]
	s_and_b64 vcc, exec, vcc
	s_or_b64 s[60:61], vcc, s[60:61]
	s_andn2_b64 vcc, s[62:63], exec
	s_and_b64 s[62:63], s[64:65], exec
	s_or_b64 s[62:63], vcc, s[62:63]
	s_andn2_b64 exec, exec, s[60:61]
	s_cbranch_execz .LBB5_227
.LBB5_223:                              ;   Parent Loop BB5_81 Depth=1
                                        ;     Parent Loop BB5_86 Depth=2
                                        ; =>    This Inner Loop Header: Depth=3
	s_add_i32 s77, s77, 1
	s_cmpk_lg_i32 s77, 0x2710
	s_cselect_b64 s[66:67], -1, 0
	s_and_b64 vcc, exec, s[66:67]
                                        ; implicit-def: $sgpr68_sgpr69
	s_cbranch_vccnz .LBB5_225
; %bb.224:                              ;   in Loop: Header=BB5_223 Depth=3
	s_trap 2
	ds_read_b64 v[2:3], v0
	s_andn2_b64 s[66:67], s[66:67], exec
	s_mov_b32 s77, 0
	s_mov_b64 s[68:69], -1
	s_waitcnt vmcnt(0) lgkmcnt(0)
	flat_load_dword v2, v[2:3] sc0 sc1
	s_waitcnt vmcnt(0) lgkmcnt(0)
	buffer_inv sc0 sc1
	v_cmp_eq_u32_e32 vcc, 0, v2
	s_and_b64 vcc, vcc, exec
	s_or_b64 s[66:67], s[66:67], vcc
.LBB5_225:                              ;   in Loop: Header=BB5_223 Depth=3
	s_andn2_b64 s[64:65], s[64:65], exec
	s_and_b64 s[68:69], s[68:69], exec
	s_mov_b64 vcc, -1
	s_or_b64 s[64:65], s[64:65], s[68:69]
	s_and_saveexec_b64 s[68:69], s[66:67]
	s_cbranch_execz .LBB5_222
; %bb.226:                              ;   in Loop: Header=BB5_223 Depth=3
	s_sleep 1
	s_trap 2
	ds_read_b64 v[2:3], v0
	s_andn2_b64 s[64:65], s[64:65], exec
	s_waitcnt lgkmcnt(0)
	v_cmp_ge_u64_e32 vcc, v[2:3], v[14:15]
	s_orn2_b64 vcc, vcc, exec
	s_branch .LBB5_222
.LBB5_227:                              ;   in Loop: Header=BB5_86 Depth=2
	s_or_b64 exec, exec, s[60:61]
	s_and_saveexec_b64 vcc, s[62:63]
	s_xor_b64 vcc, exec, vcc
	s_cbranch_execz .LBB5_229
; %bb.228:                              ;   in Loop: Header=BB5_86 Depth=2
	ds_write_b32 v0, v25
	s_trap 2
.LBB5_229:                              ;   in Loop: Header=BB5_86 Depth=2
	s_or_b64 exec, exec, s[58:59]
	;;#ASMSTART
	s_wakeup
	;;#ASMEND
.LBB5_230:                              ;   in Loop: Header=BB5_86 Depth=2
	s_or_b64 exec, exec, s[28:29]
.LBB5_231:                              ;   in Loop: Header=BB5_86 Depth=2
	s_andn2_saveexec_b64 s[26:27], s[26:27]
	s_cbranch_execz .LBB5_233
; %bb.232:                              ;   in Loop: Header=BB5_86 Depth=2
	s_waitcnt lgkmcnt(0)
	s_barrier
.LBB5_233:                              ;   in Loop: Header=BB5_86 Depth=2
	s_or_b64 exec, exec, s[26:27]
.LBB5_234:                              ;   in Loop: Header=BB5_86 Depth=2
	s_or_b64 exec, exec, s[24:25]
	v_and_b32_e32 v2, 16, v62
	s_and_saveexec_b64 s[24:25], s[20:21]
	s_xor_b64 s[26:27], exec, s[24:25]
	s_cbranch_execz .LBB5_239
; %bb.235:                              ;   in Loop: Header=BB5_86 Depth=2
	v_and_b32_e32 v3, 16, v62
	v_cmp_lt_i32_e32 vcc, 0, v41
	v_cmp_ne_u32_e64 s[24:25], 0, v3
	v_and_b32_e32 v2, 16, v62
	s_and_b64 s[28:29], s[24:25], vcc
	s_and_saveexec_b64 s[24:25], s[28:29]
	s_cbranch_execz .LBB5_237
; %bb.236:                              ;   in Loop: Header=BB5_86 Depth=2
	v_mov_b32_e32 v2, 1
	buffer_wbl2 sc1
	s_waitcnt vmcnt(0) lgkmcnt(0)
	buffer_inv sc1
.LBB5_237:                              ;   in Loop: Header=BB5_86 Depth=2
	s_or_b64 exec, exec, s[24:25]
	s_andn2_saveexec_b64 s[24:25], s[26:27]
	s_cbranch_execnz .LBB5_240
.LBB5_238:                              ;   in Loop: Header=BB5_86 Depth=2
	s_or_b64 exec, exec, s[24:25]
	v_cmp_ne_u32_e32 vcc, 0, v2
	s_and_saveexec_b64 s[24:25], vcc
	s_cbranch_execz .LBB5_85
	s_branch .LBB5_258
.LBB5_239:                              ;   in Loop: Header=BB5_86 Depth=2
	s_andn2_saveexec_b64 s[24:25], s[26:27]
	s_cbranch_execz .LBB5_238
.LBB5_240:                              ;   in Loop: Header=BB5_86 Depth=2
	s_and_saveexec_b64 s[26:27], s[40:41]
	s_xor_b64 s[26:27], exec, s[26:27]
	s_cbranch_execz .LBB5_255
; %bb.241:                              ;   in Loop: Header=BB5_86 Depth=2
	s_and_saveexec_b64 s[28:29], s[12:13]
	s_cbranch_execz .LBB5_254
; %bb.242:                              ;   in Loop: Header=BB5_86 Depth=2
	s_mov_b64 s[60:61], exec
	v_mbcnt_lo_u32_b32 v3, s60, 0
	v_mbcnt_hi_u32_b32 v3, s61, v3
	v_cmp_eq_u32_e32 vcc, 0, v3
	;;#ASMSTART
	s_waitcnt lgkmcnt(0) vmcnt(0)
	;;#ASMEND
	s_and_saveexec_b64 s[58:59], vcc
	s_cbranch_execz .LBB5_244
; %bb.243:                              ;   in Loop: Header=BB5_86 Depth=2
	s_bcnt1_i32_b64 vcc_lo, s[60:61]
	v_mov_b32_e32 v38, vcc_lo
	ds_add_u64 v0, v[38:39]
	s_trap 2
.LBB5_244:                              ;   in Loop: Header=BB5_86 Depth=2
	s_or_b64 exec, exec, s[58:59]
	s_trap 2
	ds_read_b64 v[4:5], v0
	v_lshl_add_u64 v[14:15], v[14:15], 0, v[48:49]
	s_waitcnt lgkmcnt(0)
	v_cmp_lt_u64_e32 vcc, v[4:5], v[14:15]
	s_and_saveexec_b64 s[58:59], vcc
	s_cbranch_execz .LBB5_253
; %bb.245:                              ;   in Loop: Header=BB5_86 Depth=2
	s_mov_b32 s77, 0
	s_mov_b64 s[60:61], 0
                                        ; implicit-def: $sgpr62_sgpr63
                                        ; implicit-def: $sgpr64_sgpr65
	s_branch .LBB5_247
.LBB5_246:                              ;   in Loop: Header=BB5_247 Depth=3
	s_or_b64 exec, exec, s[68:69]
	s_and_b64 vcc, exec, vcc
	s_or_b64 s[60:61], vcc, s[60:61]
	s_andn2_b64 vcc, s[62:63], exec
	s_and_b64 s[62:63], s[64:65], exec
	s_or_b64 s[62:63], vcc, s[62:63]
	s_andn2_b64 exec, exec, s[60:61]
	s_cbranch_execz .LBB5_251
.LBB5_247:                              ;   Parent Loop BB5_81 Depth=1
                                        ;     Parent Loop BB5_86 Depth=2
                                        ; =>    This Inner Loop Header: Depth=3
	s_add_i32 s77, s77, 1
	s_cmpk_lg_i32 s77, 0x2710
	s_cselect_b64 s[66:67], -1, 0
	s_and_b64 vcc, exec, s[66:67]
                                        ; implicit-def: $sgpr68_sgpr69
	s_cbranch_vccnz .LBB5_249
; %bb.248:                              ;   in Loop: Header=BB5_247 Depth=3
	s_trap 2
	ds_read_b64 v[4:5], v0
	s_andn2_b64 s[66:67], s[66:67], exec
	s_mov_b32 s77, 0
	s_mov_b64 s[68:69], -1
	s_waitcnt vmcnt(0) lgkmcnt(0)
	flat_load_dword v3, v[4:5] sc0 sc1
	s_waitcnt vmcnt(0) lgkmcnt(0)
	buffer_inv sc0 sc1
	v_cmp_eq_u32_e32 vcc, 0, v3
	s_and_b64 vcc, vcc, exec
	s_or_b64 s[66:67], s[66:67], vcc
.LBB5_249:                              ;   in Loop: Header=BB5_247 Depth=3
	s_andn2_b64 s[64:65], s[64:65], exec
	s_and_b64 s[68:69], s[68:69], exec
	s_mov_b64 vcc, -1
	s_or_b64 s[64:65], s[64:65], s[68:69]
	s_and_saveexec_b64 s[68:69], s[66:67]
	s_cbranch_execz .LBB5_246
; %bb.250:                              ;   in Loop: Header=BB5_247 Depth=3
	s_sleep 1
	s_trap 2
	ds_read_b64 v[4:5], v0
	s_andn2_b64 s[64:65], s[64:65], exec
	s_waitcnt lgkmcnt(0)
	v_cmp_ge_u64_e32 vcc, v[4:5], v[14:15]
	s_orn2_b64 vcc, vcc, exec
	s_branch .LBB5_246
.LBB5_251:                              ;   in Loop: Header=BB5_86 Depth=2
	s_or_b64 exec, exec, s[60:61]
	s_and_saveexec_b64 vcc, s[62:63]
	s_xor_b64 vcc, exec, vcc
	s_cbranch_execz .LBB5_253
; %bb.252:                              ;   in Loop: Header=BB5_86 Depth=2
	ds_write_b32 v0, v25
	s_trap 2
.LBB5_253:                              ;   in Loop: Header=BB5_86 Depth=2
	s_or_b64 exec, exec, s[58:59]
	;;#ASMSTART
	s_wakeup
	;;#ASMEND
.LBB5_254:                              ;   in Loop: Header=BB5_86 Depth=2
	s_or_b64 exec, exec, s[28:29]
.LBB5_255:                              ;   in Loop: Header=BB5_86 Depth=2
	s_andn2_saveexec_b64 s[26:27], s[26:27]
	s_cbranch_execz .LBB5_257
; %bb.256:                              ;   in Loop: Header=BB5_86 Depth=2
	;;#ASMSTART
	s_waitcnt lgkmcnt(0) vmcnt(0)
	;;#ASMEND
	s_barrier
.LBB5_257:                              ;   in Loop: Header=BB5_86 Depth=2
	s_or_b64 exec, exec, s[26:27]
	s_or_b64 exec, exec, s[24:25]
	v_cmp_ne_u32_e32 vcc, 0, v2
	s_and_saveexec_b64 s[24:25], vcc
	s_cbranch_execz .LBB5_85
.LBB5_258:                              ;   in Loop: Header=BB5_86 Depth=2
	s_and_saveexec_b64 s[26:27], s[10:11]
	s_cbranch_execz .LBB5_84
; %bb.259:                              ;   in Loop: Header=BB5_86 Depth=2
	flat_store_dword v[0:1], v25 sc0 sc1
	s_branch .LBB5_84
.LBB5_260:                              ;   in Loop: Header=BB5_81 Depth=1
	s_andn2_saveexec_b64 s[26:27], s[50:51]
	s_cbranch_execz .LBB5_548
.LBB5_261:                              ;   in Loop: Header=BB5_81 Depth=1
	v_mov_b32_e32 v3, 0
	v_mov_b32_e32 v4, v17
	v_mov_b32_e32 v2, 0
	s_and_saveexec_b64 s[28:29], s[22:23]
	s_cbranch_execz .LBB5_475
; %bb.262:                              ;   in Loop: Header=BB5_81 Depth=1
	s_mov_b32 s76, 1
	s_mov_b64 s[52:53], -1
	s_mov_b64 s[50:51], 0
	v_mov_b32_e32 v2, 0
	v_mov_b32_e32 v4, v17
	s_branch .LBB5_265
.LBB5_263:                              ;   in Loop: Header=BB5_265 Depth=2
	s_or_b64 exec, exec, vcc
	v_lshl_add_u64 v[50:51], v[50:51], 0, 2
	flat_store_dwordx2 v[26:27], v[50:51] sc0 sc1
.LBB5_264:                              ;   in Loop: Header=BB5_265 Depth=2
	s_or_b64 exec, exec, s[24:25]
	v_add_u32_e32 v2, v4, v2
	v_cmp_ge_i32_e32 vcc, v2, v54
	s_xor_b64 s[24:25], s[52:53], -1
	s_or_b64 s[24:25], s[24:25], vcc
	s_and_b64 s[24:25], exec, s[24:25]
	s_or_b64 s[50:51], s[24:25], s[50:51]
	s_mov_b64 s[52:53], 0
	v_mov_b32_e32 v3, s76
	s_mov_b32 s76, 2
	s_andn2_b64 exec, exec, s[50:51]
	s_cbranch_execz .LBB5_474
.LBB5_265:                              ;   Parent Loop BB5_81 Depth=1
                                        ; =>  This Loop Header: Depth=2
                                        ;       Child Loop BB5_273 Depth 3
                                        ;       Child Loop BB5_297 Depth 3
	;; [unrolled: 1-line block ×9, first 2 shown]
	s_and_saveexec_b64 s[24:25], s[0:1]
	s_cbranch_execz .LBB5_267
; %bb.266:                              ;   in Loop: Header=BB5_265 Depth=2
	s_trap 2
	ds_read_b64 v[6:7], v0
	v_accvgpr_read_b32 v8, a36
	v_accvgpr_read_b32 v9, a37
	v_ashrrev_i32_e32 v3, 31, v2
	v_mov_b32_e32 v38, v39
	s_waitcnt lgkmcnt(0)
	v_lshl_add_u64 v[6:7], v[6:7], 0, v[8:9]
	v_lshl_add_u64 v[6:7], v[6:7], 0, v[2:3]
	ds_write_b64 v0, v[6:7]
	ds_write_b64 v0, v[38:39]
.LBB5_267:                              ;   in Loop: Header=BB5_265 Depth=2
	s_or_b64 exec, exec, s[24:25]
	v_and_b32_e32 v3, 8, v62
	v_cmp_ne_u32_e32 vcc, 0, v3
	s_mov_b64 s[54:55], -1
	v_lshl_add_u64 v[18:19], v[50:51], 0, 2
	s_and_saveexec_b64 s[24:25], vcc
	s_cbranch_execz .LBB5_279
; %bb.268:                              ;   in Loop: Header=BB5_265 Depth=2
	v_lshl_add_u64 v[8:9], v[36:37], 0, 8
	v_lshl_add_u64 v[6:7], v[50:51], 0, 2
	v_cmp_lt_u64_e32 vcc, v[8:9], v[6:7]
	v_mov_b32_e32 v3, 1
	s_and_saveexec_b64 s[54:55], vcc
	s_cbranch_execz .LBB5_278
; %bb.269:                              ;   in Loop: Header=BB5_265 Depth=2
	s_mov_b64 s[56:57], 0
	v_mov_b32_e32 v3, 0
                                        ; implicit-def: $sgpr58_sgpr59
	s_branch .LBB5_273
.LBB5_270:                              ;   in Loop: Header=BB5_273 Depth=3
	s_or_b64 exec, exec, s[66:67]
	v_mov_b32_e32 v5, 0
	s_orn2_b64 s[64:65], s[64:65], exec
.LBB5_271:                              ;   in Loop: Header=BB5_273 Depth=3
	s_or_b64 exec, exec, s[62:63]
	s_andn2_b64 vcc, s[58:59], exec
	s_and_b64 s[58:59], s[64:65], exec
	s_or_b64 s[58:59], vcc, s[58:59]
	v_mov_b32_e32 v3, v5
.LBB5_272:                              ;   in Loop: Header=BB5_273 Depth=3
	s_or_b64 exec, exec, s[60:61]
	s_waitcnt vmcnt(0) lgkmcnt(0)
	v_lshl_add_u64 v[8:9], v[36:37], 0, 8
	v_cmp_ge_u64_e32 vcc, v[8:9], v[6:7]
	s_xor_b64 s[60:61], s[58:59], -1
	s_or_b64 vcc, s[60:61], vcc
	s_and_b64 vcc, exec, vcc
	s_or_b64 s[56:57], vcc, s[56:57]
	s_andn2_b64 exec, exec, s[56:57]
	s_cbranch_execz .LBB5_277
.LBB5_273:                              ;   Parent Loop BB5_81 Depth=1
                                        ;     Parent Loop BB5_265 Depth=2
                                        ; =>    This Inner Loop Header: Depth=3
	s_sleep 1
	flat_load_dwordx2 v[36:37], v[26:27] sc0 sc1
	v_and_b32_e32 v5, 64, v62
	v_cmp_eq_u32_e32 vcc, 0, v5
	s_andn2_b64 s[58:59], s[58:59], exec
	s_and_saveexec_b64 s[60:61], vcc
	s_cbranch_execz .LBB5_272
; %bb.274:                              ;   in Loop: Header=BB5_273 Depth=3
	v_add_u32_e32 v5, 1, v3
	v_cmp_lt_i32_e32 vcc, s72, v3
	s_mov_b64 s[64:65], -1
	s_and_saveexec_b64 s[62:63], vcc
	s_cbranch_execz .LBB5_271
; %bb.275:                              ;   in Loop: Header=BB5_273 Depth=3
	s_trap 2
	ds_read_b64 v[8:9], v0
	s_waitcnt vmcnt(0) lgkmcnt(0)
	flat_load_dword v3, v[8:9] sc0 sc1
	s_waitcnt vmcnt(0) lgkmcnt(0)
	buffer_inv sc0 sc1
	v_cmp_ne_u32_e32 vcc, 0, v3
	s_and_saveexec_b64 s[66:67], vcc
	s_cbranch_execz .LBB5_270
; %bb.276:                              ;   in Loop: Header=BB5_273 Depth=3
	v_or_b32_e32 v62, 64, v62
	s_xor_b64 s[64:65], exec, -1
	ds_write_b32 v0, v3
	s_trap 2
	s_branch .LBB5_270
.LBB5_277:                              ;   in Loop: Header=BB5_265 Depth=2
	s_or_b64 exec, exec, s[56:57]
	v_and_b32_e32 v3, 8, v62
.LBB5_278:                              ;   in Loop: Header=BB5_265 Depth=2
	s_or_b64 exec, exec, s[54:55]
	v_cmp_eq_u32_e32 vcc, 0, v3
	s_orn2_b64 s[54:55], vcc, exec
	;;#ASMSTART
	s_wakeup
	;;#ASMEND
.LBB5_279:                              ;   in Loop: Header=BB5_265 Depth=2
	s_or_b64 exec, exec, s[24:25]
	v_sub_u32_e32 v3, v54, v2
	s_xor_b64 s[24:25], s[54:55], -1
	v_min_i32_e32 v4, v4, v3
	s_and_saveexec_b64 s[54:55], s[24:25]
	s_cbranch_execz .LBB5_289
; %bb.280:                              ;   in Loop: Header=BB5_265 Depth=2
	v_and_b32_e32 v3, 0x100, v62
	v_cmp_ne_u32_e32 vcc, 0, v3
	v_and_b32_e32 v3, 7, v50
	s_mov_b64 s[24:25], -1
                                        ; implicit-def: $vgpr6_vgpr7
	s_and_saveexec_b64 s[56:57], vcc
	s_cbranch_execz .LBB5_284
; %bb.281:                              ;   in Loop: Header=BB5_265 Depth=2
	v_accvgpr_read_b32 v6, a20
	v_accvgpr_read_b32 v7, a21
	v_mad_u64_u32 v[8:9], s[24:25], v3, 24, v[6:7]
	flat_load_dword v6, v[8:9]
	v_ashrrev_i32_e32 v5, 31, v4
	flat_store_dwordx2 v[8:9], v[4:5] offset:8
	s_waitcnt vmcnt(0) lgkmcnt(0)
	v_cmp_ne_u32_e32 vcc, 1, v6
	v_cmp_eq_u32_e64 s[24:25], 1, v6
                                        ; implicit-def: $vgpr6_vgpr7
	s_and_saveexec_b64 s[58:59], s[24:25]
	s_cbranch_execz .LBB5_283
; %bb.282:                              ;   in Loop: Header=BB5_265 Depth=2
	flat_load_dword v6, v[8:9] offset:4 sc0 sc1
	s_waitcnt vmcnt(0) lgkmcnt(0)
	v_ashrrev_i32_e32 v7, 31, v6
.LBB5_283:                              ;   in Loop: Header=BB5_265 Depth=2
	s_or_b64 exec, exec, s[58:59]
	s_orn2_b64 s[24:25], vcc, exec
.LBB5_284:                              ;   in Loop: Header=BB5_265 Depth=2
	s_or_b64 exec, exec, s[56:57]
	s_and_saveexec_b64 vcc, s[24:25]
; %bb.285:                              ;   in Loop: Header=BB5_265 Depth=2
	v_mad_i64_i32 v[6:7], s[24:25], v3, v52, 0
; %bb.286:                              ;   in Loop: Header=BB5_265 Depth=2
	s_or_b64 exec, exec, vcc
	v_and_b32_e32 v3, 0x2000, v62
	v_lshl_add_u64 v[6:7], v[12:13], 0, v[6:7]
	v_cmp_ne_u32_e32 vcc, 0, v3
	ds_write_b64 v0, v[6:7] offset:784
	s_and_saveexec_b64 s[24:25], vcc
	s_cbranch_execz .LBB5_288
; %bb.287:                              ;   in Loop: Header=BB5_265 Depth=2
	ds_read_b64 v[6:7], v0 offset:584
	s_waitcnt lgkmcnt(0)
	v_lshl_add_u64 v[6:7], v[6:7], 0, 1
	ds_write_b64 v0, v[6:7] offset:584
.LBB5_288:                              ;   in Loop: Header=BB5_265 Depth=2
	s_or_b64 exec, exec, s[24:25]
	v_mov_b64_e32 v[50:51], v[18:19]
.LBB5_289:                              ;   in Loop: Header=BB5_265 Depth=2
	s_or_b64 exec, exec, s[54:55]
	s_and_saveexec_b64 s[24:25], s[4:5]
	s_cbranch_execz .LBB5_308
; %bb.290:                              ;   in Loop: Header=BB5_265 Depth=2
	s_and_saveexec_b64 vcc, s[40:41]
	s_xor_b64 s[54:55], exec, vcc
	s_cbranch_execz .LBB5_305
; %bb.291:                              ;   in Loop: Header=BB5_265 Depth=2
	s_and_saveexec_b64 s[56:57], s[12:13]
	s_cbranch_execz .LBB5_304
; %bb.292:                              ;   in Loop: Header=BB5_265 Depth=2
	s_mov_b64 s[60:61], exec
	v_mbcnt_lo_u32_b32 v3, s60, 0
	v_mbcnt_hi_u32_b32 v3, s61, v3
	v_cmp_eq_u32_e32 vcc, 0, v3
	s_waitcnt lgkmcnt(0)
	s_and_saveexec_b64 s[58:59], vcc
	s_cbranch_execz .LBB5_294
; %bb.293:                              ;   in Loop: Header=BB5_265 Depth=2
	s_bcnt1_i32_b64 vcc_lo, s[60:61]
	v_mov_b32_e32 v38, vcc_lo
	ds_add_u64 v0, v[38:39]
	s_trap 2
.LBB5_294:                              ;   in Loop: Header=BB5_265 Depth=2
	s_or_b64 exec, exec, s[58:59]
	s_trap 2
	ds_read_b64 v[6:7], v0
	v_lshl_add_u64 v[14:15], v[14:15], 0, v[48:49]
	s_waitcnt lgkmcnt(0)
	v_cmp_lt_u64_e32 vcc, v[6:7], v[14:15]
	s_and_saveexec_b64 s[58:59], vcc
	s_cbranch_execz .LBB5_303
; %bb.295:                              ;   in Loop: Header=BB5_265 Depth=2
	s_mov_b32 s77, 0
	s_mov_b64 s[60:61], 0
                                        ; implicit-def: $sgpr62_sgpr63
                                        ; implicit-def: $sgpr64_sgpr65
	s_branch .LBB5_297
.LBB5_296:                              ;   in Loop: Header=BB5_297 Depth=3
	s_or_b64 exec, exec, s[68:69]
	s_and_b64 vcc, exec, vcc
	s_or_b64 s[60:61], vcc, s[60:61]
	s_andn2_b64 vcc, s[62:63], exec
	s_and_b64 s[62:63], s[64:65], exec
	s_or_b64 s[62:63], vcc, s[62:63]
	s_andn2_b64 exec, exec, s[60:61]
	s_cbranch_execz .LBB5_301
.LBB5_297:                              ;   Parent Loop BB5_81 Depth=1
                                        ;     Parent Loop BB5_265 Depth=2
                                        ; =>    This Inner Loop Header: Depth=3
	s_add_i32 s77, s77, 1
	s_cmpk_lg_i32 s77, 0x2710
	s_cselect_b64 s[66:67], -1, 0
	s_and_b64 vcc, exec, s[66:67]
                                        ; implicit-def: $sgpr68_sgpr69
	s_cbranch_vccnz .LBB5_299
; %bb.298:                              ;   in Loop: Header=BB5_297 Depth=3
	s_trap 2
	ds_read_b64 v[6:7], v0
	s_andn2_b64 s[66:67], s[66:67], exec
	s_mov_b32 s77, 0
	s_mov_b64 s[68:69], -1
	s_waitcnt vmcnt(0) lgkmcnt(0)
	flat_load_dword v3, v[6:7] sc0 sc1
	s_waitcnt vmcnt(0) lgkmcnt(0)
	buffer_inv sc0 sc1
	v_cmp_eq_u32_e32 vcc, 0, v3
	s_and_b64 vcc, vcc, exec
	s_or_b64 s[66:67], s[66:67], vcc
.LBB5_299:                              ;   in Loop: Header=BB5_297 Depth=3
	s_andn2_b64 s[64:65], s[64:65], exec
	s_and_b64 s[68:69], s[68:69], exec
	s_mov_b64 vcc, -1
	s_or_b64 s[64:65], s[64:65], s[68:69]
	s_and_saveexec_b64 s[68:69], s[66:67]
	s_cbranch_execz .LBB5_296
; %bb.300:                              ;   in Loop: Header=BB5_297 Depth=3
	s_sleep 1
	s_trap 2
	ds_read_b64 v[6:7], v0
	s_andn2_b64 s[64:65], s[64:65], exec
	s_waitcnt lgkmcnt(0)
	v_cmp_ge_u64_e32 vcc, v[6:7], v[14:15]
	s_orn2_b64 vcc, vcc, exec
	s_branch .LBB5_296
.LBB5_301:                              ;   in Loop: Header=BB5_265 Depth=2
	s_or_b64 exec, exec, s[60:61]
	s_and_saveexec_b64 vcc, s[62:63]
	s_xor_b64 vcc, exec, vcc
	s_cbranch_execz .LBB5_303
; %bb.302:                              ;   in Loop: Header=BB5_265 Depth=2
	ds_write_b32 v0, v25
	s_trap 2
.LBB5_303:                              ;   in Loop: Header=BB5_265 Depth=2
	s_or_b64 exec, exec, s[58:59]
	;;#ASMSTART
	s_wakeup
	;;#ASMEND
.LBB5_304:                              ;   in Loop: Header=BB5_265 Depth=2
	s_or_b64 exec, exec, s[56:57]
.LBB5_305:                              ;   in Loop: Header=BB5_265 Depth=2
	s_andn2_saveexec_b64 vcc, s[54:55]
	s_cbranch_execz .LBB5_307
; %bb.306:                              ;   in Loop: Header=BB5_265 Depth=2
	s_waitcnt lgkmcnt(0)
	s_barrier
.LBB5_307:                              ;   in Loop: Header=BB5_265 Depth=2
	s_or_b64 exec, exec, vcc
.LBB5_308:                              ;   in Loop: Header=BB5_265 Depth=2
	s_or_b64 exec, exec, s[24:25]
	s_trap 2
	ds_read_b32 v5, v0
	v_and_b32_e32 v3, 0x4000, v62
	v_cmp_ne_u32_e32 vcc, 0, v3
	s_xor_b64 s[24:25], s[2:3], -1
	s_and_b64 vcc, s[24:25], vcc
	s_and_saveexec_b64 s[24:25], vcc
	s_cbranch_execz .LBB5_327
; %bb.309:                              ;   in Loop: Header=BB5_265 Depth=2
	s_and_saveexec_b64 vcc, s[40:41]
	s_xor_b64 s[54:55], exec, vcc
	s_cbranch_execz .LBB5_324
; %bb.310:                              ;   in Loop: Header=BB5_265 Depth=2
	s_and_saveexec_b64 s[56:57], s[12:13]
	s_cbranch_execz .LBB5_323
; %bb.311:                              ;   in Loop: Header=BB5_265 Depth=2
	s_mov_b64 s[60:61], exec
	v_mbcnt_lo_u32_b32 v3, s60, 0
	v_mbcnt_hi_u32_b32 v3, s61, v3
	v_cmp_eq_u32_e32 vcc, 0, v3
	s_waitcnt lgkmcnt(0)
	s_and_saveexec_b64 s[58:59], vcc
	s_cbranch_execz .LBB5_313
; %bb.312:                              ;   in Loop: Header=BB5_265 Depth=2
	s_bcnt1_i32_b64 vcc_lo, s[60:61]
	v_mov_b32_e32 v38, vcc_lo
	ds_add_u64 v0, v[38:39]
	s_trap 2
.LBB5_313:                              ;   in Loop: Header=BB5_265 Depth=2
	s_or_b64 exec, exec, s[58:59]
	s_trap 2
	ds_read_b64 v[6:7], v0
	v_lshl_add_u64 v[14:15], v[14:15], 0, v[48:49]
	s_waitcnt lgkmcnt(0)
	v_cmp_lt_u64_e32 vcc, v[6:7], v[14:15]
	s_and_saveexec_b64 s[58:59], vcc
	s_cbranch_execz .LBB5_322
; %bb.314:                              ;   in Loop: Header=BB5_265 Depth=2
	s_mov_b32 s77, 0
	s_mov_b64 s[60:61], 0
                                        ; implicit-def: $sgpr62_sgpr63
                                        ; implicit-def: $sgpr64_sgpr65
	s_branch .LBB5_316
.LBB5_315:                              ;   in Loop: Header=BB5_316 Depth=3
	s_or_b64 exec, exec, s[68:69]
	s_and_b64 vcc, exec, vcc
	s_or_b64 s[60:61], vcc, s[60:61]
	s_andn2_b64 vcc, s[62:63], exec
	s_and_b64 s[62:63], s[64:65], exec
	s_or_b64 s[62:63], vcc, s[62:63]
	s_andn2_b64 exec, exec, s[60:61]
	s_cbranch_execz .LBB5_320
.LBB5_316:                              ;   Parent Loop BB5_81 Depth=1
                                        ;     Parent Loop BB5_265 Depth=2
                                        ; =>    This Inner Loop Header: Depth=3
	s_add_i32 s77, s77, 1
	s_cmpk_lg_i32 s77, 0x2710
	s_cselect_b64 s[66:67], -1, 0
	s_and_b64 vcc, exec, s[66:67]
                                        ; implicit-def: $sgpr68_sgpr69
	s_cbranch_vccnz .LBB5_318
; %bb.317:                              ;   in Loop: Header=BB5_316 Depth=3
	s_trap 2
	ds_read_b64 v[6:7], v0
	s_andn2_b64 s[66:67], s[66:67], exec
	s_mov_b32 s77, 0
	s_mov_b64 s[68:69], -1
	s_waitcnt vmcnt(0) lgkmcnt(0)
	flat_load_dword v3, v[6:7] sc0 sc1
	s_waitcnt vmcnt(0) lgkmcnt(0)
	buffer_inv sc0 sc1
	v_cmp_eq_u32_e32 vcc, 0, v3
	s_and_b64 vcc, vcc, exec
	s_or_b64 s[66:67], s[66:67], vcc
.LBB5_318:                              ;   in Loop: Header=BB5_316 Depth=3
	s_andn2_b64 s[64:65], s[64:65], exec
	s_and_b64 s[68:69], s[68:69], exec
	s_mov_b64 vcc, -1
	s_or_b64 s[64:65], s[64:65], s[68:69]
	s_and_saveexec_b64 s[68:69], s[66:67]
	s_cbranch_execz .LBB5_315
; %bb.319:                              ;   in Loop: Header=BB5_316 Depth=3
	s_sleep 1
	s_trap 2
	ds_read_b64 v[6:7], v0
	s_andn2_b64 s[64:65], s[64:65], exec
	s_waitcnt lgkmcnt(0)
	v_cmp_ge_u64_e32 vcc, v[6:7], v[14:15]
	s_orn2_b64 vcc, vcc, exec
	s_branch .LBB5_315
.LBB5_320:                              ;   in Loop: Header=BB5_265 Depth=2
	s_or_b64 exec, exec, s[60:61]
	s_and_saveexec_b64 vcc, s[62:63]
	s_xor_b64 vcc, exec, vcc
	s_cbranch_execz .LBB5_322
; %bb.321:                              ;   in Loop: Header=BB5_265 Depth=2
	ds_write_b32 v0, v25
	s_trap 2
.LBB5_322:                              ;   in Loop: Header=BB5_265 Depth=2
	s_or_b64 exec, exec, s[58:59]
	;;#ASMSTART
	s_wakeup
	;;#ASMEND
.LBB5_323:                              ;   in Loop: Header=BB5_265 Depth=2
	s_or_b64 exec, exec, s[56:57]
.LBB5_324:                              ;   in Loop: Header=BB5_265 Depth=2
	s_andn2_saveexec_b64 vcc, s[54:55]
	s_cbranch_execz .LBB5_326
; %bb.325:                              ;   in Loop: Header=BB5_265 Depth=2
	s_waitcnt lgkmcnt(0)
	s_barrier
.LBB5_326:                              ;   in Loop: Header=BB5_265 Depth=2
	s_or_b64 exec, exec, vcc
.LBB5_327:                              ;   in Loop: Header=BB5_265 Depth=2
	s_or_b64 exec, exec, s[24:25]
	s_trap 2
	ds_read_b64 v[6:7], v0
	v_mov_b32_e32 v3, 0
	s_waitcnt lgkmcnt(0)
	v_readfirstlane_b32 s24, v6
	v_readfirstlane_b32 s25, v7
	s_cmp_eq_u64 s[24:25], 0
	s_cselect_b64 s[24:25], -1, 0
	s_or_b64 s[24:25], s[24:25], s[24:25]
	s_and_b64 vcc, exec, s[24:25]
	s_cbranch_vccnz .LBB5_357
; %bb.328:                              ;   in Loop: Header=BB5_265 Depth=2
	s_mov_b64 s[24:25], -1
	s_and_saveexec_b64 s[54:55], s[14:15]
	s_cbranch_execz .LBB5_330
; %bb.329:                              ;   in Loop: Header=BB5_265 Depth=2
	ds_read_b32 v3, v0 offset:720
	s_waitcnt lgkmcnt(0)
	v_and_b32_e32 v3, 15, v3
	v_cmp_eq_u32_e32 vcc, 0, v3
	s_orn2_b64 s[24:25], vcc, exec
.LBB5_330:                              ;   in Loop: Header=BB5_265 Depth=2
	s_or_b64 exec, exec, s[54:55]
	s_and_saveexec_b64 s[54:55], s[18:19]
	s_cbranch_execz .LBB5_332
; %bb.331:                              ;   in Loop: Header=BB5_265 Depth=2
	ds_read_b32 v3, v0 offset:784
	s_waitcnt lgkmcnt(0)
	v_and_b32_e32 v3, 15, v3
	v_cmp_eq_u32_e32 vcc, 0, v3
	s_and_b64 vcc, s[24:25], vcc
	s_andn2_b64 s[24:25], s[24:25], exec
	s_and_b64 vcc, vcc, exec
	s_or_b64 s[24:25], s[24:25], vcc
.LBB5_332:                              ;   in Loop: Header=BB5_265 Depth=2
	s_or_b64 exec, exec, s[54:55]
	s_xor_b64 s[24:25], s[24:25], -1
	v_cmp_eq_u32_e32 vcc, 0, v5
	v_cndmask_b32_e64 v5, 0, 1, s[24:25]
	;;#ASMSTART
	;;#ASMEND
	v_mov_b32_e32 v18, 0
	v_cndmask_b32_e32 v3, 0, v4, vcc
	s_mov_b64 s[56:57], -1
	v_cmp_ne_u32_e32 vcc, 0, v5
	v_mov_b32_e32 v5, v3
	v_mov_b32_e32 v19, v53
	;; [unrolled: 1-line block ×3, first 2 shown]
	s_cbranch_vccz .LBB5_334
; %bb.333:                              ;   in Loop: Header=BB5_265 Depth=2
	s_and_saveexec_b64 s[24:25], s[56:57]
	s_cbranch_execnz .LBB5_347
	s_branch .LBB5_356
.LBB5_334:                              ;   in Loop: Header=BB5_265 Depth=2
	v_ashrrev_i32_e32 v5, 31, v3
	v_lshrrev_b32_e32 v5, 21, v5
	v_add_u32_e32 v5, v3, v5
	v_ashrrev_i32_e32 v5, 11, v5
	v_sub_u32_e32 v11, v5, v34
	v_cmp_lt_i32_e32 vcc, 0, v11
	s_and_saveexec_b64 s[24:25], vcc
	s_cbranch_execz .LBB5_338
; %bb.335:                              ;   in Loop: Header=BB5_265 Depth=2
	s_trap 2
	ds_read_b64 v[6:7], v0
	v_accvgpr_read_b32 v8, a34
	s_mov_b64 s[54:55], 0
	v_accvgpr_read_b32 v9, a35
.LBB5_336:                              ;   Parent Loop BB5_81 Depth=1
                                        ;     Parent Loop BB5_265 Depth=2
                                        ; =>    This Inner Loop Header: Depth=3
	s_waitcnt lgkmcnt(0)
	v_lshl_add_u64 v[32:33], v[6:7], 0, v[8:9]
	global_load_dwordx4 v[18:21], v[32:33], off nt
	global_load_dwordx4 v[28:31], v[32:33], off offset:1024 nt
	v_sub_u32_e32 v11, v11, v48
	v_cmp_gt_i32_e32 vcc, 1, v11
	v_lshl_add_u64 v[8:9], v[8:9], 0, v[60:61]
	s_or_b64 s[54:55], vcc, s[54:55]
	s_waitcnt vmcnt(0)
	global_store_dwordx4 v[32:33], v[18:21], off nt
	global_store_dwordx4 v[32:33], v[28:31], off offset:1024 nt
	s_andn2_b64 exec, exec, s[54:55]
	s_cbranch_execnz .LBB5_336
; %bb.337:                              ;   in Loop: Header=BB5_265 Depth=2
	s_or_b64 exec, exec, s[54:55]
.LBB5_338:                              ;   in Loop: Header=BB5_265 Depth=2
	s_or_b64 exec, exec, s[24:25]
	v_lshlrev_b32_e32 v10, 11, v5
	v_cmp_ne_u32_e32 vcc, v3, v10
	s_mov_b64 s[56:57], 0
	v_mov_b32_e32 v18, 0
                                        ; implicit-def: $vgpr5
                                        ; implicit-def: $vgpr19
                                        ; implicit-def: $vgpr8
	s_and_saveexec_b64 s[54:55], vcc
	s_cbranch_execz .LBB5_346
; %bb.339:                              ;   in Loop: Header=BB5_265 Depth=2
	v_lshlrev_b32_e32 v5, 6, v11
	v_accvgpr_read_b32 v7, a31
	v_sub_u32_e32 v5, v7, v5
	v_ashrrev_i32_e32 v7, 31, v5
	v_lshrrev_b32_e32 v7, 26, v7
	v_add_u32_e32 v7, v5, v7
	v_sub_u32_e32 v6, v3, v10
	v_ashrrev_i32_e32 v9, 6, v7
	v_and_b32_e32 v7, 0xffffffc0, v7
	v_sub_u32_e32 v11, v5, v7
	v_ashrrev_i32_e32 v7, 31, v6
	v_lshrrev_b32_e32 v7, 22, v7
	v_add_u32_e32 v7, v6, v7
	v_and_b32_e32 v20, 0xfffffc00, v7
	v_lshlrev_b32_e32 v5, 4, v11
	v_sub_u32_e32 v38, v6, v20
	v_lshl_add_u32 v8, v9, 10, v5
	v_ashrrev_i32_e32 v18, 10, v7
	v_cmp_lt_i32_e32 vcc, 15, v38
	v_sub_u32_e32 v5, v6, v8
	s_nop 0
	v_addc_co_u32_e64 v6, s[24:25], 0, v18, vcc
	v_sub_u32_e32 v21, v6, v9
	v_cmp_lt_i32_e64 s[24:25], 15, v5
	s_and_saveexec_b64 s[56:57], s[24:25]
	s_cbranch_execz .LBB5_343
; %bb.340:                              ;   in Loop: Header=BB5_265 Depth=2
	s_trap 2
	ds_read_b64 v[6:7], v0
	v_add_u32_e32 v8, v8, v10
	v_ashrrev_i32_e32 v9, 31, v8
	s_mov_b64 s[58:59], 0
.LBB5_341:                              ;   Parent Loop BB5_81 Depth=1
                                        ;     Parent Loop BB5_265 Depth=2
                                        ; =>    This Inner Loop Header: Depth=3
	s_waitcnt lgkmcnt(0)
	v_lshl_add_u64 v[18:19], v[6:7], 0, v[8:9]
	global_load_dwordx4 v[28:31], v[18:19], off nt
	v_sub_u32_e32 v5, v5, v16
	v_cmp_gt_i32_e64 s[24:25], 16, v5
	v_sub_u32_e32 v21, v21, v48
	v_lshl_add_u64 v[8:9], v[8:9], 0, v[22:23]
	s_or_b64 s[58:59], s[24:25], s[58:59]
	s_waitcnt vmcnt(0)
	global_store_dwordx4 v[18:19], v[28:31], off nt
	s_andn2_b64 exec, exec, s[58:59]
	s_cbranch_execnz .LBB5_341
; %bb.342:                              ;   in Loop: Header=BB5_265 Depth=2
	s_or_b64 exec, exec, s[58:59]
.LBB5_343:                              ;   in Loop: Header=BB5_265 Depth=2
	s_or_b64 exec, exec, s[56:57]
	v_and_b32_e32 v6, 15, v3
	v_cndmask_b32_e32 v5, v38, v6, vcc
	v_cmp_ne_u32_e64 s[24:25], 0, v5
	s_mov_b64 s[56:57], 0
	v_mov_b32_e32 v18, 0
                                        ; implicit-def: $vgpr19
                                        ; implicit-def: $vgpr8
	s_and_saveexec_b64 s[58:59], s[24:25]
	s_cbranch_execz .LBB5_345
; %bb.344:                              ;   in Loop: Header=BB5_265 Depth=2
	v_sub_u32_e32 v6, v38, v6
	v_cndmask_b32_e32 v6, 0, v6, vcc
	v_cmp_lt_i32_e32 vcc, 0, v21
	v_add3_u32 v18, v20, v10, v6
	s_mov_b64 s[56:57], exec
	v_cndmask_b32_e32 v6, 0, v48, vcc
	v_sub_u32_e32 v6, v6, v21
	v_lshl_add_u32 v19, v6, 6, v11
	v_ashrrev_i32_e32 v6, 31, v19
	v_lshrrev_b32_e32 v6, 26, v6
	v_add_u32_e32 v6, v19, v6
	v_ashrrev_i32_e32 v8, 6, v6
.LBB5_345:                              ;   in Loop: Header=BB5_265 Depth=2
	s_or_b64 exec, exec, s[58:59]
	s_and_b64 s[56:57], s[56:57], exec
.LBB5_346:                              ;   in Loop: Header=BB5_265 Depth=2
	s_or_b64 exec, exec, s[54:55]
	s_and_saveexec_b64 s[24:25], s[56:57]
	s_cbranch_execz .LBB5_356
.LBB5_347:                              ;   in Loop: Header=BB5_265 Depth=2
	v_ashrrev_i32_e32 v6, 31, v5
	v_lshrrev_b32_e32 v6, 23, v6
	v_add_u32_e32 v6, v5, v6
	v_ashrrev_i32_e32 v30, 9, v6
	v_sub_u32_e32 v20, v30, v8
	v_ashrrev_i32_e32 v6, 31, v19
	v_cmp_lt_i32_e32 vcc, 0, v20
	v_lshrrev_b32_e32 v21, 26, v6
	s_and_saveexec_b64 s[54:55], vcc
	s_cbranch_execz .LBB5_351
; %bb.348:                              ;   in Loop: Header=BB5_265 Depth=2
	s_trap 2
	ds_read_b64 v[6:7], v0
	v_add_u32_e32 v9, v19, v21
	v_and_b32_e32 v9, 0xffffffc0, v9
	v_sub_u32_e32 v9, v19, v9
	v_lshlrev_b32_e32 v8, 9, v8
	v_add3_u32 v8, v18, v9, v8
	v_ashrrev_i32_e32 v9, 31, v8
	s_mov_b64 s[56:57], 0
	s_waitcnt lgkmcnt(0)
	v_mov_b64_e32 v[10:11], v[6:7]
.LBB5_349:                              ;   Parent Loop BB5_81 Depth=1
                                        ;     Parent Loop BB5_265 Depth=2
                                        ; =>    This Inner Loop Header: Depth=3
	v_lshl_add_u64 v[28:29], v[8:9], 0, v[10:11]
	flat_load_ubyte v31, v[28:29] nt
	flat_load_ubyte v32, v[28:29] offset:64 nt
	flat_load_ubyte v33, v[28:29] offset:128 nt
	flat_load_ubyte v34, v[28:29] offset:192 nt
	flat_load_ubyte v35, v[28:29] offset:256 nt
	flat_load_ubyte v38, v[28:29] offset:320 nt
	flat_load_ubyte v55, v[28:29] offset:384 nt
	flat_load_ubyte v40, v[28:29] offset:448 nt
	v_sub_u32_e32 v20, v20, v48
	v_cmp_gt_i32_e32 vcc, 1, v20
	v_lshl_add_u64 v[28:29], v[8:9], 0, v[6:7]
	v_lshl_add_u64 v[10:11], v[10:11], 0, v[56:57]
	;; [unrolled: 1-line block ×3, first 2 shown]
	s_or_b64 s[56:57], vcc, s[56:57]
	s_waitcnt vmcnt(0) lgkmcnt(0)
	flat_store_byte v[28:29], v31 nt
	flat_store_byte v[28:29], v32 offset:64 nt
	flat_store_byte v[28:29], v33 offset:128 nt
	;; [unrolled: 1-line block ×7, first 2 shown]
	s_andn2_b64 exec, exec, s[56:57]
	s_cbranch_execnz .LBB5_349
; %bb.350:                              ;   in Loop: Header=BB5_265 Depth=2
	s_or_b64 exec, exec, s[56:57]
	v_accvgpr_read_b32 v35, a7
	v_accvgpr_read_b32 v34, a30
.LBB5_351:                              ;   in Loop: Header=BB5_265 Depth=2
	s_or_b64 exec, exec, s[54:55]
	v_lshlrev_b32_e32 v6, 9, v30
	v_cmp_ne_u32_e32 vcc, v5, v6
	s_and_saveexec_b64 s[54:55], vcc
	s_cbranch_execz .LBB5_355
; %bb.352:                              ;   in Loop: Header=BB5_265 Depth=2
	v_add_u32_e32 v7, v19, v21
	v_and_b32_e32 v7, 0xffffffc0, v7
	v_sub_u32_e32 v7, v19, v7
	v_lshlrev_b32_e32 v8, 6, v20
	v_sub_u32_e32 v7, v7, v8
	v_add_u32_e32 v8, v6, v7
	v_sub_u32_e32 v5, v5, v8
	v_cmp_lt_i32_e32 vcc, 0, v5
	s_and_b64 exec, exec, vcc
	s_cbranch_execz .LBB5_355
; %bb.353:                              ;   in Loop: Header=BB5_265 Depth=2
	s_trap 2
	ds_read_b64 v[6:7], v0
	v_add_u32_e32 v8, v8, v18
	v_ashrrev_i32_e32 v9, 31, v8
	s_mov_b64 s[56:57], 0
.LBB5_354:                              ;   Parent Loop BB5_81 Depth=1
                                        ;     Parent Loop BB5_265 Depth=2
                                        ; =>    This Inner Loop Header: Depth=3
	s_waitcnt lgkmcnt(0)
	v_lshl_add_u64 v[10:11], v[6:7], 0, v[8:9]
	flat_load_ubyte v18, v[10:11] nt
	v_sub_u32_e32 v5, v5, v24
	v_cmp_gt_i32_e32 vcc, 1, v5
	v_lshl_add_u64 v[8:9], v[8:9], 0, v[58:59]
	s_or_b64 s[56:57], vcc, s[56:57]
	s_waitcnt vmcnt(0) lgkmcnt(0)
	flat_store_byte v[10:11], v18 nt
	s_andn2_b64 exec, exec, s[56:57]
	s_cbranch_execnz .LBB5_354
.LBB5_355:                              ;   in Loop: Header=BB5_265 Depth=2
	s_or_b64 exec, exec, s[54:55]
.LBB5_356:                              ;   in Loop: Header=BB5_265 Depth=2
	s_or_b64 exec, exec, s[24:25]
.LBB5_357:                              ;   in Loop: Header=BB5_265 Depth=2
	s_and_saveexec_b64 s[24:25], s[4:5]
	s_cbranch_execz .LBB5_376
; %bb.358:                              ;   in Loop: Header=BB5_265 Depth=2
	s_and_saveexec_b64 vcc, s[40:41]
	s_xor_b64 s[54:55], exec, vcc
	s_cbranch_execz .LBB5_373
; %bb.359:                              ;   in Loop: Header=BB5_265 Depth=2
	s_and_saveexec_b64 s[56:57], s[12:13]
	s_cbranch_execz .LBB5_372
; %bb.360:                              ;   in Loop: Header=BB5_265 Depth=2
	s_mov_b64 s[60:61], exec
	v_mbcnt_lo_u32_b32 v5, s60, 0
	v_mbcnt_hi_u32_b32 v5, s61, v5
	v_cmp_eq_u32_e32 vcc, 0, v5
	s_waitcnt lgkmcnt(0)
	s_and_saveexec_b64 s[58:59], vcc
	s_cbranch_execz .LBB5_362
; %bb.361:                              ;   in Loop: Header=BB5_265 Depth=2
	s_bcnt1_i32_b64 vcc_lo, s[60:61]
	v_mov_b32_e32 v38, vcc_lo
	ds_add_u64 v0, v[38:39]
	s_trap 2
.LBB5_362:                              ;   in Loop: Header=BB5_265 Depth=2
	s_or_b64 exec, exec, s[58:59]
	s_trap 2
	ds_read_b64 v[6:7], v0
	v_lshl_add_u64 v[14:15], v[14:15], 0, v[48:49]
	s_waitcnt lgkmcnt(0)
	v_cmp_lt_u64_e32 vcc, v[6:7], v[14:15]
	s_and_saveexec_b64 s[58:59], vcc
	s_cbranch_execz .LBB5_371
; %bb.363:                              ;   in Loop: Header=BB5_265 Depth=2
	s_mov_b32 s77, 0
	s_mov_b64 s[60:61], 0
                                        ; implicit-def: $sgpr62_sgpr63
                                        ; implicit-def: $sgpr64_sgpr65
	s_branch .LBB5_365
.LBB5_364:                              ;   in Loop: Header=BB5_365 Depth=3
	s_or_b64 exec, exec, s[68:69]
	s_and_b64 vcc, exec, vcc
	s_or_b64 s[60:61], vcc, s[60:61]
	s_andn2_b64 vcc, s[62:63], exec
	s_and_b64 s[62:63], s[64:65], exec
	s_or_b64 s[62:63], vcc, s[62:63]
	s_andn2_b64 exec, exec, s[60:61]
	s_cbranch_execz .LBB5_369
.LBB5_365:                              ;   Parent Loop BB5_81 Depth=1
                                        ;     Parent Loop BB5_265 Depth=2
                                        ; =>    This Inner Loop Header: Depth=3
	s_add_i32 s77, s77, 1
	s_cmpk_lg_i32 s77, 0x2710
	s_cselect_b64 s[66:67], -1, 0
	s_and_b64 vcc, exec, s[66:67]
                                        ; implicit-def: $sgpr68_sgpr69
	s_cbranch_vccnz .LBB5_367
; %bb.366:                              ;   in Loop: Header=BB5_365 Depth=3
	s_trap 2
	ds_read_b64 v[6:7], v0
	s_andn2_b64 s[66:67], s[66:67], exec
	s_mov_b32 s77, 0
	s_mov_b64 s[68:69], -1
	s_waitcnt vmcnt(0) lgkmcnt(0)
	flat_load_dword v5, v[6:7] sc0 sc1
	s_waitcnt vmcnt(0) lgkmcnt(0)
	buffer_inv sc0 sc1
	v_cmp_eq_u32_e32 vcc, 0, v5
	s_and_b64 vcc, vcc, exec
	s_or_b64 s[66:67], s[66:67], vcc
.LBB5_367:                              ;   in Loop: Header=BB5_365 Depth=3
	s_andn2_b64 s[64:65], s[64:65], exec
	s_and_b64 s[68:69], s[68:69], exec
	s_mov_b64 vcc, -1
	s_or_b64 s[64:65], s[64:65], s[68:69]
	s_and_saveexec_b64 s[68:69], s[66:67]
	s_cbranch_execz .LBB5_364
; %bb.368:                              ;   in Loop: Header=BB5_365 Depth=3
	s_sleep 1
	s_trap 2
	ds_read_b64 v[6:7], v0
	s_andn2_b64 s[64:65], s[64:65], exec
	s_waitcnt lgkmcnt(0)
	v_cmp_ge_u64_e32 vcc, v[6:7], v[14:15]
	s_orn2_b64 vcc, vcc, exec
	s_branch .LBB5_364
.LBB5_369:                              ;   in Loop: Header=BB5_265 Depth=2
	s_or_b64 exec, exec, s[60:61]
	s_and_saveexec_b64 vcc, s[62:63]
	s_xor_b64 vcc, exec, vcc
	s_cbranch_execz .LBB5_371
; %bb.370:                              ;   in Loop: Header=BB5_265 Depth=2
	ds_write_b32 v0, v25
	s_trap 2
.LBB5_371:                              ;   in Loop: Header=BB5_265 Depth=2
	s_or_b64 exec, exec, s[58:59]
	;;#ASMSTART
	s_wakeup
	;;#ASMEND
.LBB5_372:                              ;   in Loop: Header=BB5_265 Depth=2
	s_or_b64 exec, exec, s[56:57]
.LBB5_373:                              ;   in Loop: Header=BB5_265 Depth=2
	s_andn2_saveexec_b64 vcc, s[54:55]
	s_cbranch_execz .LBB5_375
; %bb.374:                              ;   in Loop: Header=BB5_265 Depth=2
	s_waitcnt lgkmcnt(0)
	s_barrier
.LBB5_375:                              ;   in Loop: Header=BB5_265 Depth=2
	s_or_b64 exec, exec, vcc
.LBB5_376:                              ;   in Loop: Header=BB5_265 Depth=2
	s_or_b64 exec, exec, s[24:25]
	v_and_b32_e32 v5, 16, v62
	s_and_saveexec_b64 s[24:25], s[20:21]
	s_xor_b64 s[54:55], exec, s[24:25]
	s_cbranch_execz .LBB5_381
; %bb.377:                              ;   in Loop: Header=BB5_265 Depth=2
	v_cmp_lt_i32_e32 vcc, 0, v3
	v_and_b32_e32 v3, 16, v62
	v_cmp_ne_u32_e64 s[24:25], 0, v3
	v_and_b32_e32 v5, 16, v62
	s_and_b64 vcc, s[24:25], vcc
	s_and_saveexec_b64 s[24:25], vcc
	s_cbranch_execz .LBB5_379
; %bb.378:                              ;   in Loop: Header=BB5_265 Depth=2
	v_mov_b32_e32 v5, 1
	buffer_wbl2 sc1
	s_waitcnt vmcnt(0) lgkmcnt(0)
	buffer_inv sc1
.LBB5_379:                              ;   in Loop: Header=BB5_265 Depth=2
	s_or_b64 exec, exec, s[24:25]
	s_andn2_saveexec_b64 s[24:25], s[54:55]
	s_cbranch_execnz .LBB5_382
.LBB5_380:                              ;   in Loop: Header=BB5_265 Depth=2
	s_or_b64 exec, exec, s[24:25]
	v_cmp_ne_u32_e32 vcc, 0, v5
	s_and_saveexec_b64 s[24:25], vcc
	s_cbranch_execz .LBB5_264
	s_branch .LBB5_400
.LBB5_381:                              ;   in Loop: Header=BB5_265 Depth=2
	s_andn2_saveexec_b64 s[24:25], s[54:55]
	s_cbranch_execz .LBB5_380
.LBB5_382:                              ;   in Loop: Header=BB5_265 Depth=2
	s_and_saveexec_b64 vcc, s[40:41]
	s_xor_b64 s[54:55], exec, vcc
	s_cbranch_execz .LBB5_397
; %bb.383:                              ;   in Loop: Header=BB5_265 Depth=2
	s_and_saveexec_b64 s[56:57], s[12:13]
	s_cbranch_execz .LBB5_396
; %bb.384:                              ;   in Loop: Header=BB5_265 Depth=2
	s_mov_b64 s[60:61], exec
	v_mbcnt_lo_u32_b32 v3, s60, 0
	v_mbcnt_hi_u32_b32 v3, s61, v3
	v_cmp_eq_u32_e32 vcc, 0, v3
	;;#ASMSTART
	s_waitcnt lgkmcnt(0) vmcnt(0)
	;;#ASMEND
	s_and_saveexec_b64 s[58:59], vcc
	s_cbranch_execz .LBB5_386
; %bb.385:                              ;   in Loop: Header=BB5_265 Depth=2
	s_bcnt1_i32_b64 vcc_lo, s[60:61]
	v_mov_b32_e32 v38, vcc_lo
	ds_add_u64 v0, v[38:39]
	s_trap 2
.LBB5_386:                              ;   in Loop: Header=BB5_265 Depth=2
	s_or_b64 exec, exec, s[58:59]
	s_trap 2
	ds_read_b64 v[6:7], v0
	v_lshl_add_u64 v[14:15], v[14:15], 0, v[48:49]
	s_waitcnt lgkmcnt(0)
	v_cmp_lt_u64_e32 vcc, v[6:7], v[14:15]
	s_and_saveexec_b64 s[58:59], vcc
	s_cbranch_execz .LBB5_395
; %bb.387:                              ;   in Loop: Header=BB5_265 Depth=2
	s_mov_b32 s77, 0
	s_mov_b64 s[60:61], 0
                                        ; implicit-def: $sgpr62_sgpr63
                                        ; implicit-def: $sgpr64_sgpr65
	s_branch .LBB5_389
.LBB5_388:                              ;   in Loop: Header=BB5_389 Depth=3
	s_or_b64 exec, exec, s[68:69]
	s_and_b64 vcc, exec, vcc
	s_or_b64 s[60:61], vcc, s[60:61]
	s_andn2_b64 vcc, s[62:63], exec
	s_and_b64 s[62:63], s[64:65], exec
	s_or_b64 s[62:63], vcc, s[62:63]
	s_andn2_b64 exec, exec, s[60:61]
	s_cbranch_execz .LBB5_393
.LBB5_389:                              ;   Parent Loop BB5_81 Depth=1
                                        ;     Parent Loop BB5_265 Depth=2
                                        ; =>    This Inner Loop Header: Depth=3
	s_add_i32 s77, s77, 1
	s_cmpk_lg_i32 s77, 0x2710
	s_cselect_b64 s[66:67], -1, 0
	s_and_b64 vcc, exec, s[66:67]
                                        ; implicit-def: $sgpr68_sgpr69
	s_cbranch_vccnz .LBB5_391
; %bb.390:                              ;   in Loop: Header=BB5_389 Depth=3
	s_trap 2
	ds_read_b64 v[6:7], v0
	s_andn2_b64 s[66:67], s[66:67], exec
	s_mov_b32 s77, 0
	s_mov_b64 s[68:69], -1
	s_waitcnt vmcnt(0) lgkmcnt(0)
	flat_load_dword v3, v[6:7] sc0 sc1
	s_waitcnt vmcnt(0) lgkmcnt(0)
	buffer_inv sc0 sc1
	v_cmp_eq_u32_e32 vcc, 0, v3
	s_and_b64 vcc, vcc, exec
	s_or_b64 s[66:67], s[66:67], vcc
.LBB5_391:                              ;   in Loop: Header=BB5_389 Depth=3
	s_andn2_b64 s[64:65], s[64:65], exec
	s_and_b64 s[68:69], s[68:69], exec
	s_mov_b64 vcc, -1
	s_or_b64 s[64:65], s[64:65], s[68:69]
	s_and_saveexec_b64 s[68:69], s[66:67]
	s_cbranch_execz .LBB5_388
; %bb.392:                              ;   in Loop: Header=BB5_389 Depth=3
	s_sleep 1
	s_trap 2
	ds_read_b64 v[6:7], v0
	s_andn2_b64 s[64:65], s[64:65], exec
	s_waitcnt lgkmcnt(0)
	v_cmp_ge_u64_e32 vcc, v[6:7], v[14:15]
	s_orn2_b64 vcc, vcc, exec
	s_branch .LBB5_388
.LBB5_393:                              ;   in Loop: Header=BB5_265 Depth=2
	s_or_b64 exec, exec, s[60:61]
	s_and_saveexec_b64 vcc, s[62:63]
	s_xor_b64 vcc, exec, vcc
	s_cbranch_execz .LBB5_395
; %bb.394:                              ;   in Loop: Header=BB5_265 Depth=2
	ds_write_b32 v0, v25
	s_trap 2
.LBB5_395:                              ;   in Loop: Header=BB5_265 Depth=2
	s_or_b64 exec, exec, s[58:59]
	;;#ASMSTART
	s_wakeup
	;;#ASMEND
.LBB5_396:                              ;   in Loop: Header=BB5_265 Depth=2
	s_or_b64 exec, exec, s[56:57]
.LBB5_397:                              ;   in Loop: Header=BB5_265 Depth=2
	s_andn2_saveexec_b64 vcc, s[54:55]
	s_cbranch_execz .LBB5_399
; %bb.398:                              ;   in Loop: Header=BB5_265 Depth=2
	;;#ASMSTART
	s_waitcnt lgkmcnt(0) vmcnt(0)
	;;#ASMEND
	s_barrier
.LBB5_399:                              ;   in Loop: Header=BB5_265 Depth=2
	s_or_b64 exec, exec, vcc
	s_or_b64 exec, exec, s[24:25]
	v_cmp_ne_u32_e32 vcc, 0, v5
	s_and_saveexec_b64 s[24:25], vcc
	s_cbranch_execz .LBB5_264
.LBB5_400:                              ;   in Loop: Header=BB5_265 Depth=2
	s_and_saveexec_b64 vcc, s[10:11]
	s_cbranch_execz .LBB5_263
; %bb.401:                              ;   in Loop: Header=BB5_265 Depth=2
	flat_store_dword v[0:1], v25 sc0 sc1
	s_branch .LBB5_263
.LBB5_402:                              ;   in Loop: Header=BB5_81 Depth=1
	s_or_b64 exec, exec, s[54:55]
.LBB5_403:                              ;   in Loop: Header=BB5_81 Depth=1
	s_or_b64 exec, exec, s[52:53]
	v_cmp_gt_i32_e32 vcc, 2, v2
	s_and_saveexec_b64 s[26:27], vcc
	s_cbranch_execz .LBB5_547
; %bb.404:                              ;   in Loop: Header=BB5_81 Depth=1
	v_cmp_eq_u32_e64 s[24:25], 0, v2
	s_mov_b64 s[28:29], 0
	s_branch .LBB5_407
.LBB5_405:                              ;   in Loop: Header=BB5_407 Depth=2
	s_or_b64 exec, exec, vcc
	v_lshl_add_u64 v[50:51], v[50:51], 0, 2
	flat_store_dwordx2 v[26:27], v[50:51] sc0 sc1
.LBB5_406:                              ;   in Loop: Header=BB5_407 Depth=2
	s_or_b64 exec, exec, s[24:25]
	v_add_u32_e32 v40, v46, v40
	s_mov_b64 s[24:25], 0
	s_andn2_b64 exec, exec, s[28:29]
	s_cbranch_execz .LBB5_546
.LBB5_407:                              ;   Parent Loop BB5_81 Depth=1
                                        ; =>  This Loop Header: Depth=2
                                        ;       Child Loop BB5_413 Depth 3
                                        ;       Child Loop BB5_437 Depth 3
	;; [unrolled: 1-line block ×3, first 2 shown]
	v_and_b32_e32 v2, 8, v62
	s_mov_b64 s[54:55], -1
	v_cmp_ne_u32_e32 vcc, 0, v2
	v_lshl_add_u64 v[2:3], v[50:51], 0, 2
	s_and_saveexec_b64 s[52:53], vcc
	s_cbranch_execz .LBB5_419
; %bb.408:                              ;   in Loop: Header=BB5_407 Depth=2
	v_lshl_add_u64 v[6:7], v[36:37], 0, 8
	v_lshl_add_u64 v[4:5], v[50:51], 0, 2
	v_cmp_lt_u64_e32 vcc, v[6:7], v[4:5]
	v_mov_b32_e32 v6, 1
	s_and_saveexec_b64 s[54:55], vcc
	s_cbranch_execz .LBB5_418
; %bb.409:                              ;   in Loop: Header=BB5_407 Depth=2
	s_mov_b64 s[56:57], 0
	v_mov_b32_e32 v6, 0
                                        ; implicit-def: $sgpr58_sgpr59
	s_branch .LBB5_413
.LBB5_410:                              ;   in Loop: Header=BB5_413 Depth=3
	s_or_b64 exec, exec, s[66:67]
	v_mov_b32_e32 v7, 0
	s_orn2_b64 s[64:65], s[64:65], exec
.LBB5_411:                              ;   in Loop: Header=BB5_413 Depth=3
	s_or_b64 exec, exec, s[62:63]
	s_andn2_b64 vcc, s[58:59], exec
	s_and_b64 s[58:59], s[64:65], exec
	s_or_b64 s[58:59], vcc, s[58:59]
	v_mov_b32_e32 v6, v7
.LBB5_412:                              ;   in Loop: Header=BB5_413 Depth=3
	s_or_b64 exec, exec, s[60:61]
	s_waitcnt vmcnt(0) lgkmcnt(0)
	v_lshl_add_u64 v[8:9], v[36:37], 0, 8
	v_cmp_ge_u64_e32 vcc, v[8:9], v[4:5]
	s_xor_b64 s[60:61], s[58:59], -1
	s_or_b64 vcc, s[60:61], vcc
	s_and_b64 vcc, exec, vcc
	s_or_b64 s[56:57], vcc, s[56:57]
	s_andn2_b64 exec, exec, s[56:57]
	s_cbranch_execz .LBB5_417
.LBB5_413:                              ;   Parent Loop BB5_81 Depth=1
                                        ;     Parent Loop BB5_407 Depth=2
                                        ; =>    This Inner Loop Header: Depth=3
	s_sleep 1
	flat_load_dwordx2 v[36:37], v[26:27] sc0 sc1
	v_and_b32_e32 v7, 64, v62
	v_cmp_eq_u32_e32 vcc, 0, v7
	s_andn2_b64 s[58:59], s[58:59], exec
	s_and_saveexec_b64 s[60:61], vcc
	s_cbranch_execz .LBB5_412
; %bb.414:                              ;   in Loop: Header=BB5_413 Depth=3
	v_add_u32_e32 v7, 1, v6
	v_cmp_lt_i32_e32 vcc, s72, v6
	s_mov_b64 s[64:65], -1
	s_and_saveexec_b64 s[62:63], vcc
	s_cbranch_execz .LBB5_411
; %bb.415:                              ;   in Loop: Header=BB5_413 Depth=3
	s_trap 2
	ds_read_b64 v[6:7], v0
	s_waitcnt vmcnt(0) lgkmcnt(0)
	flat_load_dword v6, v[6:7] sc0 sc1
	s_waitcnt vmcnt(0) lgkmcnt(0)
	buffer_inv sc0 sc1
	v_cmp_ne_u32_e32 vcc, 0, v6
	s_and_saveexec_b64 s[66:67], vcc
	s_cbranch_execz .LBB5_410
; %bb.416:                              ;   in Loop: Header=BB5_413 Depth=3
	v_or_b32_e32 v62, 64, v62
	s_xor_b64 s[64:65], exec, -1
	ds_write_b32 v0, v6
	s_trap 2
	s_branch .LBB5_410
.LBB5_417:                              ;   in Loop: Header=BB5_407 Depth=2
	s_or_b64 exec, exec, s[56:57]
	v_and_b32_e32 v6, 8, v62
.LBB5_418:                              ;   in Loop: Header=BB5_407 Depth=2
	s_or_b64 exec, exec, s[54:55]
	v_cmp_eq_u32_e32 vcc, 0, v6
	s_orn2_b64 s[54:55], vcc, exec
	;;#ASMSTART
	s_wakeup
	;;#ASMEND
.LBB5_419:                              ;   in Loop: Header=BB5_407 Depth=2
	s_or_b64 exec, exec, s[52:53]
	s_xor_b64 s[24:25], s[24:25], -1
	s_and_b64 s[24:25], exec, s[24:25]
	s_or_b64 s[28:29], s[24:25], s[28:29]
	v_sub_u32_e32 v4, v54, v40
	s_xor_b64 s[24:25], s[54:55], -1
	v_min_i32_e32 v46, v46, v4
	s_and_saveexec_b64 s[52:53], s[24:25]
	s_cbranch_execz .LBB5_429
; %bb.420:                              ;   in Loop: Header=BB5_407 Depth=2
	v_and_b32_e32 v4, 0x100, v62
	v_cmp_ne_u32_e32 vcc, 0, v4
	v_and_b32_e32 v8, 7, v50
	s_mov_b64 s[24:25], -1
                                        ; implicit-def: $vgpr4_vgpr5
	s_and_saveexec_b64 s[54:55], vcc
	s_cbranch_execz .LBB5_424
; %bb.421:                              ;   in Loop: Header=BB5_407 Depth=2
	v_accvgpr_read_b32 v4, a20
	v_accvgpr_read_b32 v5, a21
	v_mad_u64_u32 v[6:7], s[24:25], v8, 24, v[4:5]
	flat_load_dword v4, v[6:7]
	v_ashrrev_i32_e32 v47, 31, v46
	flat_store_dwordx2 v[6:7], v[46:47] offset:8
	s_waitcnt vmcnt(0) lgkmcnt(0)
	v_cmp_ne_u32_e32 vcc, 1, v4
	v_cmp_eq_u32_e64 s[24:25], 1, v4
                                        ; implicit-def: $vgpr4_vgpr5
	s_and_saveexec_b64 s[56:57], s[24:25]
	s_cbranch_execz .LBB5_423
; %bb.422:                              ;   in Loop: Header=BB5_407 Depth=2
	flat_load_dword v4, v[6:7] offset:4 sc0 sc1
	s_waitcnt vmcnt(0) lgkmcnt(0)
	v_ashrrev_i32_e32 v5, 31, v4
.LBB5_423:                              ;   in Loop: Header=BB5_407 Depth=2
	s_or_b64 exec, exec, s[56:57]
	s_orn2_b64 s[24:25], vcc, exec
.LBB5_424:                              ;   in Loop: Header=BB5_407 Depth=2
	s_or_b64 exec, exec, s[54:55]
	s_and_saveexec_b64 vcc, s[24:25]
; %bb.425:                              ;   in Loop: Header=BB5_407 Depth=2
	v_mad_i64_i32 v[4:5], s[24:25], v8, v52, 0
; %bb.426:                              ;   in Loop: Header=BB5_407 Depth=2
	s_or_b64 exec, exec, vcc
	v_lshl_add_u64 v[4:5], v[12:13], 0, v[4:5]
	ds_write_b64 v0, v[4:5] offset:792
	v_and_b32_e32 v4, 0x2000, v62
	v_cmp_ne_u32_e32 vcc, 0, v4
	s_and_saveexec_b64 s[24:25], vcc
	s_cbranch_execz .LBB5_428
; %bb.427:                              ;   in Loop: Header=BB5_407 Depth=2
	ds_read_b64 v[4:5], v0 offset:584
	s_waitcnt lgkmcnt(0)
	v_lshl_add_u64 v[4:5], v[4:5], 0, 1
	ds_write_b64 v0, v[4:5] offset:584
.LBB5_428:                              ;   in Loop: Header=BB5_407 Depth=2
	s_or_b64 exec, exec, s[24:25]
	v_mov_b64_e32 v[50:51], v[2:3]
.LBB5_429:                              ;   in Loop: Header=BB5_407 Depth=2
	s_or_b64 exec, exec, s[52:53]
	s_and_saveexec_b64 s[24:25], s[4:5]
	s_cbranch_execz .LBB5_448
; %bb.430:                              ;   in Loop: Header=BB5_407 Depth=2
	s_and_saveexec_b64 vcc, s[40:41]
	s_xor_b64 s[52:53], exec, vcc
	s_cbranch_execz .LBB5_445
; %bb.431:                              ;   in Loop: Header=BB5_407 Depth=2
	s_and_saveexec_b64 s[54:55], s[12:13]
	s_cbranch_execz .LBB5_444
; %bb.432:                              ;   in Loop: Header=BB5_407 Depth=2
	s_mov_b64 s[58:59], exec
	v_mbcnt_lo_u32_b32 v2, s58, 0
	v_mbcnt_hi_u32_b32 v2, s59, v2
	v_cmp_eq_u32_e32 vcc, 0, v2
	s_waitcnt lgkmcnt(0)
	s_and_saveexec_b64 s[56:57], vcc
	s_cbranch_execz .LBB5_434
; %bb.433:                              ;   in Loop: Header=BB5_407 Depth=2
	s_bcnt1_i32_b64 vcc_lo, s[58:59]
	v_mov_b32_e32 v38, vcc_lo
	ds_add_u64 v0, v[38:39]
	s_trap 2
.LBB5_434:                              ;   in Loop: Header=BB5_407 Depth=2
	s_or_b64 exec, exec, s[56:57]
	s_trap 2
	ds_read_b64 v[2:3], v0
	v_lshl_add_u64 v[14:15], v[14:15], 0, v[48:49]
	s_waitcnt lgkmcnt(0)
	v_cmp_lt_u64_e32 vcc, v[2:3], v[14:15]
	s_and_saveexec_b64 s[56:57], vcc
	s_cbranch_execz .LBB5_443
; %bb.435:                              ;   in Loop: Header=BB5_407 Depth=2
	s_mov_b32 s68, 0
	s_mov_b64 s[58:59], 0
                                        ; implicit-def: $sgpr60_sgpr61
                                        ; implicit-def: $sgpr62_sgpr63
	s_branch .LBB5_437
.LBB5_436:                              ;   in Loop: Header=BB5_437 Depth=3
	s_or_b64 exec, exec, s[66:67]
	s_and_b64 vcc, exec, vcc
	s_or_b64 s[58:59], vcc, s[58:59]
	s_andn2_b64 vcc, s[60:61], exec
	s_and_b64 s[60:61], s[62:63], exec
	s_or_b64 s[60:61], vcc, s[60:61]
	s_andn2_b64 exec, exec, s[58:59]
	s_cbranch_execz .LBB5_441
.LBB5_437:                              ;   Parent Loop BB5_81 Depth=1
                                        ;     Parent Loop BB5_407 Depth=2
                                        ; =>    This Inner Loop Header: Depth=3
	s_add_i32 s68, s68, 1
	s_cmpk_lg_i32 s68, 0x2710
	s_cselect_b64 s[64:65], -1, 0
	s_and_b64 vcc, exec, s[64:65]
                                        ; implicit-def: $sgpr66_sgpr67
	s_cbranch_vccnz .LBB5_439
; %bb.438:                              ;   in Loop: Header=BB5_437 Depth=3
	s_trap 2
	ds_read_b64 v[2:3], v0
	s_andn2_b64 s[64:65], s[64:65], exec
	s_mov_b32 s68, 0
	s_mov_b64 s[66:67], -1
	s_waitcnt vmcnt(0) lgkmcnt(0)
	flat_load_dword v2, v[2:3] sc0 sc1
	s_waitcnt vmcnt(0) lgkmcnt(0)
	buffer_inv sc0 sc1
	v_cmp_eq_u32_e32 vcc, 0, v2
	s_and_b64 vcc, vcc, exec
	s_or_b64 s[64:65], s[64:65], vcc
.LBB5_439:                              ;   in Loop: Header=BB5_437 Depth=3
	s_andn2_b64 s[62:63], s[62:63], exec
	s_and_b64 s[66:67], s[66:67], exec
	s_mov_b64 vcc, -1
	s_or_b64 s[62:63], s[62:63], s[66:67]
	s_and_saveexec_b64 s[66:67], s[64:65]
	s_cbranch_execz .LBB5_436
; %bb.440:                              ;   in Loop: Header=BB5_437 Depth=3
	s_sleep 1
	s_trap 2
	ds_read_b64 v[2:3], v0
	s_andn2_b64 s[62:63], s[62:63], exec
	s_waitcnt lgkmcnt(0)
	v_cmp_ge_u64_e32 vcc, v[2:3], v[14:15]
	s_orn2_b64 vcc, vcc, exec
	s_branch .LBB5_436
.LBB5_441:                              ;   in Loop: Header=BB5_407 Depth=2
	s_or_b64 exec, exec, s[58:59]
	s_and_saveexec_b64 vcc, s[60:61]
	s_xor_b64 vcc, exec, vcc
	s_cbranch_execz .LBB5_443
; %bb.442:                              ;   in Loop: Header=BB5_407 Depth=2
	ds_write_b32 v0, v25
	s_trap 2
.LBB5_443:                              ;   in Loop: Header=BB5_407 Depth=2
	s_or_b64 exec, exec, s[56:57]
	;;#ASMSTART
	s_wakeup
	;;#ASMEND
.LBB5_444:                              ;   in Loop: Header=BB5_407 Depth=2
	s_or_b64 exec, exec, s[54:55]
.LBB5_445:                              ;   in Loop: Header=BB5_407 Depth=2
	s_andn2_saveexec_b64 vcc, s[52:53]
	s_cbranch_execz .LBB5_447
; %bb.446:                              ;   in Loop: Header=BB5_407 Depth=2
	s_waitcnt lgkmcnt(0)
	s_barrier
.LBB5_447:                              ;   in Loop: Header=BB5_407 Depth=2
	s_or_b64 exec, exec, vcc
.LBB5_448:                              ;   in Loop: Header=BB5_407 Depth=2
	s_or_b64 exec, exec, s[24:25]
	v_and_b32_e32 v2, 16, v62
	s_and_saveexec_b64 s[24:25], s[20:21]
	s_xor_b64 s[24:25], exec, s[24:25]
	s_cbranch_execz .LBB5_453
; %bb.449:                              ;   in Loop: Header=BB5_407 Depth=2
	s_trap 2
	ds_read_b32 v3, v0
	v_cmp_lt_i32_e32 vcc, 0, v46
	v_and_b32_e32 v4, 16, v62
	v_and_b32_e32 v2, 16, v62
	s_waitcnt lgkmcnt(0)
	v_readfirstlane_b32 s52, v3
	s_cmp_eq_u32 s52, 0
	s_cselect_b64 s[52:53], -1, 0
	s_and_b64 s[52:53], vcc, s[52:53]
	v_cmp_ne_u32_e32 vcc, 0, v4
	s_and_b64 s[52:53], vcc, s[52:53]
	s_and_saveexec_b64 vcc, s[52:53]
	s_cbranch_execz .LBB5_451
; %bb.450:                              ;   in Loop: Header=BB5_407 Depth=2
	v_mov_b32_e32 v2, 1
	buffer_wbl2 sc1
	s_waitcnt vmcnt(0)
	buffer_inv sc1
.LBB5_451:                              ;   in Loop: Header=BB5_407 Depth=2
	s_or_b64 exec, exec, vcc
	s_andn2_saveexec_b64 s[24:25], s[24:25]
	s_cbranch_execnz .LBB5_454
.LBB5_452:                              ;   in Loop: Header=BB5_407 Depth=2
	s_or_b64 exec, exec, s[24:25]
	v_cmp_ne_u32_e32 vcc, 0, v2
	s_and_saveexec_b64 s[24:25], vcc
	s_cbranch_execz .LBB5_406
	s_branch .LBB5_472
.LBB5_453:                              ;   in Loop: Header=BB5_407 Depth=2
	s_andn2_saveexec_b64 s[24:25], s[24:25]
	s_cbranch_execz .LBB5_452
.LBB5_454:                              ;   in Loop: Header=BB5_407 Depth=2
	s_and_saveexec_b64 vcc, s[40:41]
	s_xor_b64 s[52:53], exec, vcc
	s_cbranch_execz .LBB5_469
; %bb.455:                              ;   in Loop: Header=BB5_407 Depth=2
	s_and_saveexec_b64 s[54:55], s[12:13]
	s_cbranch_execz .LBB5_468
; %bb.456:                              ;   in Loop: Header=BB5_407 Depth=2
	s_mov_b64 s[58:59], exec
	v_mbcnt_lo_u32_b32 v3, s58, 0
	v_mbcnt_hi_u32_b32 v3, s59, v3
	v_cmp_eq_u32_e32 vcc, 0, v3
	;;#ASMSTART
	s_waitcnt lgkmcnt(0) vmcnt(0)
	;;#ASMEND
	s_and_saveexec_b64 s[56:57], vcc
	s_cbranch_execz .LBB5_458
; %bb.457:                              ;   in Loop: Header=BB5_407 Depth=2
	s_bcnt1_i32_b64 vcc_lo, s[58:59]
	v_mov_b32_e32 v38, vcc_lo
	ds_add_u64 v0, v[38:39]
	s_trap 2
.LBB5_458:                              ;   in Loop: Header=BB5_407 Depth=2
	s_or_b64 exec, exec, s[56:57]
	s_trap 2
	ds_read_b64 v[4:5], v0
	v_lshl_add_u64 v[14:15], v[14:15], 0, v[48:49]
	s_waitcnt lgkmcnt(0)
	v_cmp_lt_u64_e32 vcc, v[4:5], v[14:15]
	s_and_saveexec_b64 s[56:57], vcc
	s_cbranch_execz .LBB5_467
; %bb.459:                              ;   in Loop: Header=BB5_407 Depth=2
	s_mov_b32 s68, 0
	s_mov_b64 s[58:59], 0
                                        ; implicit-def: $sgpr60_sgpr61
                                        ; implicit-def: $sgpr62_sgpr63
	s_branch .LBB5_461
.LBB5_460:                              ;   in Loop: Header=BB5_461 Depth=3
	s_or_b64 exec, exec, s[66:67]
	s_and_b64 vcc, exec, vcc
	s_or_b64 s[58:59], vcc, s[58:59]
	s_andn2_b64 vcc, s[60:61], exec
	s_and_b64 s[60:61], s[62:63], exec
	s_or_b64 s[60:61], vcc, s[60:61]
	s_andn2_b64 exec, exec, s[58:59]
	s_cbranch_execz .LBB5_465
.LBB5_461:                              ;   Parent Loop BB5_81 Depth=1
                                        ;     Parent Loop BB5_407 Depth=2
                                        ; =>    This Inner Loop Header: Depth=3
	s_add_i32 s68, s68, 1
	s_cmpk_lg_i32 s68, 0x2710
	s_cselect_b64 s[64:65], -1, 0
	s_and_b64 vcc, exec, s[64:65]
                                        ; implicit-def: $sgpr66_sgpr67
	s_cbranch_vccnz .LBB5_463
; %bb.462:                              ;   in Loop: Header=BB5_461 Depth=3
	s_trap 2
	ds_read_b64 v[4:5], v0
	s_andn2_b64 s[64:65], s[64:65], exec
	s_mov_b32 s68, 0
	s_mov_b64 s[66:67], -1
	s_waitcnt vmcnt(0) lgkmcnt(0)
	flat_load_dword v3, v[4:5] sc0 sc1
	s_waitcnt vmcnt(0) lgkmcnt(0)
	buffer_inv sc0 sc1
	v_cmp_eq_u32_e32 vcc, 0, v3
	s_and_b64 vcc, vcc, exec
	s_or_b64 s[64:65], s[64:65], vcc
.LBB5_463:                              ;   in Loop: Header=BB5_461 Depth=3
	s_andn2_b64 s[62:63], s[62:63], exec
	s_and_b64 s[66:67], s[66:67], exec
	s_mov_b64 vcc, -1
	s_or_b64 s[62:63], s[62:63], s[66:67]
	s_and_saveexec_b64 s[66:67], s[64:65]
	s_cbranch_execz .LBB5_460
; %bb.464:                              ;   in Loop: Header=BB5_461 Depth=3
	s_sleep 1
	s_trap 2
	ds_read_b64 v[4:5], v0
	s_andn2_b64 s[62:63], s[62:63], exec
	s_waitcnt lgkmcnt(0)
	v_cmp_ge_u64_e32 vcc, v[4:5], v[14:15]
	s_orn2_b64 vcc, vcc, exec
	s_branch .LBB5_460
.LBB5_465:                              ;   in Loop: Header=BB5_407 Depth=2
	s_or_b64 exec, exec, s[58:59]
	s_and_saveexec_b64 vcc, s[60:61]
	s_xor_b64 vcc, exec, vcc
	s_cbranch_execz .LBB5_467
; %bb.466:                              ;   in Loop: Header=BB5_407 Depth=2
	ds_write_b32 v0, v25
	s_trap 2
.LBB5_467:                              ;   in Loop: Header=BB5_407 Depth=2
	s_or_b64 exec, exec, s[56:57]
	;;#ASMSTART
	s_wakeup
	;;#ASMEND
.LBB5_468:                              ;   in Loop: Header=BB5_407 Depth=2
	s_or_b64 exec, exec, s[54:55]
.LBB5_469:                              ;   in Loop: Header=BB5_407 Depth=2
	s_andn2_saveexec_b64 vcc, s[52:53]
	s_cbranch_execz .LBB5_471
; %bb.470:                              ;   in Loop: Header=BB5_407 Depth=2
	;;#ASMSTART
	s_waitcnt lgkmcnt(0) vmcnt(0)
	;;#ASMEND
	s_barrier
.LBB5_471:                              ;   in Loop: Header=BB5_407 Depth=2
	s_or_b64 exec, exec, vcc
	s_or_b64 exec, exec, s[24:25]
	v_cmp_ne_u32_e32 vcc, 0, v2
	s_and_saveexec_b64 s[24:25], vcc
	s_cbranch_execz .LBB5_406
.LBB5_472:                              ;   in Loop: Header=BB5_407 Depth=2
	s_and_saveexec_b64 vcc, s[10:11]
	s_cbranch_execz .LBB5_405
; %bb.473:                              ;   in Loop: Header=BB5_407 Depth=2
	flat_store_dword v[0:1], v25 sc0 sc1
	s_branch .LBB5_405
.LBB5_474:                              ;   in Loop: Header=BB5_81 Depth=1
	s_or_b64 exec, exec, s[50:51]
.LBB5_475:                              ;   in Loop: Header=BB5_81 Depth=1
	s_or_b64 exec, exec, s[28:29]
	v_cmp_gt_i32_e32 vcc, 2, v3
	s_and_saveexec_b64 s[28:29], vcc
	s_cbranch_execz .LBB5_810
; %bb.476:                              ;   in Loop: Header=BB5_81 Depth=1
	v_cmp_eq_u32_e64 s[24:25], 0, v3
	s_mov_b64 s[50:51], 0
	s_branch .LBB5_479
.LBB5_477:                              ;   in Loop: Header=BB5_479 Depth=2
	s_or_b64 exec, exec, vcc
	v_lshl_add_u64 v[50:51], v[50:51], 0, 2
	flat_store_dwordx2 v[26:27], v[50:51] sc0 sc1
.LBB5_478:                              ;   in Loop: Header=BB5_479 Depth=2
	s_or_b64 exec, exec, s[24:25]
	v_add_u32_e32 v2, v4, v2
	s_mov_b64 s[24:25], 0
	s_andn2_b64 exec, exec, s[50:51]
	s_cbranch_execz .LBB5_809
.LBB5_479:                              ;   Parent Loop BB5_81 Depth=1
                                        ; =>  This Loop Header: Depth=2
                                        ;       Child Loop BB5_485 Depth 3
                                        ;       Child Loop BB5_509 Depth 3
	;; [unrolled: 1-line block ×3, first 2 shown]
	v_and_b32_e32 v3, 8, v62
	s_mov_b64 s[54:55], -1
	v_cmp_ne_u32_e32 vcc, 0, v3
	v_lshl_add_u64 v[18:19], v[50:51], 0, 2
	s_and_saveexec_b64 s[52:53], vcc
	s_cbranch_execz .LBB5_491
; %bb.480:                              ;   in Loop: Header=BB5_479 Depth=2
	v_lshl_add_u64 v[8:9], v[36:37], 0, 8
	v_lshl_add_u64 v[6:7], v[50:51], 0, 2
	v_cmp_lt_u64_e32 vcc, v[8:9], v[6:7]
	v_mov_b32_e32 v3, 1
	s_and_saveexec_b64 s[54:55], vcc
	s_cbranch_execz .LBB5_490
; %bb.481:                              ;   in Loop: Header=BB5_479 Depth=2
	s_mov_b64 s[56:57], 0
	v_mov_b32_e32 v3, 0
                                        ; implicit-def: $sgpr58_sgpr59
	s_branch .LBB5_485
.LBB5_482:                              ;   in Loop: Header=BB5_485 Depth=3
	s_or_b64 exec, exec, s[66:67]
	v_mov_b32_e32 v5, 0
	s_orn2_b64 s[64:65], s[64:65], exec
.LBB5_483:                              ;   in Loop: Header=BB5_485 Depth=3
	s_or_b64 exec, exec, s[62:63]
	s_andn2_b64 vcc, s[58:59], exec
	s_and_b64 s[58:59], s[64:65], exec
	s_or_b64 s[58:59], vcc, s[58:59]
	v_mov_b32_e32 v3, v5
.LBB5_484:                              ;   in Loop: Header=BB5_485 Depth=3
	s_or_b64 exec, exec, s[60:61]
	s_waitcnt vmcnt(0) lgkmcnt(0)
	v_lshl_add_u64 v[8:9], v[36:37], 0, 8
	v_cmp_ge_u64_e32 vcc, v[8:9], v[6:7]
	s_xor_b64 s[60:61], s[58:59], -1
	s_or_b64 vcc, s[60:61], vcc
	s_and_b64 vcc, exec, vcc
	s_or_b64 s[56:57], vcc, s[56:57]
	s_andn2_b64 exec, exec, s[56:57]
	s_cbranch_execz .LBB5_489
.LBB5_485:                              ;   Parent Loop BB5_81 Depth=1
                                        ;     Parent Loop BB5_479 Depth=2
                                        ; =>    This Inner Loop Header: Depth=3
	s_sleep 1
	flat_load_dwordx2 v[36:37], v[26:27] sc0 sc1
	v_and_b32_e32 v5, 64, v62
	v_cmp_eq_u32_e32 vcc, 0, v5
	s_andn2_b64 s[58:59], s[58:59], exec
	s_and_saveexec_b64 s[60:61], vcc
	s_cbranch_execz .LBB5_484
; %bb.486:                              ;   in Loop: Header=BB5_485 Depth=3
	v_add_u32_e32 v5, 1, v3
	v_cmp_lt_i32_e32 vcc, s72, v3
	s_mov_b64 s[64:65], -1
	s_and_saveexec_b64 s[62:63], vcc
	s_cbranch_execz .LBB5_483
; %bb.487:                              ;   in Loop: Header=BB5_485 Depth=3
	s_trap 2
	ds_read_b64 v[8:9], v0
	s_waitcnt vmcnt(0) lgkmcnt(0)
	flat_load_dword v3, v[8:9] sc0 sc1
	s_waitcnt vmcnt(0) lgkmcnt(0)
	buffer_inv sc0 sc1
	v_cmp_ne_u32_e32 vcc, 0, v3
	s_and_saveexec_b64 s[66:67], vcc
	s_cbranch_execz .LBB5_482
; %bb.488:                              ;   in Loop: Header=BB5_485 Depth=3
	v_or_b32_e32 v62, 64, v62
	s_xor_b64 s[64:65], exec, -1
	ds_write_b32 v0, v3
	s_trap 2
	s_branch .LBB5_482
.LBB5_489:                              ;   in Loop: Header=BB5_479 Depth=2
	s_or_b64 exec, exec, s[56:57]
	v_and_b32_e32 v3, 8, v62
.LBB5_490:                              ;   in Loop: Header=BB5_479 Depth=2
	s_or_b64 exec, exec, s[54:55]
	v_cmp_eq_u32_e32 vcc, 0, v3
	s_orn2_b64 s[54:55], vcc, exec
	;;#ASMSTART
	s_wakeup
	;;#ASMEND
.LBB5_491:                              ;   in Loop: Header=BB5_479 Depth=2
	s_or_b64 exec, exec, s[52:53]
	s_xor_b64 s[24:25], s[24:25], -1
	s_and_b64 s[24:25], exec, s[24:25]
	s_or_b64 s[50:51], s[24:25], s[50:51]
	v_sub_u32_e32 v3, v54, v2
	s_xor_b64 s[24:25], s[54:55], -1
	v_min_i32_e32 v4, v4, v3
	s_and_saveexec_b64 s[52:53], s[24:25]
	s_cbranch_execz .LBB5_501
; %bb.492:                              ;   in Loop: Header=BB5_479 Depth=2
	v_and_b32_e32 v3, 0x100, v62
	v_cmp_ne_u32_e32 vcc, 0, v3
	v_and_b32_e32 v3, 7, v50
	s_mov_b64 s[24:25], -1
                                        ; implicit-def: $vgpr6_vgpr7
	s_and_saveexec_b64 s[54:55], vcc
	s_cbranch_execz .LBB5_496
; %bb.493:                              ;   in Loop: Header=BB5_479 Depth=2
	v_accvgpr_read_b32 v6, a20
	v_accvgpr_read_b32 v7, a21
	v_mad_u64_u32 v[8:9], s[24:25], v3, 24, v[6:7]
	flat_load_dword v6, v[8:9]
	v_ashrrev_i32_e32 v5, 31, v4
	flat_store_dwordx2 v[8:9], v[4:5] offset:8
	s_waitcnt vmcnt(0) lgkmcnt(0)
	v_cmp_ne_u32_e32 vcc, 1, v6
	v_cmp_eq_u32_e64 s[24:25], 1, v6
                                        ; implicit-def: $vgpr6_vgpr7
	s_and_saveexec_b64 s[56:57], s[24:25]
	s_cbranch_execz .LBB5_495
; %bb.494:                              ;   in Loop: Header=BB5_479 Depth=2
	flat_load_dword v6, v[8:9] offset:4 sc0 sc1
	s_waitcnt vmcnt(0) lgkmcnt(0)
	v_ashrrev_i32_e32 v7, 31, v6
.LBB5_495:                              ;   in Loop: Header=BB5_479 Depth=2
	s_or_b64 exec, exec, s[56:57]
	s_orn2_b64 s[24:25], vcc, exec
.LBB5_496:                              ;   in Loop: Header=BB5_479 Depth=2
	s_or_b64 exec, exec, s[54:55]
	s_and_saveexec_b64 vcc, s[24:25]
; %bb.497:                              ;   in Loop: Header=BB5_479 Depth=2
	v_mad_i64_i32 v[6:7], s[24:25], v3, v52, 0
; %bb.498:                              ;   in Loop: Header=BB5_479 Depth=2
	s_or_b64 exec, exec, vcc
	v_and_b32_e32 v3, 0x2000, v62
	v_lshl_add_u64 v[6:7], v[12:13], 0, v[6:7]
	v_cmp_ne_u32_e32 vcc, 0, v3
	ds_write_b64 v0, v[6:7] offset:784
	s_and_saveexec_b64 s[24:25], vcc
	s_cbranch_execz .LBB5_500
; %bb.499:                              ;   in Loop: Header=BB5_479 Depth=2
	ds_read_b64 v[6:7], v0 offset:584
	s_waitcnt lgkmcnt(0)
	v_lshl_add_u64 v[6:7], v[6:7], 0, 1
	ds_write_b64 v0, v[6:7] offset:584
.LBB5_500:                              ;   in Loop: Header=BB5_479 Depth=2
	s_or_b64 exec, exec, s[24:25]
	v_mov_b64_e32 v[50:51], v[18:19]
.LBB5_501:                              ;   in Loop: Header=BB5_479 Depth=2
	s_or_b64 exec, exec, s[52:53]
	s_and_saveexec_b64 s[24:25], s[4:5]
	s_cbranch_execz .LBB5_520
; %bb.502:                              ;   in Loop: Header=BB5_479 Depth=2
	s_and_saveexec_b64 vcc, s[40:41]
	s_xor_b64 s[52:53], exec, vcc
	s_cbranch_execz .LBB5_517
; %bb.503:                              ;   in Loop: Header=BB5_479 Depth=2
	s_and_saveexec_b64 s[54:55], s[12:13]
	s_cbranch_execz .LBB5_516
; %bb.504:                              ;   in Loop: Header=BB5_479 Depth=2
	s_mov_b64 s[58:59], exec
	v_mbcnt_lo_u32_b32 v3, s58, 0
	v_mbcnt_hi_u32_b32 v3, s59, v3
	v_cmp_eq_u32_e32 vcc, 0, v3
	s_waitcnt lgkmcnt(0)
	s_and_saveexec_b64 s[56:57], vcc
	s_cbranch_execz .LBB5_506
; %bb.505:                              ;   in Loop: Header=BB5_479 Depth=2
	s_bcnt1_i32_b64 vcc_lo, s[58:59]
	v_mov_b32_e32 v38, vcc_lo
	ds_add_u64 v0, v[38:39]
	s_trap 2
.LBB5_506:                              ;   in Loop: Header=BB5_479 Depth=2
	s_or_b64 exec, exec, s[56:57]
	s_trap 2
	ds_read_b64 v[6:7], v0
	v_lshl_add_u64 v[14:15], v[14:15], 0, v[48:49]
	s_waitcnt lgkmcnt(0)
	v_cmp_lt_u64_e32 vcc, v[6:7], v[14:15]
	s_and_saveexec_b64 s[56:57], vcc
	s_cbranch_execz .LBB5_515
; %bb.507:                              ;   in Loop: Header=BB5_479 Depth=2
	s_mov_b32 s68, 0
	s_mov_b64 s[58:59], 0
                                        ; implicit-def: $sgpr60_sgpr61
                                        ; implicit-def: $sgpr62_sgpr63
	s_branch .LBB5_509
.LBB5_508:                              ;   in Loop: Header=BB5_509 Depth=3
	s_or_b64 exec, exec, s[66:67]
	s_and_b64 vcc, exec, vcc
	s_or_b64 s[58:59], vcc, s[58:59]
	s_andn2_b64 vcc, s[60:61], exec
	s_and_b64 s[60:61], s[62:63], exec
	s_or_b64 s[60:61], vcc, s[60:61]
	s_andn2_b64 exec, exec, s[58:59]
	s_cbranch_execz .LBB5_513
.LBB5_509:                              ;   Parent Loop BB5_81 Depth=1
                                        ;     Parent Loop BB5_479 Depth=2
                                        ; =>    This Inner Loop Header: Depth=3
	s_add_i32 s68, s68, 1
	s_cmpk_lg_i32 s68, 0x2710
	s_cselect_b64 s[64:65], -1, 0
	s_and_b64 vcc, exec, s[64:65]
                                        ; implicit-def: $sgpr66_sgpr67
	s_cbranch_vccnz .LBB5_511
; %bb.510:                              ;   in Loop: Header=BB5_509 Depth=3
	s_trap 2
	ds_read_b64 v[6:7], v0
	s_andn2_b64 s[64:65], s[64:65], exec
	s_mov_b32 s68, 0
	s_mov_b64 s[66:67], -1
	s_waitcnt vmcnt(0) lgkmcnt(0)
	flat_load_dword v3, v[6:7] sc0 sc1
	s_waitcnt vmcnt(0) lgkmcnt(0)
	buffer_inv sc0 sc1
	v_cmp_eq_u32_e32 vcc, 0, v3
	s_and_b64 vcc, vcc, exec
	s_or_b64 s[64:65], s[64:65], vcc
.LBB5_511:                              ;   in Loop: Header=BB5_509 Depth=3
	s_andn2_b64 s[62:63], s[62:63], exec
	s_and_b64 s[66:67], s[66:67], exec
	s_mov_b64 vcc, -1
	s_or_b64 s[62:63], s[62:63], s[66:67]
	s_and_saveexec_b64 s[66:67], s[64:65]
	s_cbranch_execz .LBB5_508
; %bb.512:                              ;   in Loop: Header=BB5_509 Depth=3
	s_sleep 1
	s_trap 2
	ds_read_b64 v[6:7], v0
	s_andn2_b64 s[62:63], s[62:63], exec
	s_waitcnt lgkmcnt(0)
	v_cmp_ge_u64_e32 vcc, v[6:7], v[14:15]
	s_orn2_b64 vcc, vcc, exec
	s_branch .LBB5_508
.LBB5_513:                              ;   in Loop: Header=BB5_479 Depth=2
	s_or_b64 exec, exec, s[58:59]
	s_and_saveexec_b64 vcc, s[60:61]
	s_xor_b64 vcc, exec, vcc
	s_cbranch_execz .LBB5_515
; %bb.514:                              ;   in Loop: Header=BB5_479 Depth=2
	ds_write_b32 v0, v25
	s_trap 2
.LBB5_515:                              ;   in Loop: Header=BB5_479 Depth=2
	s_or_b64 exec, exec, s[56:57]
	;;#ASMSTART
	s_wakeup
	;;#ASMEND
.LBB5_516:                              ;   in Loop: Header=BB5_479 Depth=2
	s_or_b64 exec, exec, s[54:55]
.LBB5_517:                              ;   in Loop: Header=BB5_479 Depth=2
	s_andn2_saveexec_b64 vcc, s[52:53]
	s_cbranch_execz .LBB5_519
; %bb.518:                              ;   in Loop: Header=BB5_479 Depth=2
	s_waitcnt lgkmcnt(0)
	s_barrier
.LBB5_519:                              ;   in Loop: Header=BB5_479 Depth=2
	s_or_b64 exec, exec, vcc
.LBB5_520:                              ;   in Loop: Header=BB5_479 Depth=2
	s_or_b64 exec, exec, s[24:25]
	v_and_b32_e32 v3, 16, v62
	s_and_saveexec_b64 s[24:25], s[20:21]
	s_xor_b64 s[24:25], exec, s[24:25]
	s_cbranch_execz .LBB5_525
; %bb.521:                              ;   in Loop: Header=BB5_479 Depth=2
	s_trap 2
	ds_read_b32 v5, v0
	v_cmp_lt_i32_e32 vcc, 0, v4
	v_and_b32_e32 v6, 16, v62
	v_and_b32_e32 v3, 16, v62
	s_waitcnt lgkmcnt(0)
	v_readfirstlane_b32 s52, v5
	s_cmp_eq_u32 s52, 0
	s_cselect_b64 s[52:53], -1, 0
	s_and_b64 s[52:53], vcc, s[52:53]
	v_cmp_ne_u32_e32 vcc, 0, v6
	s_and_b64 s[52:53], vcc, s[52:53]
	s_and_saveexec_b64 vcc, s[52:53]
	s_cbranch_execz .LBB5_523
; %bb.522:                              ;   in Loop: Header=BB5_479 Depth=2
	v_mov_b32_e32 v3, 1
	buffer_wbl2 sc1
	s_waitcnt vmcnt(0)
	buffer_inv sc1
.LBB5_523:                              ;   in Loop: Header=BB5_479 Depth=2
	s_or_b64 exec, exec, vcc
	s_andn2_saveexec_b64 s[24:25], s[24:25]
	s_cbranch_execnz .LBB5_526
.LBB5_524:                              ;   in Loop: Header=BB5_479 Depth=2
	s_or_b64 exec, exec, s[24:25]
	v_cmp_ne_u32_e32 vcc, 0, v3
	s_and_saveexec_b64 s[24:25], vcc
	s_cbranch_execz .LBB5_478
	s_branch .LBB5_544
.LBB5_525:                              ;   in Loop: Header=BB5_479 Depth=2
	s_andn2_saveexec_b64 s[24:25], s[24:25]
	s_cbranch_execz .LBB5_524
.LBB5_526:                              ;   in Loop: Header=BB5_479 Depth=2
	s_and_saveexec_b64 vcc, s[40:41]
	s_xor_b64 s[52:53], exec, vcc
	s_cbranch_execz .LBB5_541
; %bb.527:                              ;   in Loop: Header=BB5_479 Depth=2
	s_and_saveexec_b64 s[54:55], s[12:13]
	s_cbranch_execz .LBB5_540
; %bb.528:                              ;   in Loop: Header=BB5_479 Depth=2
	s_mov_b64 s[58:59], exec
	v_mbcnt_lo_u32_b32 v5, s58, 0
	v_mbcnt_hi_u32_b32 v5, s59, v5
	v_cmp_eq_u32_e32 vcc, 0, v5
	;;#ASMSTART
	s_waitcnt lgkmcnt(0) vmcnt(0)
	;;#ASMEND
	s_and_saveexec_b64 s[56:57], vcc
	s_cbranch_execz .LBB5_530
; %bb.529:                              ;   in Loop: Header=BB5_479 Depth=2
	s_bcnt1_i32_b64 vcc_lo, s[58:59]
	v_mov_b32_e32 v38, vcc_lo
	ds_add_u64 v0, v[38:39]
	s_trap 2
.LBB5_530:                              ;   in Loop: Header=BB5_479 Depth=2
	s_or_b64 exec, exec, s[56:57]
	s_trap 2
	ds_read_b64 v[6:7], v0
	v_lshl_add_u64 v[14:15], v[14:15], 0, v[48:49]
	s_waitcnt lgkmcnt(0)
	v_cmp_lt_u64_e32 vcc, v[6:7], v[14:15]
	s_and_saveexec_b64 s[56:57], vcc
	s_cbranch_execz .LBB5_539
; %bb.531:                              ;   in Loop: Header=BB5_479 Depth=2
	s_mov_b32 s68, 0
	s_mov_b64 s[58:59], 0
                                        ; implicit-def: $sgpr60_sgpr61
                                        ; implicit-def: $sgpr62_sgpr63
	s_branch .LBB5_533
.LBB5_532:                              ;   in Loop: Header=BB5_533 Depth=3
	s_or_b64 exec, exec, s[66:67]
	s_and_b64 vcc, exec, vcc
	s_or_b64 s[58:59], vcc, s[58:59]
	s_andn2_b64 vcc, s[60:61], exec
	s_and_b64 s[60:61], s[62:63], exec
	s_or_b64 s[60:61], vcc, s[60:61]
	s_andn2_b64 exec, exec, s[58:59]
	s_cbranch_execz .LBB5_537
.LBB5_533:                              ;   Parent Loop BB5_81 Depth=1
                                        ;     Parent Loop BB5_479 Depth=2
                                        ; =>    This Inner Loop Header: Depth=3
	s_add_i32 s68, s68, 1
	s_cmpk_lg_i32 s68, 0x2710
	s_cselect_b64 s[64:65], -1, 0
	s_and_b64 vcc, exec, s[64:65]
                                        ; implicit-def: $sgpr66_sgpr67
	s_cbranch_vccnz .LBB5_535
; %bb.534:                              ;   in Loop: Header=BB5_533 Depth=3
	s_trap 2
	ds_read_b64 v[6:7], v0
	s_andn2_b64 s[64:65], s[64:65], exec
	s_mov_b32 s68, 0
	s_mov_b64 s[66:67], -1
	s_waitcnt vmcnt(0) lgkmcnt(0)
	flat_load_dword v5, v[6:7] sc0 sc1
	s_waitcnt vmcnt(0) lgkmcnt(0)
	buffer_inv sc0 sc1
	v_cmp_eq_u32_e32 vcc, 0, v5
	s_and_b64 vcc, vcc, exec
	s_or_b64 s[64:65], s[64:65], vcc
.LBB5_535:                              ;   in Loop: Header=BB5_533 Depth=3
	s_andn2_b64 s[62:63], s[62:63], exec
	s_and_b64 s[66:67], s[66:67], exec
	s_mov_b64 vcc, -1
	s_or_b64 s[62:63], s[62:63], s[66:67]
	s_and_saveexec_b64 s[66:67], s[64:65]
	s_cbranch_execz .LBB5_532
; %bb.536:                              ;   in Loop: Header=BB5_533 Depth=3
	s_sleep 1
	s_trap 2
	ds_read_b64 v[6:7], v0
	s_andn2_b64 s[62:63], s[62:63], exec
	s_waitcnt lgkmcnt(0)
	v_cmp_ge_u64_e32 vcc, v[6:7], v[14:15]
	s_orn2_b64 vcc, vcc, exec
	s_branch .LBB5_532
.LBB5_537:                              ;   in Loop: Header=BB5_479 Depth=2
	s_or_b64 exec, exec, s[58:59]
	s_and_saveexec_b64 vcc, s[60:61]
	s_xor_b64 vcc, exec, vcc
	s_cbranch_execz .LBB5_539
; %bb.538:                              ;   in Loop: Header=BB5_479 Depth=2
	ds_write_b32 v0, v25
	s_trap 2
.LBB5_539:                              ;   in Loop: Header=BB5_479 Depth=2
	s_or_b64 exec, exec, s[56:57]
	;;#ASMSTART
	s_wakeup
	;;#ASMEND
.LBB5_540:                              ;   in Loop: Header=BB5_479 Depth=2
	s_or_b64 exec, exec, s[54:55]
.LBB5_541:                              ;   in Loop: Header=BB5_479 Depth=2
	s_andn2_saveexec_b64 vcc, s[52:53]
	s_cbranch_execz .LBB5_543
; %bb.542:                              ;   in Loop: Header=BB5_479 Depth=2
	;;#ASMSTART
	s_waitcnt lgkmcnt(0) vmcnt(0)
	;;#ASMEND
	s_barrier
.LBB5_543:                              ;   in Loop: Header=BB5_479 Depth=2
	s_or_b64 exec, exec, vcc
	s_or_b64 exec, exec, s[24:25]
	v_cmp_ne_u32_e32 vcc, 0, v3
	s_and_saveexec_b64 s[24:25], vcc
	s_cbranch_execz .LBB5_478
.LBB5_544:                              ;   in Loop: Header=BB5_479 Depth=2
	s_and_saveexec_b64 vcc, s[10:11]
	s_cbranch_execz .LBB5_477
; %bb.545:                              ;   in Loop: Header=BB5_479 Depth=2
	flat_store_dword v[0:1], v25 sc0 sc1
	s_branch .LBB5_477
.LBB5_546:                              ;   in Loop: Header=BB5_81 Depth=1
	s_or_b64 exec, exec, s[28:29]
.LBB5_547:                              ;   in Loop: Header=BB5_81 Depth=1
	s_or_b64 exec, exec, s[26:27]
	v_accvgpr_read_b32 v47, a25
	v_accvgpr_read_b32 v46, a24
	s_andn2_saveexec_b64 s[26:27], s[50:51]
	s_cbranch_execnz .LBB5_261
.LBB5_548:                              ;   in Loop: Header=BB5_81 Depth=1
	s_or_b64 exec, exec, s[26:27]
	s_andn2_b64 vcc, exec, s[46:47]
	s_cbranch_vccnz .LBB5_811
.LBB5_549:                              ;   in Loop: Header=BB5_81 Depth=1
	v_accvgpr_write_b32 a24, v46
	v_accvgpr_write_b32 a25, v47
	s_mov_b32 s68, 1
.LBB5_550:                              ;   Parent Loop BB5_81 Depth=1
                                        ; =>  This Loop Header: Depth=2
                                        ;       Child Loop BB5_553 Depth 3
                                        ;         Child Loop BB5_561 Depth 4
                                        ;         Child Loop BB5_587 Depth 4
	;; [unrolled: 1-line block ×4, first 2 shown]
                                        ;           Child Loop BB5_628 Depth 5
                                        ;         Child Loop BB5_634 Depth 4
                                        ;           Child Loop BB5_635 Depth 5
                                        ;         Child Loop BB5_644 Depth 4
                                        ;         Child Loop BB5_649 Depth 4
                                        ;           Child Loop BB5_650 Depth 5
                                        ;         Child Loop BB5_663 Depth 4
                                        ;         Child Loop BB5_668 Depth 4
	;; [unrolled: 1-line block ×6, first 2 shown]
                                        ;       Child Loop BB5_733 Depth 3
                                        ;         Child Loop BB5_739 Depth 4
                                        ;         Child Loop BB5_777 Depth 4
                                        ;         Child Loop BB5_765 Depth 4
	v_mov_b32_e32 v2, 0
	v_mov_b32_e32 v40, v17
	;; [unrolled: 1-line block ×3, first 2 shown]
	s_and_saveexec_b64 s[50:51], s[22:23]
	s_cbranch_execz .LBB5_730
; %bb.551:                              ;   in Loop: Header=BB5_550 Depth=2
	s_sub_i32 s24, s70, s68
	s_ashr_i32 s25, s24, 31
	v_accvgpr_read_b32 v2, a4
	s_lshl_b64 s[24:25], s[24:25], 2
	v_accvgpr_read_b32 v3, a5
	v_lshl_add_u64 v[2:3], v[2:3], 0, s[24:25]
	flat_load_dword v2, v[2:3]
	v_accvgpr_read_b32 v6, a14
	v_accvgpr_read_b32 v8, a36
	;; [unrolled: 1-line block ×4, first 2 shown]
	s_mov_b32 s69, 1
	s_mov_b64 s[54:55], -1
	s_mov_b64 s[52:53], 0
	v_mov_b32_e32 v46, 0
	v_mov_b32_e32 v40, v17
	s_waitcnt vmcnt(0) lgkmcnt(0)
	v_ashrrev_i32_e32 v3, 31, v2
	v_mul_lo_u32 v4, v7, v2
	v_mad_u64_u32 v[18:19], s[24:25], v6, v2, v[8:9]
	v_mul_lo_u32 v2, v6, v3
	v_add3_u32 v19, v4, v19, v2
	s_branch .LBB5_553
.LBB5_552:                              ;   in Loop: Header=BB5_553 Depth=3
	s_or_b64 exec, exec, s[24:25]
	v_add_u32_e32 v46, v40, v46
	v_cmp_ge_i32_e32 vcc, v46, v54
	s_xor_b64 s[24:25], s[54:55], -1
	s_or_b64 s[24:25], s[24:25], vcc
	s_and_b64 s[24:25], exec, s[24:25]
	s_or_b64 s[52:53], s[24:25], s[52:53]
	s_mov_b64 s[54:55], 0
	v_mov_b32_e32 v2, s69
	s_mov_b32 s69, 2
	s_andn2_b64 exec, exec, s[52:53]
	s_cbranch_execz .LBB5_803
.LBB5_553:                              ;   Parent Loop BB5_81 Depth=1
                                        ;     Parent Loop BB5_550 Depth=2
                                        ; =>    This Loop Header: Depth=3
                                        ;         Child Loop BB5_561 Depth 4
                                        ;         Child Loop BB5_587 Depth 4
	;; [unrolled: 1-line block ×4, first 2 shown]
                                        ;           Child Loop BB5_628 Depth 5
                                        ;         Child Loop BB5_634 Depth 4
                                        ;           Child Loop BB5_635 Depth 5
                                        ;         Child Loop BB5_644 Depth 4
                                        ;         Child Loop BB5_649 Depth 4
                                        ;           Child Loop BB5_650 Depth 5
                                        ;         Child Loop BB5_663 Depth 4
                                        ;         Child Loop BB5_668 Depth 4
	;; [unrolled: 1-line block ×6, first 2 shown]
	s_and_saveexec_b64 s[24:25], s[0:1]
	s_cbranch_execz .LBB5_555
; %bb.554:                              ;   in Loop: Header=BB5_553 Depth=3
	s_trap 2
	ds_read_b128 v[2:5], v0
	v_ashrrev_i32_e32 v47, 31, v46
	s_waitcnt lgkmcnt(0)
	v_lshl_add_u64 v[2:3], v[2:3], 0, v[18:19]
	v_lshl_add_u64 v[6:7], v[4:5], 0, v[18:19]
	;; [unrolled: 1-line block ×4, first 2 shown]
	v_cmp_ne_u64_e32 vcc, 0, v[4:5]
	ds_write_b64 v0, v[2:3]
	s_nop 0
	v_cndmask_b32_e32 v3, 0, v7, vcc
	v_cndmask_b32_e32 v2, 0, v6, vcc
	ds_write_b64 v0, v[2:3]
.LBB5_555:                              ;   in Loop: Header=BB5_553 Depth=3
	s_or_b64 exec, exec, s[24:25]
	v_and_b32_e32 v2, 12, v62
	v_cmp_ne_u32_e32 vcc, 0, v2
	s_mov_b64 s[26:27], -1
	s_and_saveexec_b64 s[24:25], vcc
	s_cbranch_execz .LBB5_567
; %bb.556:                              ;   in Loop: Header=BB5_553 Depth=3
	v_and_b32_e32 v38, 8, v62
	v_lshl_add_u64 v[4:5], v[36:37], 0, v[38:39]
	v_lshl_add_u64 v[2:3], v[50:51], 0, 2
	v_cmp_lt_u64_e32 vcc, v[4:5], v[2:3]
	v_mov_b32_e32 v4, 1
	s_and_saveexec_b64 s[26:27], vcc
	s_cbranch_execz .LBB5_566
; %bb.557:                              ;   in Loop: Header=BB5_553 Depth=3
	s_mov_b64 s[28:29], 0
	v_mov_b32_e32 v4, 0
                                        ; implicit-def: $sgpr56_sgpr57
	s_branch .LBB5_561
.LBB5_558:                              ;   in Loop: Header=BB5_561 Depth=4
	s_or_b64 exec, exec, s[64:65]
	v_mov_b32_e32 v5, 0
	s_orn2_b64 s[62:63], s[62:63], exec
.LBB5_559:                              ;   in Loop: Header=BB5_561 Depth=4
	s_or_b64 exec, exec, s[60:61]
	s_andn2_b64 vcc, s[56:57], exec
	s_and_b64 s[56:57], s[62:63], exec
	s_or_b64 s[56:57], vcc, s[56:57]
	v_mov_b32_e32 v4, v5
.LBB5_560:                              ;   in Loop: Header=BB5_561 Depth=4
	s_or_b64 exec, exec, s[58:59]
	s_waitcnt vmcnt(0) lgkmcnt(0)
	v_lshl_add_u64 v[6:7], v[36:37], 0, v[38:39]
	v_cmp_ge_u64_e32 vcc, v[6:7], v[2:3]
	s_xor_b64 s[58:59], s[56:57], -1
	s_or_b64 vcc, s[58:59], vcc
	s_and_b64 vcc, exec, vcc
	s_or_b64 s[28:29], vcc, s[28:29]
	s_andn2_b64 exec, exec, s[28:29]
	s_cbranch_execz .LBB5_565
.LBB5_561:                              ;   Parent Loop BB5_81 Depth=1
                                        ;     Parent Loop BB5_550 Depth=2
                                        ;       Parent Loop BB5_553 Depth=3
                                        ; =>      This Inner Loop Header: Depth=4
	s_sleep 1
	flat_load_dwordx2 v[36:37], v[26:27] sc0 sc1
	v_and_b32_e32 v5, 64, v62
	v_cmp_eq_u32_e32 vcc, 0, v5
	s_andn2_b64 s[56:57], s[56:57], exec
	s_and_saveexec_b64 s[58:59], vcc
	s_cbranch_execz .LBB5_560
; %bb.562:                              ;   in Loop: Header=BB5_561 Depth=4
	v_add_u32_e32 v5, 1, v4
	v_cmp_lt_i32_e32 vcc, s72, v4
	s_mov_b64 s[62:63], -1
	s_and_saveexec_b64 s[60:61], vcc
	s_cbranch_execz .LBB5_559
; %bb.563:                              ;   in Loop: Header=BB5_561 Depth=4
	s_trap 2
	ds_read_b64 v[4:5], v0
	s_waitcnt vmcnt(0) lgkmcnt(0)
	flat_load_dword v4, v[4:5] sc0 sc1
	s_waitcnt vmcnt(0) lgkmcnt(0)
	buffer_inv sc0 sc1
	v_cmp_ne_u32_e32 vcc, 0, v4
	s_and_saveexec_b64 s[64:65], vcc
	s_cbranch_execz .LBB5_558
; %bb.564:                              ;   in Loop: Header=BB5_561 Depth=4
	v_or_b32_e32 v62, 64, v62
	s_xor_b64 s[62:63], exec, -1
	ds_write_b32 v0, v4
	s_trap 2
	s_branch .LBB5_558
.LBB5_565:                              ;   in Loop: Header=BB5_553 Depth=3
	s_or_b64 exec, exec, s[28:29]
	v_and_b32_e32 v4, 12, v62
.LBB5_566:                              ;   in Loop: Header=BB5_553 Depth=3
	s_or_b64 exec, exec, s[26:27]
	v_cmp_eq_u32_e32 vcc, 0, v4
	s_orn2_b64 s[26:27], vcc, exec
	;;#ASMSTART
	s_wakeup
	;;#ASMEND
.LBB5_567:                              ;   in Loop: Header=BB5_553 Depth=3
	s_or_b64 exec, exec, s[24:25]
	v_sub_u32_e32 v2, v54, v46
	s_xor_b64 s[24:25], s[26:27], -1
	v_min_i32_e32 v40, v40, v2
	s_and_saveexec_b64 s[26:27], s[24:25]
	s_cbranch_execz .LBB5_579
; %bb.568:                              ;   in Loop: Header=BB5_553 Depth=3
	v_and_b32_e32 v2, 0x108, v62
	v_cmp_ne_u32_e32 vcc, s73, v2
	v_and_b32_e32 v2, 7, v50
	s_and_saveexec_b64 s[24:25], vcc
	s_xor_b64 s[24:25], exec, s[24:25]
	s_andn2_saveexec_b64 s[24:25], s[24:25]
	s_cbranch_execz .LBB5_570
; %bb.569:                              ;   in Loop: Header=BB5_553 Depth=3
	v_accvgpr_read_b32 v4, a20
	v_accvgpr_read_b32 v5, a21
	v_mad_u64_u32 v[4:5], s[28:29], v2, 24, v[4:5]
	v_ashrrev_i32_e32 v41, 31, v40
	flat_store_dwordx2 v[4:5], v[40:41] offset:8
.LBB5_570:                              ;   in Loop: Header=BB5_553 Depth=3
	s_or_b64 exec, exec, s[24:25]
	v_and_b32_e32 v3, 0x100, v62
	v_cmp_ne_u32_e32 vcc, 0, v3
	s_mov_b64 s[24:25], -1
                                        ; implicit-def: $vgpr4_vgpr5
	s_and_saveexec_b64 s[28:29], vcc
	s_cbranch_execz .LBB5_574
; %bb.571:                              ;   in Loop: Header=BB5_553 Depth=3
	v_accvgpr_read_b32 v4, a20
	v_accvgpr_read_b32 v5, a21
	v_mad_u64_u32 v[6:7], s[24:25], v2, 24, v[4:5]
	v_mov_b32_e32 v4, v7
	v_mad_u64_u32 v[4:5], s[24:25], v39, 24, v[4:5]
	v_mov_b32_e32 v7, v4
	flat_load_dword v3, v[6:7]
                                        ; implicit-def: $vgpr4_vgpr5
	s_waitcnt vmcnt(0) lgkmcnt(0)
	v_cmp_ne_u32_e32 vcc, 1, v3
	v_cmp_eq_u32_e64 s[24:25], 1, v3
	s_and_saveexec_b64 s[56:57], s[24:25]
	s_cbranch_execz .LBB5_573
; %bb.572:                              ;   in Loop: Header=BB5_553 Depth=3
	flat_load_dword v4, v[6:7] offset:4 sc0 sc1
	s_waitcnt vmcnt(0) lgkmcnt(0)
	v_ashrrev_i32_e32 v5, 31, v4
.LBB5_573:                              ;   in Loop: Header=BB5_553 Depth=3
	s_or_b64 exec, exec, s[56:57]
	s_orn2_b64 s[24:25], vcc, exec
.LBB5_574:                              ;   in Loop: Header=BB5_553 Depth=3
	s_or_b64 exec, exec, s[28:29]
	s_and_saveexec_b64 s[28:29], s[24:25]
; %bb.575:                              ;   in Loop: Header=BB5_553 Depth=3
	v_mul_lo_u32 v3, v39, v52
	v_mul_lo_u32 v6, v2, v35
	v_mad_u64_u32 v[4:5], s[24:25], v2, v52, 0
	v_add3_u32 v5, v5, v6, v3
; %bb.576:                              ;   in Loop: Header=BB5_553 Depth=3
	s_or_b64 exec, exec, s[28:29]
	v_lshl_add_u64 v[2:3], v[12:13], 0, v[4:5]
	s_trap 2
	ds_write_b64 v0, v[2:3]
	v_and_b32_e32 v2, 0x2000, v62
	v_cmp_ne_u32_e32 vcc, 0, v2
	s_and_saveexec_b64 s[24:25], vcc
	s_cbranch_execz .LBB5_578
; %bb.577:                              ;   in Loop: Header=BB5_553 Depth=3
	ds_read_b64 v[2:3], v0 offset:584
	s_waitcnt lgkmcnt(0)
	v_lshl_add_u64 v[2:3], v[2:3], 0, 1
	ds_write_b64 v0, v[2:3] offset:584
.LBB5_578:                              ;   in Loop: Header=BB5_553 Depth=3
	s_or_b64 exec, exec, s[24:25]
	v_lshl_add_u64 v[50:51], v[50:51], 0, 2
.LBB5_579:                              ;   in Loop: Header=BB5_553 Depth=3
	s_or_b64 exec, exec, s[26:27]
	s_and_saveexec_b64 s[24:25], s[4:5]
	s_cbranch_execz .LBB5_598
; %bb.580:                              ;   in Loop: Header=BB5_553 Depth=3
	s_and_saveexec_b64 s[26:27], s[40:41]
	s_xor_b64 s[26:27], exec, s[26:27]
	s_cbranch_execz .LBB5_595
; %bb.581:                              ;   in Loop: Header=BB5_553 Depth=3
	s_and_saveexec_b64 s[28:29], s[12:13]
	s_cbranch_execz .LBB5_594
; %bb.582:                              ;   in Loop: Header=BB5_553 Depth=3
	s_mov_b64 s[58:59], exec
	v_mbcnt_lo_u32_b32 v2, s58, 0
	v_mbcnt_hi_u32_b32 v2, s59, v2
	v_cmp_eq_u32_e32 vcc, 0, v2
	s_waitcnt lgkmcnt(0)
	s_and_saveexec_b64 s[56:57], vcc
	s_cbranch_execz .LBB5_584
; %bb.583:                              ;   in Loop: Header=BB5_553 Depth=3
	s_bcnt1_i32_b64 vcc_lo, s[58:59]
	v_mov_b32_e32 v38, vcc_lo
	ds_add_u64 v0, v[38:39]
	s_trap 2
.LBB5_584:                              ;   in Loop: Header=BB5_553 Depth=3
	s_or_b64 exec, exec, s[56:57]
	s_trap 2
	ds_read_b64 v[2:3], v0
	v_lshl_add_u64 v[14:15], v[14:15], 0, v[48:49]
	s_waitcnt lgkmcnt(0)
	v_cmp_lt_u64_e32 vcc, v[2:3], v[14:15]
	s_and_saveexec_b64 s[56:57], vcc
	s_cbranch_execz .LBB5_593
; %bb.585:                              ;   in Loop: Header=BB5_553 Depth=3
	s_mov_b32 s76, 0
	s_mov_b64 s[58:59], 0
                                        ; implicit-def: $sgpr60_sgpr61
                                        ; implicit-def: $sgpr62_sgpr63
	s_branch .LBB5_587
.LBB5_586:                              ;   in Loop: Header=BB5_587 Depth=4
	s_or_b64 exec, exec, s[66:67]
	s_and_b64 vcc, exec, vcc
	s_or_b64 s[58:59], vcc, s[58:59]
	s_andn2_b64 vcc, s[60:61], exec
	s_and_b64 s[60:61], s[62:63], exec
	s_or_b64 s[60:61], vcc, s[60:61]
	s_andn2_b64 exec, exec, s[58:59]
	s_cbranch_execz .LBB5_591
.LBB5_587:                              ;   Parent Loop BB5_81 Depth=1
                                        ;     Parent Loop BB5_550 Depth=2
                                        ;       Parent Loop BB5_553 Depth=3
                                        ; =>      This Inner Loop Header: Depth=4
	s_add_i32 s76, s76, 1
	s_cmpk_lg_i32 s76, 0x2710
	s_cselect_b64 s[64:65], -1, 0
	s_and_b64 vcc, exec, s[64:65]
                                        ; implicit-def: $sgpr66_sgpr67
	s_cbranch_vccnz .LBB5_589
; %bb.588:                              ;   in Loop: Header=BB5_587 Depth=4
	s_trap 2
	ds_read_b64 v[2:3], v0
	s_andn2_b64 s[64:65], s[64:65], exec
	s_mov_b32 s76, 0
	s_mov_b64 s[66:67], -1
	s_waitcnt vmcnt(0) lgkmcnt(0)
	flat_load_dword v2, v[2:3] sc0 sc1
	s_waitcnt vmcnt(0) lgkmcnt(0)
	buffer_inv sc0 sc1
	v_cmp_eq_u32_e32 vcc, 0, v2
	s_and_b64 vcc, vcc, exec
	s_or_b64 s[64:65], s[64:65], vcc
.LBB5_589:                              ;   in Loop: Header=BB5_587 Depth=4
	s_andn2_b64 s[62:63], s[62:63], exec
	s_and_b64 s[66:67], s[66:67], exec
	s_mov_b64 vcc, -1
	s_or_b64 s[62:63], s[62:63], s[66:67]
	s_and_saveexec_b64 s[66:67], s[64:65]
	s_cbranch_execz .LBB5_586
; %bb.590:                              ;   in Loop: Header=BB5_587 Depth=4
	s_sleep 1
	s_trap 2
	ds_read_b64 v[2:3], v0
	s_andn2_b64 s[62:63], s[62:63], exec
	s_waitcnt lgkmcnt(0)
	v_cmp_ge_u64_e32 vcc, v[2:3], v[14:15]
	s_orn2_b64 vcc, vcc, exec
	s_branch .LBB5_586
.LBB5_591:                              ;   in Loop: Header=BB5_553 Depth=3
	s_or_b64 exec, exec, s[58:59]
	s_and_saveexec_b64 vcc, s[60:61]
	s_xor_b64 vcc, exec, vcc
	s_cbranch_execz .LBB5_593
; %bb.592:                              ;   in Loop: Header=BB5_553 Depth=3
	ds_write_b32 v0, v25
	s_trap 2
.LBB5_593:                              ;   in Loop: Header=BB5_553 Depth=3
	s_or_b64 exec, exec, s[56:57]
	;;#ASMSTART
	s_wakeup
	;;#ASMEND
.LBB5_594:                              ;   in Loop: Header=BB5_553 Depth=3
	s_or_b64 exec, exec, s[28:29]
.LBB5_595:                              ;   in Loop: Header=BB5_553 Depth=3
	s_andn2_saveexec_b64 s[26:27], s[26:27]
	s_cbranch_execz .LBB5_597
; %bb.596:                              ;   in Loop: Header=BB5_553 Depth=3
	s_waitcnt lgkmcnt(0)
	s_barrier
.LBB5_597:                              ;   in Loop: Header=BB5_553 Depth=3
	s_or_b64 exec, exec, s[26:27]
.LBB5_598:                              ;   in Loop: Header=BB5_553 Depth=3
	s_or_b64 exec, exec, s[24:25]
	s_trap 2
	ds_read_b32 v2, v0
	v_and_b32_e32 v3, 0x4000, v62
	v_cmp_ne_u32_e32 vcc, 0, v3
	s_xor_b64 s[24:25], s[2:3], -1
	s_and_b64 s[26:27], s[24:25], vcc
	s_and_saveexec_b64 s[24:25], s[26:27]
	s_cbranch_execz .LBB5_617
; %bb.599:                              ;   in Loop: Header=BB5_553 Depth=3
	s_and_saveexec_b64 s[26:27], s[40:41]
	s_xor_b64 s[26:27], exec, s[26:27]
	s_cbranch_execz .LBB5_614
; %bb.600:                              ;   in Loop: Header=BB5_553 Depth=3
	s_and_saveexec_b64 s[28:29], s[12:13]
	s_cbranch_execz .LBB5_613
; %bb.601:                              ;   in Loop: Header=BB5_553 Depth=3
	s_mov_b64 s[58:59], exec
	v_mbcnt_lo_u32_b32 v3, s58, 0
	v_mbcnt_hi_u32_b32 v3, s59, v3
	v_cmp_eq_u32_e32 vcc, 0, v3
	s_waitcnt lgkmcnt(0)
	s_and_saveexec_b64 s[56:57], vcc
	s_cbranch_execz .LBB5_603
; %bb.602:                              ;   in Loop: Header=BB5_553 Depth=3
	s_bcnt1_i32_b64 vcc_lo, s[58:59]
	v_mov_b32_e32 v38, vcc_lo
	ds_add_u64 v0, v[38:39]
	s_trap 2
.LBB5_603:                              ;   in Loop: Header=BB5_553 Depth=3
	s_or_b64 exec, exec, s[56:57]
	s_trap 2
	ds_read_b64 v[4:5], v0
	v_lshl_add_u64 v[14:15], v[14:15], 0, v[48:49]
	s_waitcnt lgkmcnt(0)
	v_cmp_lt_u64_e32 vcc, v[4:5], v[14:15]
	s_and_saveexec_b64 s[56:57], vcc
	s_cbranch_execz .LBB5_612
; %bb.604:                              ;   in Loop: Header=BB5_553 Depth=3
	s_mov_b32 s76, 0
	s_mov_b64 s[58:59], 0
                                        ; implicit-def: $sgpr60_sgpr61
                                        ; implicit-def: $sgpr62_sgpr63
	s_branch .LBB5_606
.LBB5_605:                              ;   in Loop: Header=BB5_606 Depth=4
	s_or_b64 exec, exec, s[66:67]
	s_and_b64 vcc, exec, vcc
	s_or_b64 s[58:59], vcc, s[58:59]
	s_andn2_b64 vcc, s[60:61], exec
	s_and_b64 s[60:61], s[62:63], exec
	s_or_b64 s[60:61], vcc, s[60:61]
	s_andn2_b64 exec, exec, s[58:59]
	s_cbranch_execz .LBB5_610
.LBB5_606:                              ;   Parent Loop BB5_81 Depth=1
                                        ;     Parent Loop BB5_550 Depth=2
                                        ;       Parent Loop BB5_553 Depth=3
                                        ; =>      This Inner Loop Header: Depth=4
	s_add_i32 s76, s76, 1
	s_cmpk_lg_i32 s76, 0x2710
	s_cselect_b64 s[64:65], -1, 0
	s_and_b64 vcc, exec, s[64:65]
                                        ; implicit-def: $sgpr66_sgpr67
	s_cbranch_vccnz .LBB5_608
; %bb.607:                              ;   in Loop: Header=BB5_606 Depth=4
	s_trap 2
	ds_read_b64 v[4:5], v0
	s_andn2_b64 s[64:65], s[64:65], exec
	s_mov_b32 s76, 0
	s_mov_b64 s[66:67], -1
	s_waitcnt vmcnt(0) lgkmcnt(0)
	flat_load_dword v3, v[4:5] sc0 sc1
	s_waitcnt vmcnt(0) lgkmcnt(0)
	buffer_inv sc0 sc1
	v_cmp_eq_u32_e32 vcc, 0, v3
	s_and_b64 vcc, vcc, exec
	s_or_b64 s[64:65], s[64:65], vcc
.LBB5_608:                              ;   in Loop: Header=BB5_606 Depth=4
	s_andn2_b64 s[62:63], s[62:63], exec
	s_and_b64 s[66:67], s[66:67], exec
	s_mov_b64 vcc, -1
	s_or_b64 s[62:63], s[62:63], s[66:67]
	s_and_saveexec_b64 s[66:67], s[64:65]
	s_cbranch_execz .LBB5_605
; %bb.609:                              ;   in Loop: Header=BB5_606 Depth=4
	s_sleep 1
	s_trap 2
	ds_read_b64 v[4:5], v0
	s_andn2_b64 s[62:63], s[62:63], exec
	s_waitcnt lgkmcnt(0)
	v_cmp_ge_u64_e32 vcc, v[4:5], v[14:15]
	s_orn2_b64 vcc, vcc, exec
	s_branch .LBB5_605
.LBB5_610:                              ;   in Loop: Header=BB5_553 Depth=3
	s_or_b64 exec, exec, s[58:59]
	s_and_saveexec_b64 vcc, s[60:61]
	s_xor_b64 vcc, exec, vcc
	s_cbranch_execz .LBB5_612
; %bb.611:                              ;   in Loop: Header=BB5_553 Depth=3
	ds_write_b32 v0, v25
	s_trap 2
.LBB5_612:                              ;   in Loop: Header=BB5_553 Depth=3
	s_or_b64 exec, exec, s[56:57]
	;;#ASMSTART
	s_wakeup
	;;#ASMEND
.LBB5_613:                              ;   in Loop: Header=BB5_553 Depth=3
	s_or_b64 exec, exec, s[28:29]
.LBB5_614:                              ;   in Loop: Header=BB5_553 Depth=3
	s_andn2_saveexec_b64 s[26:27], s[26:27]
	s_cbranch_execz .LBB5_616
; %bb.615:                              ;   in Loop: Header=BB5_553 Depth=3
	s_waitcnt lgkmcnt(0)
	s_barrier
.LBB5_616:                              ;   in Loop: Header=BB5_553 Depth=3
	s_or_b64 exec, exec, s[26:27]
.LBB5_617:                              ;   in Loop: Header=BB5_553 Depth=3
	s_or_b64 exec, exec, s[24:25]
	s_trap 2
	ds_read_b64 v[4:5], v0
	v_mov_b32_e32 v41, 0
	s_waitcnt lgkmcnt(0)
	v_readfirstlane_b32 s24, v4
	v_readfirstlane_b32 s25, v5
	s_cmp_eq_u64 s[24:25], 0
	s_cselect_b64 s[24:25], -1, 0
	s_or_b64 s[24:25], s[24:25], s[24:25]
	s_and_b64 vcc, exec, s[24:25]
	s_cbranch_vccnz .LBB5_684
; %bb.618:                              ;   in Loop: Header=BB5_553 Depth=3
	s_trap 2
	ds_read_b64 v[4:5], v0
	v_cmp_eq_u32_e64 s[24:25], 0, v2
	s_waitcnt lgkmcnt(0)
	v_cmp_ne_u64_e32 vcc, 0, v[4:5]
	v_cndmask_b32_e64 v41, 0, v40, s[24:25]
	s_mov_b64 s[24:25], -1
	s_cbranch_vccz .LBB5_654
; %bb.619:                              ;   in Loop: Header=BB5_553 Depth=3
	s_and_saveexec_b64 s[26:27], s[18:19]
	s_cbranch_execz .LBB5_621
; %bb.620:                              ;   in Loop: Header=BB5_553 Depth=3
	ds_read_b32 v2, v0 offset:720
	s_waitcnt lgkmcnt(0)
	v_and_b32_e32 v2, 15, v2
	v_cmp_eq_u32_e32 vcc, 0, v2
	s_orn2_b64 s[24:25], vcc, exec
.LBB5_621:                              ;   in Loop: Header=BB5_553 Depth=3
	s_or_b64 exec, exec, s[26:27]
	s_and_saveexec_b64 s[26:27], s[16:17]
	s_cbranch_execz .LBB5_623
; %bb.622:                              ;   in Loop: Header=BB5_553 Depth=3
	ds_read_b32 v2, v0 offset:784
	s_waitcnt lgkmcnt(0)
	v_and_b32_e32 v2, 15, v2
	v_cmp_eq_u32_e32 vcc, 0, v2
	s_and_b64 s[28:29], s[24:25], vcc
	s_andn2_b64 s[24:25], s[24:25], exec
	s_and_b64 s[28:29], s[28:29], exec
	s_or_b64 s[24:25], s[24:25], s[28:29]
.LBB5_623:                              ;   in Loop: Header=BB5_553 Depth=3
	s_or_b64 exec, exec, s[26:27]
	s_xor_b64 s[24:25], s[24:25], -1
	v_cndmask_b32_e64 v2, 0, 1, s[24:25]
	;;#ASMSTART
	;;#ASMEND
	s_mov_b64 s[26:27], -1
	v_cmp_ne_u32_e32 vcc, 0, v2
	v_mov_b32_e32 v6, 0
	v_mov_b32_e32 v7, v41
	;; [unrolled: 1-line block ×4, first 2 shown]
	s_cbranch_vccz .LBB5_625
; %bb.624:                              ;   in Loop: Header=BB5_553 Depth=3
	s_and_saveexec_b64 s[28:29], s[26:27]
	s_cbranch_execnz .LBB5_642
	s_branch .LBB5_653
.LBB5_625:                              ;   in Loop: Header=BB5_553 Depth=3
	v_accvgpr_read_b32 v2, a22
	v_sub_u32_e32 v31, v41, v2
	v_ashrrev_i32_e32 v2, 31, v41
	v_lshrrev_b32_e32 v2, 22, v2
	v_add_u32_e32 v2, v41, v2
	v_and_b32_e32 v20, 0xfffffc00, v2
	v_accvgpr_read_b32 v3, a23
	v_sub_u32_e32 v30, v41, v20
	v_ashrrev_i32_e32 v3, 10, v2
	v_cmp_lt_i32_e64 s[24:25], 15, v30
	v_accvgpr_read_b32 v2, a32
	s_nop 0
	v_addc_co_u32_e64 v21, vcc, v3, v2, s[24:25]
	v_cmp_lt_i32_e32 vcc, 15, v31
	s_and_saveexec_b64 s[56:57], vcc
	s_cbranch_execz .LBB5_631
; %bb.626:                              ;   in Loop: Header=BB5_553 Depth=3
	s_trap 2
	ds_read_b64 v[6:7], v0
	ds_read_b128 v[2:5], v0
	v_accvgpr_read_b32 v29, a23
	v_accvgpr_read_b32 v28, a22
	s_mov_b64 s[58:59], 0
	s_waitcnt lgkmcnt(0)
	v_lshl_add_u64 v[8:9], v[6:7], 0, v[28:29]
	v_lshl_add_u64 v[10:11], v[2:3], 0, v[28:29]
	;; [unrolled: 1-line block ×3, first 2 shown]
.LBB5_627:                              ;   Parent Loop BB5_81 Depth=1
                                        ;     Parent Loop BB5_550 Depth=2
                                        ;       Parent Loop BB5_553 Depth=3
                                        ; =>      This Loop Header: Depth=4
                                        ;           Child Loop BB5_628 Depth 5
	global_load_dwordx4 v[2:5], v[8:9], off nt
	s_mov_b64 s[62:63], -1
	s_mov_b64 s[60:61], 0
	s_waitcnt vmcnt(0)
.LBB5_628:                              ;   Parent Loop BB5_81 Depth=1
                                        ;     Parent Loop BB5_550 Depth=2
                                        ;       Parent Loop BB5_553 Depth=3
                                        ;         Parent Loop BB5_627 Depth=4
                                        ; =>        This Inner Loop Header: Depth=5
	s_cmp_eq_u32 s60, 0
	s_cselect_b64 s[26:27], -1, 0
	s_cmp_eq_u32 s60, 1
	v_cndmask_b32_e64 v28, 0, 1, s[62:63]
	s_cselect_b64 s[28:29], -1, 0
	v_cmp_ne_u32_e32 vcc, 1, v28
	v_cndmask_b32_e64 v29, v11, v7, s[28:29]
	v_cndmask_b32_e64 v28, v10, v6, s[28:29]
	global_store_dwordx4 v[28:29], v[2:5], off nt
	v_lshl_add_u64 v[28:29], v[28:29], 0, s[42:43]
	s_mov_b64 s[62:63], 0
	s_mov_b64 s[60:61], 1
	s_and_b64 vcc, exec, vcc
	v_cndmask_b32_e64 v7, v7, v29, s[28:29]
	v_cndmask_b32_e64 v6, v6, v28, s[28:29]
	v_cndmask_b32_e64 v11, v11, v29, s[26:27]
	v_cndmask_b32_e64 v10, v10, v28, s[26:27]
	s_cbranch_vccz .LBB5_628
; %bb.629:                              ;   in Loop: Header=BB5_627 Depth=4
	v_sub_u32_e32 v31, v31, v16
	v_cmp_gt_i32_e32 vcc, 16, v31
	v_lshl_add_u64 v[10:11], v[10:11], 0, v[44:45]
	v_lshl_add_u64 v[6:7], v[6:7], 0, v[44:45]
	;; [unrolled: 1-line block ×3, first 2 shown]
	s_or_b64 s[58:59], vcc, s[58:59]
	v_sub_u32_e32 v21, v21, v48
	s_andn2_b64 exec, exec, s[58:59]
	s_cbranch_execnz .LBB5_627
; %bb.630:                              ;   in Loop: Header=BB5_553 Depth=3
	s_or_b64 exec, exec, s[58:59]
.LBB5_631:                              ;   in Loop: Header=BB5_553 Depth=3
	s_or_b64 exec, exec, s[56:57]
	v_and_b32_e32 v3, 15, v41
	v_cndmask_b32_e64 v47, v30, v3, s[24:25]
	v_cmp_ne_u32_e32 vcc, 0, v47
	s_mov_b64 s[26:27], 0
	v_mov_b32_e32 v6, 0
                                        ; implicit-def: $vgpr7
                                        ; implicit-def: $vgpr10
                                        ; implicit-def: $vgpr2
	s_and_saveexec_b64 s[56:57], vcc
	s_cbranch_execz .LBB5_641
; %bb.632:                              ;   in Loop: Header=BB5_553 Depth=3
	v_sub_u32_e32 v2, v30, v3
	v_cndmask_b32_e64 v2, 0, v2, s[24:25]
	v_cmp_lt_i32_e32 vcc, 0, v21
	v_add_u32_e32 v38, v2, v20
	v_accvgpr_read_b32 v3, a31
	v_cndmask_b32_e32 v2, 0, v48, vcc
	v_sub_u32_e32 v2, v2, v21
	v_lshl_add_u32 v2, v2, 6, v3
	v_ashrrev_i32_e32 v3, 31, v2
	v_lshrrev_b32_e32 v3, 26, v3
	v_add_u32_e32 v3, v2, v3
	v_ashrrev_i32_e32 v4, 6, v3
	v_and_b32_e32 v3, 0xffffffc0, v3
	v_sub_u32_e32 v55, v2, v3
	v_ashrrev_i32_e32 v3, 31, v47
	v_lshrrev_b32_e32 v3, 22, v3
	v_add_u32_e32 v3, v47, v3
	v_and_b32_e32 v30, 0xfffffc00, v3
	v_lshlrev_b32_e32 v2, 4, v55
	v_sub_u32_e32 v20, v47, v30
	v_lshl_add_u32 v2, v4, 10, v2
	v_ashrrev_i32_e32 v5, 10, v3
	v_cmp_lt_i32_e64 s[24:25], 15, v20
	v_sub_u32_e32 v21, v47, v2
	s_nop 0
	v_addc_co_u32_e64 v3, vcc, 0, v5, s[24:25]
	v_sub_u32_e32 v31, v3, v4
	v_cmp_lt_i32_e32 vcc, 15, v21
	s_and_saveexec_b64 s[58:59], vcc
	s_cbranch_execz .LBB5_638
; %bb.633:                              ;   in Loop: Header=BB5_553 Depth=3
	s_trap 2
	ds_read_b64 v[8:9], v0
	ds_read_b128 v[4:7], v0
	v_add_u32_e32 v2, v2, v38
	v_ashrrev_i32_e32 v3, 31, v2
	s_mov_b64 s[60:61], 0
	s_waitcnt lgkmcnt(0)
	v_lshl_add_u64 v[8:9], v[8:9], 0, v[2:3]
	v_lshl_add_u64 v[10:11], v[4:5], 0, v[2:3]
	;; [unrolled: 1-line block ×3, first 2 shown]
.LBB5_634:                              ;   Parent Loop BB5_81 Depth=1
                                        ;     Parent Loop BB5_550 Depth=2
                                        ;       Parent Loop BB5_553 Depth=3
                                        ; =>      This Loop Header: Depth=4
                                        ;           Child Loop BB5_635 Depth 5
	global_load_dwordx4 v[2:5], v[8:9], off nt
	s_mov_b64 s[64:65], -1
	s_mov_b64 s[62:63], 0
	s_waitcnt vmcnt(0)
.LBB5_635:                              ;   Parent Loop BB5_81 Depth=1
                                        ;     Parent Loop BB5_550 Depth=2
                                        ;       Parent Loop BB5_553 Depth=3
                                        ;         Parent Loop BB5_634 Depth=4
                                        ; =>        This Inner Loop Header: Depth=5
	s_cmp_eq_u32 s62, 0
	s_cselect_b64 s[26:27], -1, 0
	s_cmp_eq_u32 s62, 1
	v_cndmask_b32_e64 v28, 0, 1, s[64:65]
	s_cselect_b64 s[28:29], -1, 0
	v_cmp_ne_u32_e32 vcc, 1, v28
	v_cndmask_b32_e64 v29, v11, v7, s[28:29]
	v_cndmask_b32_e64 v28, v10, v6, s[28:29]
	global_store_dwordx4 v[28:29], v[2:5], off nt
	v_lshl_add_u64 v[28:29], v[28:29], 0, s[42:43]
	s_mov_b64 s[64:65], 0
	s_mov_b64 s[62:63], 1
	s_and_b64 vcc, exec, vcc
	v_cndmask_b32_e64 v7, v7, v29, s[28:29]
	v_cndmask_b32_e64 v6, v6, v28, s[28:29]
	;; [unrolled: 1-line block ×4, first 2 shown]
	s_cbranch_vccz .LBB5_635
; %bb.636:                              ;   in Loop: Header=BB5_634 Depth=4
	v_sub_u32_e32 v21, v21, v16
	v_cmp_gt_i32_e32 vcc, 16, v21
	v_lshl_add_u64 v[10:11], v[10:11], 0, v[44:45]
	v_lshl_add_u64 v[6:7], v[6:7], 0, v[44:45]
	;; [unrolled: 1-line block ×3, first 2 shown]
	s_or_b64 s[60:61], vcc, s[60:61]
	v_sub_u32_e32 v31, v31, v48
	s_andn2_b64 exec, exec, s[60:61]
	s_cbranch_execnz .LBB5_634
; %bb.637:                              ;   in Loop: Header=BB5_553 Depth=3
	s_or_b64 exec, exec, s[60:61]
.LBB5_638:                              ;   in Loop: Header=BB5_553 Depth=3
	s_or_b64 exec, exec, s[58:59]
	v_and_b32_e32 v3, 15, v47
	v_cndmask_b32_e64 v7, v20, v3, s[24:25]
	v_cmp_ne_u32_e32 vcc, 0, v7
	s_mov_b64 s[26:27], 0
	v_mov_b32_e32 v6, 0
                                        ; implicit-def: $vgpr10
                                        ; implicit-def: $vgpr2
	s_and_saveexec_b64 s[28:29], vcc
	s_cbranch_execz .LBB5_640
; %bb.639:                              ;   in Loop: Header=BB5_553 Depth=3
	v_sub_u32_e32 v2, v20, v3
	v_cndmask_b32_e64 v2, 0, v2, s[24:25]
	v_cmp_lt_i32_e32 vcc, 0, v31
	v_add3_u32 v6, v30, v38, v2
	s_mov_b64 s[26:27], exec
	v_cndmask_b32_e32 v2, 0, v48, vcc
	v_sub_u32_e32 v2, v2, v31
	v_lshl_add_u32 v10, v2, 6, v55
	v_ashrrev_i32_e32 v2, 31, v10
	v_lshrrev_b32_e32 v2, 26, v2
	v_add_u32_e32 v2, v10, v2
	v_ashrrev_i32_e32 v2, 6, v2
.LBB5_640:                              ;   in Loop: Header=BB5_553 Depth=3
	s_or_b64 exec, exec, s[28:29]
	s_and_b64 s[26:27], s[26:27], exec
.LBB5_641:                              ;   in Loop: Header=BB5_553 Depth=3
	s_or_b64 exec, exec, s[56:57]
	s_and_saveexec_b64 s[28:29], s[26:27]
	s_cbranch_execz .LBB5_653
.LBB5_642:                              ;   in Loop: Header=BB5_553 Depth=3
	v_ashrrev_i32_e32 v3, 31, v7
	v_lshrrev_b32_e32 v3, 23, v3
	v_add_u32_e32 v3, v7, v3
	v_ashrrev_i32_e32 v55, 9, v3
	v_sub_u32_e32 v11, v55, v2
	v_ashrrev_i32_e32 v3, 31, v10
	v_cmp_lt_i32_e32 vcc, 0, v11
	v_lshrrev_b32_e32 v38, 26, v3
	s_and_saveexec_b64 s[24:25], vcc
	s_cbranch_execz .LBB5_646
; %bb.643:                              ;   in Loop: Header=BB5_553 Depth=3
	s_trap 2
	v_add_u32_e32 v3, v10, v38
	ds_read_b64 v[8:9], v0
	ds_read_b128 v[28:31], v0
	v_and_b32_e32 v3, 0xffffffc0, v3
	v_sub_u32_e32 v3, v10, v3
	v_lshlrev_b32_e32 v2, 9, v2
	v_add3_u32 v20, v6, v3, v2
	v_ashrrev_i32_e32 v21, 31, v20
	s_waitcnt lgkmcnt(0)
	v_lshl_add_u64 v[8:9], v[8:9], 0, s[44:45]
	v_lshl_add_u64 v[2:3], v[28:29], 0, v[20:21]
	;; [unrolled: 1-line block ×4, first 2 shown]
	s_mov_b64 s[26:27], 0
.LBB5_644:                              ;   Parent Loop BB5_81 Depth=1
                                        ;     Parent Loop BB5_550 Depth=2
                                        ;       Parent Loop BB5_553 Depth=3
                                        ; =>      This Inner Loop Header: Depth=4
	v_add_co_u32_e32 v20, vcc, 0xfffffe40, v8
	flat_load_ubyte v30, v[8:9] nt
	s_nop 0
	v_addc_co_u32_e32 v21, vcc, -1, v9, vcc
	v_add_co_u32_e32 v28, vcc, 0xfffffe80, v8
	flat_load_ubyte v31, v[20:21] nt
	s_nop 0
	v_addc_co_u32_e32 v29, vcc, -1, v9, vcc
	;; [unrolled: 4-line block ×7, first 2 shown]
	flat_load_ubyte v20, v[20:21] nt
	v_sub_u32_e32 v11, v11, v48
	v_cmp_gt_i32_e32 vcc, 1, v11
	s_or_b64 s[26:27], vcc, s[26:27]
	v_lshl_add_u64 v[8:9], v[8:9], 0, v[56:57]
	s_waitcnt vmcnt(0) lgkmcnt(0)
	flat_store_byte v[2:3], v30 offset:448 nt
	flat_store_byte v[2:3], v31 nt
	flat_store_byte v[2:3], v32 offset:64 nt
	flat_store_byte v[2:3], v33 offset:128 nt
	;; [unrolled: 1-line block ×6, first 2 shown]
	flat_store_byte v[4:5], v31 nt
	flat_store_byte v[4:5], v32 offset:64 nt
	flat_store_byte v[4:5], v33 offset:128 nt
	;; [unrolled: 1-line block ×7, first 2 shown]
	v_lshl_add_u64 v[2:3], v[2:3], 0, v[56:57]
	v_lshl_add_u64 v[4:5], v[4:5], 0, v[56:57]
	s_andn2_b64 exec, exec, s[26:27]
	s_cbranch_execnz .LBB5_644
; %bb.645:                              ;   in Loop: Header=BB5_553 Depth=3
	s_or_b64 exec, exec, s[26:27]
	v_accvgpr_read_b32 v35, a7
	v_accvgpr_read_b32 v34, a30
.LBB5_646:                              ;   in Loop: Header=BB5_553 Depth=3
	s_or_b64 exec, exec, s[24:25]
	v_lshlrev_b32_e32 v2, 9, v55
	v_cmp_ne_u32_e32 vcc, v7, v2
	s_and_saveexec_b64 s[56:57], vcc
	s_cbranch_execz .LBB5_652
; %bb.647:                              ;   in Loop: Header=BB5_553 Depth=3
	v_add_u32_e32 v3, v10, v38
	v_and_b32_e32 v3, 0xffffffc0, v3
	v_sub_u32_e32 v3, v10, v3
	v_lshlrev_b32_e32 v4, 6, v11
	v_sub_u32_e32 v3, v3, v4
	v_add_u32_e32 v2, v2, v3
	v_sub_u32_e32 v8, v7, v2
	v_cmp_lt_i32_e32 vcc, 0, v8
	s_and_b64 exec, exec, vcc
	s_cbranch_execz .LBB5_652
; %bb.648:                              ;   in Loop: Header=BB5_553 Depth=3
	s_trap 2
	ds_read_b64 v[4:5], v0
	ds_read_b128 v[28:31], v0
	v_add_u32_e32 v6, v2, v6
	v_ashrrev_i32_e32 v7, 31, v6
	s_mov_b64 s[58:59], 0
	s_waitcnt lgkmcnt(0)
	v_lshl_add_u64 v[2:3], v[4:5], 0, v[6:7]
	v_lshl_add_u64 v[4:5], v[28:29], 0, v[6:7]
	;; [unrolled: 1-line block ×3, first 2 shown]
.LBB5_649:                              ;   Parent Loop BB5_81 Depth=1
                                        ;     Parent Loop BB5_550 Depth=2
                                        ;       Parent Loop BB5_553 Depth=3
                                        ; =>      This Loop Header: Depth=4
                                        ;           Child Loop BB5_650 Depth 5
	flat_load_ubyte v9, v[2:3] nt
	s_mov_b64 s[60:61], -1
	s_mov_b64 s[62:63], 0
	s_waitcnt vmcnt(0)
.LBB5_650:                              ;   Parent Loop BB5_81 Depth=1
                                        ;     Parent Loop BB5_550 Depth=2
                                        ;       Parent Loop BB5_553 Depth=3
                                        ;         Parent Loop BB5_649 Depth=4
                                        ; =>        This Inner Loop Header: Depth=5
	s_cmp_eq_u32 s62, 1
	s_cselect_b64 vcc, -1, 0
	v_cndmask_b32_e32 v11, v5, v7, vcc
	s_cmp_eq_u32 s62, 0
	v_cndmask_b32_e32 v10, v4, v6, vcc
	s_waitcnt lgkmcnt(0)
	flat_store_byte v[10:11], v9 nt
	v_lshl_add_u64 v[10:11], v[10:11], 0, 64
	s_cselect_b64 s[24:25], -1, 0
	s_and_b64 s[26:27], exec, s[60:61]
	s_mov_b64 s[62:63], 1
	s_mov_b64 s[60:61], 0
	v_cndmask_b32_e32 v7, v7, v11, vcc
	v_cndmask_b32_e32 v6, v6, v10, vcc
	v_cndmask_b32_e64 v5, v5, v11, s[24:25]
	v_cndmask_b32_e64 v4, v4, v10, s[24:25]
	s_mov_b64 vcc, s[26:27]
	s_cbranch_vccnz .LBB5_650
; %bb.651:                              ;   in Loop: Header=BB5_649 Depth=4
	v_sub_u32_e32 v8, v8, v24
	v_cmp_gt_i32_e32 vcc, 1, v8
	v_lshl_add_u64 v[4:5], v[4:5], 0, v[42:43]
	v_lshl_add_u64 v[6:7], v[6:7], 0, v[42:43]
	s_or_b64 s[58:59], vcc, s[58:59]
	v_lshl_add_u64 v[2:3], v[58:59], 0, v[2:3]
	s_andn2_b64 exec, exec, s[58:59]
	s_cbranch_execnz .LBB5_649
.LBB5_652:                              ;   in Loop: Header=BB5_553 Depth=3
	s_or_b64 exec, exec, s[56:57]
.LBB5_653:                              ;   in Loop: Header=BB5_553 Depth=3
	s_or_b64 exec, exec, s[28:29]
	s_mov_b64 s[24:25], 0
.LBB5_654:                              ;   in Loop: Header=BB5_553 Depth=3
	s_and_b64 vcc, exec, s[24:25]
	s_cbranch_vccz .LBB5_684
; %bb.655:                              ;   in Loop: Header=BB5_553 Depth=3
	s_mov_b64 s[24:25], -1
	s_and_saveexec_b64 s[26:27], s[18:19]
	s_cbranch_execz .LBB5_657
; %bb.656:                              ;   in Loop: Header=BB5_553 Depth=3
	ds_read_b32 v2, v0 offset:720
	s_waitcnt lgkmcnt(0)
	v_and_b32_e32 v2, 15, v2
	v_cmp_eq_u32_e32 vcc, 0, v2
	s_orn2_b64 s[24:25], vcc, exec
.LBB5_657:                              ;   in Loop: Header=BB5_553 Depth=3
	s_or_b64 exec, exec, s[26:27]
	s_and_saveexec_b64 s[26:27], s[14:15]
	s_cbranch_execz .LBB5_659
; %bb.658:                              ;   in Loop: Header=BB5_553 Depth=3
	ds_read_b32 v2, v0 offset:784
	s_waitcnt lgkmcnt(0)
	v_and_b32_e32 v2, 15, v2
	v_cmp_eq_u32_e32 vcc, 0, v2
	s_and_b64 s[28:29], s[24:25], vcc
	s_andn2_b64 s[24:25], s[24:25], exec
	s_and_b64 s[28:29], s[28:29], exec
	s_or_b64 s[24:25], s[24:25], s[28:29]
.LBB5_659:                              ;   in Loop: Header=BB5_553 Depth=3
	s_or_b64 exec, exec, s[26:27]
	s_xor_b64 s[24:25], s[24:25], -1
	v_cndmask_b32_e64 v2, 0, 1, s[24:25]
	s_mov_b64 s[28:29], -1
	;;#ASMSTART
	;;#ASMEND
	v_mov_b32_e32 v8, 0
	v_cmp_ne_u32_e32 vcc, 0, v2
	v_mov_b32_e32 v9, v41
	v_mov_b32_e32 v10, v53
	;; [unrolled: 1-line block ×3, first 2 shown]
	s_cbranch_vccz .LBB5_661
; %bb.660:                              ;   in Loop: Header=BB5_553 Depth=3
	s_and_saveexec_b64 s[24:25], s[28:29]
	s_cbranch_execnz .LBB5_674
	s_branch .LBB5_683
.LBB5_661:                              ;   in Loop: Header=BB5_553 Depth=3
	v_ashrrev_i32_e32 v2, 31, v41
	v_lshrrev_b32_e32 v2, 21, v2
	v_add_u32_e32 v2, v41, v2
	v_ashrrev_i32_e32 v6, 11, v2
	v_sub_u32_e32 v7, v6, v34
	v_cmp_lt_i32_e32 vcc, 0, v7
	s_and_saveexec_b64 s[24:25], vcc
	s_cbranch_execz .LBB5_665
; %bb.662:                              ;   in Loop: Header=BB5_553 Depth=3
	s_trap 2
	ds_read_b64 v[2:3], v0
	v_accvgpr_read_b32 v4, a34
	s_mov_b64 s[26:27], 0
	v_accvgpr_read_b32 v5, a35
.LBB5_663:                              ;   Parent Loop BB5_81 Depth=1
                                        ;     Parent Loop BB5_550 Depth=2
                                        ;       Parent Loop BB5_553 Depth=3
                                        ; =>      This Inner Loop Header: Depth=4
	s_waitcnt lgkmcnt(0)
	v_lshl_add_u64 v[20:21], v[2:3], 0, v[4:5]
	global_load_dwordx4 v[8:11], v[20:21], off nt
	global_load_dwordx4 v[28:31], v[20:21], off offset:1024 nt
	v_sub_u32_e32 v7, v7, v48
	v_cmp_gt_i32_e32 vcc, 1, v7
	v_lshl_add_u64 v[4:5], v[4:5], 0, v[60:61]
	s_or_b64 s[26:27], vcc, s[26:27]
	s_waitcnt vmcnt(0)
	global_store_dwordx4 v[20:21], v[8:11], off nt
	global_store_dwordx4 v[20:21], v[28:31], off offset:1024 nt
	s_andn2_b64 exec, exec, s[26:27]
	s_cbranch_execnz .LBB5_663
; %bb.664:                              ;   in Loop: Header=BB5_553 Depth=3
	s_or_b64 exec, exec, s[26:27]
.LBB5_665:                              ;   in Loop: Header=BB5_553 Depth=3
	s_or_b64 exec, exec, s[24:25]
	v_lshlrev_b32_e32 v6, 11, v6
	v_cmp_ne_u32_e32 vcc, v41, v6
	s_mov_b64 s[28:29], 0
	v_mov_b32_e32 v8, 0
                                        ; implicit-def: $vgpr9
                                        ; implicit-def: $vgpr10
                                        ; implicit-def: $vgpr4
	s_and_saveexec_b64 s[26:27], vcc
	s_cbranch_execz .LBB5_673
; %bb.666:                              ;   in Loop: Header=BB5_553 Depth=3
	v_lshlrev_b32_e32 v3, 6, v7
	v_accvgpr_read_b32 v4, a31
	v_sub_u32_e32 v3, v4, v3
	v_ashrrev_i32_e32 v4, 31, v3
	v_lshrrev_b32_e32 v4, 26, v4
	v_add_u32_e32 v4, v3, v4
	v_ashrrev_i32_e32 v5, 6, v4
	v_and_b32_e32 v4, 0xffffffc0, v4
	v_sub_u32_e32 v7, v3, v4
	v_sub_u32_e32 v2, v41, v6
	v_lshlrev_b32_e32 v3, 4, v7
	v_lshl_add_u32 v4, v5, 10, v3
	v_ashrrev_i32_e32 v3, 31, v2
	v_lshrrev_b32_e32 v3, 22, v3
	v_add_u32_e32 v3, v2, v3
	v_and_b32_e32 v11, 0xfffffc00, v3
	v_sub_u32_e32 v21, v2, v11
	v_ashrrev_i32_e32 v9, 10, v3
	v_cmp_lt_i32_e32 vcc, 15, v21
	v_sub_u32_e32 v8, v2, v4
	s_nop 0
	v_addc_co_u32_e64 v2, s[24:25], 0, v9, vcc
	v_sub_u32_e32 v20, v2, v5
	v_cmp_lt_i32_e64 s[24:25], 15, v8
	s_and_saveexec_b64 s[28:29], s[24:25]
	s_cbranch_execz .LBB5_670
; %bb.667:                              ;   in Loop: Header=BB5_553 Depth=3
	s_trap 2
	ds_read_b64 v[2:3], v0
	v_add_u32_e32 v4, v4, v6
	v_ashrrev_i32_e32 v5, 31, v4
	s_mov_b64 s[56:57], 0
.LBB5_668:                              ;   Parent Loop BB5_81 Depth=1
                                        ;     Parent Loop BB5_550 Depth=2
                                        ;       Parent Loop BB5_553 Depth=3
                                        ; =>      This Inner Loop Header: Depth=4
	s_waitcnt lgkmcnt(0)
	v_lshl_add_u64 v[32:33], v[2:3], 0, v[4:5]
	global_load_dwordx4 v[28:31], v[32:33], off nt
	v_sub_u32_e32 v8, v8, v16
	v_cmp_gt_i32_e64 s[24:25], 16, v8
	v_sub_u32_e32 v20, v20, v48
	v_lshl_add_u64 v[4:5], v[4:5], 0, v[22:23]
	s_or_b64 s[56:57], s[24:25], s[56:57]
	s_waitcnt vmcnt(0)
	global_store_dwordx4 v[32:33], v[28:31], off nt
	s_andn2_b64 exec, exec, s[56:57]
	s_cbranch_execnz .LBB5_668
; %bb.669:                              ;   in Loop: Header=BB5_553 Depth=3
	s_or_b64 exec, exec, s[56:57]
.LBB5_670:                              ;   in Loop: Header=BB5_553 Depth=3
	s_or_b64 exec, exec, s[28:29]
	v_and_b32_e32 v2, 15, v41
	v_cndmask_b32_e32 v9, v21, v2, vcc
	v_cmp_ne_u32_e64 s[24:25], 0, v9
	s_mov_b64 s[28:29], 0
	v_mov_b32_e32 v8, 0
                                        ; implicit-def: $vgpr10
                                        ; implicit-def: $vgpr4
	s_and_saveexec_b64 s[56:57], s[24:25]
	s_cbranch_execz .LBB5_672
; %bb.671:                              ;   in Loop: Header=BB5_553 Depth=3
	v_sub_u32_e32 v2, v21, v2
	v_cndmask_b32_e32 v2, 0, v2, vcc
	v_cmp_lt_i32_e32 vcc, 0, v20
	v_add3_u32 v8, v11, v6, v2
	s_mov_b64 s[28:29], exec
	v_cndmask_b32_e32 v2, 0, v48, vcc
	v_sub_u32_e32 v2, v2, v20
	v_lshl_add_u32 v10, v2, 6, v7
	v_ashrrev_i32_e32 v2, 31, v10
	v_lshrrev_b32_e32 v2, 26, v2
	v_add_u32_e32 v2, v10, v2
	v_ashrrev_i32_e32 v4, 6, v2
.LBB5_672:                              ;   in Loop: Header=BB5_553 Depth=3
	s_or_b64 exec, exec, s[56:57]
	s_and_b64 s[28:29], s[28:29], exec
.LBB5_673:                              ;   in Loop: Header=BB5_553 Depth=3
	s_or_b64 exec, exec, s[26:27]
	s_and_saveexec_b64 s[24:25], s[28:29]
	s_cbranch_execz .LBB5_683
.LBB5_674:                              ;   in Loop: Header=BB5_553 Depth=3
	v_ashrrev_i32_e32 v2, 31, v9
	v_lshrrev_b32_e32 v2, 23, v2
	v_add_u32_e32 v2, v9, v2
	v_ashrrev_i32_e32 v21, 9, v2
	v_sub_u32_e32 v11, v21, v4
	v_ashrrev_i32_e32 v2, 31, v10
	v_cmp_lt_i32_e32 vcc, 0, v11
	v_lshrrev_b32_e32 v20, 26, v2
	s_and_saveexec_b64 s[26:27], vcc
	s_cbranch_execz .LBB5_678
; %bb.675:                              ;   in Loop: Header=BB5_553 Depth=3
	s_trap 2
	ds_read_b64 v[2:3], v0
	v_add_u32_e32 v5, v10, v20
	v_and_b32_e32 v5, 0xffffffc0, v5
	v_sub_u32_e32 v5, v10, v5
	v_lshlrev_b32_e32 v4, 9, v4
	v_add3_u32 v4, v8, v5, v4
	v_ashrrev_i32_e32 v5, 31, v4
	s_mov_b64 s[28:29], 0
	s_waitcnt lgkmcnt(0)
	v_mov_b64_e32 v[6:7], v[2:3]
.LBB5_676:                              ;   Parent Loop BB5_81 Depth=1
                                        ;     Parent Loop BB5_550 Depth=2
                                        ;       Parent Loop BB5_553 Depth=3
                                        ; =>      This Inner Loop Header: Depth=4
	v_lshl_add_u64 v[28:29], v[4:5], 0, v[6:7]
	flat_load_ubyte v30, v[28:29] nt
	flat_load_ubyte v31, v[28:29] offset:64 nt
	flat_load_ubyte v32, v[28:29] offset:128 nt
	flat_load_ubyte v33, v[28:29] offset:192 nt
	flat_load_ubyte v34, v[28:29] offset:256 nt
	flat_load_ubyte v35, v[28:29] offset:320 nt
	flat_load_ubyte v38, v[28:29] offset:384 nt
	flat_load_ubyte v55, v[28:29] offset:448 nt
	v_sub_u32_e32 v11, v11, v48
	v_cmp_gt_i32_e32 vcc, 1, v11
	v_lshl_add_u64 v[28:29], v[4:5], 0, v[2:3]
	v_lshl_add_u64 v[6:7], v[6:7], 0, v[56:57]
	v_lshl_add_u64 v[2:3], v[2:3], 0, v[56:57]
	s_or_b64 s[28:29], vcc, s[28:29]
	s_waitcnt vmcnt(0) lgkmcnt(0)
	flat_store_byte v[28:29], v30 nt
	flat_store_byte v[28:29], v31 offset:64 nt
	flat_store_byte v[28:29], v32 offset:128 nt
	;; [unrolled: 1-line block ×7, first 2 shown]
	s_andn2_b64 exec, exec, s[28:29]
	s_cbranch_execnz .LBB5_676
; %bb.677:                              ;   in Loop: Header=BB5_553 Depth=3
	s_or_b64 exec, exec, s[28:29]
	v_accvgpr_read_b32 v35, a7
	v_accvgpr_read_b32 v34, a30
.LBB5_678:                              ;   in Loop: Header=BB5_553 Depth=3
	s_or_b64 exec, exec, s[26:27]
	v_lshlrev_b32_e32 v2, 9, v21
	v_cmp_ne_u32_e32 vcc, v9, v2
	s_and_saveexec_b64 s[26:27], vcc
	s_cbranch_execz .LBB5_682
; %bb.679:                              ;   in Loop: Header=BB5_553 Depth=3
	v_add_u32_e32 v3, v10, v20
	v_and_b32_e32 v3, 0xffffffc0, v3
	v_sub_u32_e32 v3, v10, v3
	v_lshlrev_b32_e32 v4, 6, v11
	v_sub_u32_e32 v3, v3, v4
	v_add_u32_e32 v4, v2, v3
	v_sub_u32_e32 v6, v9, v4
	v_cmp_lt_i32_e32 vcc, 0, v6
	s_and_b64 exec, exec, vcc
	s_cbranch_execz .LBB5_682
; %bb.680:                              ;   in Loop: Header=BB5_553 Depth=3
	s_trap 2
	ds_read_b64 v[2:3], v0
	v_add_u32_e32 v4, v4, v8
	v_ashrrev_i32_e32 v5, 31, v4
	s_mov_b64 s[28:29], 0
.LBB5_681:                              ;   Parent Loop BB5_81 Depth=1
                                        ;     Parent Loop BB5_550 Depth=2
                                        ;       Parent Loop BB5_553 Depth=3
                                        ; =>      This Inner Loop Header: Depth=4
	s_waitcnt lgkmcnt(0)
	v_lshl_add_u64 v[8:9], v[2:3], 0, v[4:5]
	flat_load_ubyte v7, v[8:9] nt
	v_sub_u32_e32 v6, v6, v24
	v_cmp_gt_i32_e32 vcc, 1, v6
	v_lshl_add_u64 v[4:5], v[4:5], 0, v[58:59]
	s_or_b64 s[28:29], vcc, s[28:29]
	s_waitcnt vmcnt(0) lgkmcnt(0)
	flat_store_byte v[8:9], v7 nt
	s_andn2_b64 exec, exec, s[28:29]
	s_cbranch_execnz .LBB5_681
.LBB5_682:                              ;   in Loop: Header=BB5_553 Depth=3
	s_or_b64 exec, exec, s[26:27]
.LBB5_683:                              ;   in Loop: Header=BB5_553 Depth=3
	s_or_b64 exec, exec, s[24:25]
.LBB5_684:                              ;   in Loop: Header=BB5_553 Depth=3
	s_and_saveexec_b64 s[24:25], s[4:5]
	s_cbranch_execz .LBB5_703
; %bb.685:                              ;   in Loop: Header=BB5_553 Depth=3
	s_and_saveexec_b64 s[26:27], s[40:41]
	s_xor_b64 s[26:27], exec, s[26:27]
	s_cbranch_execz .LBB5_700
; %bb.686:                              ;   in Loop: Header=BB5_553 Depth=3
	s_and_saveexec_b64 s[28:29], s[12:13]
	s_cbranch_execz .LBB5_699
; %bb.687:                              ;   in Loop: Header=BB5_553 Depth=3
	s_mov_b64 s[58:59], exec
	v_mbcnt_lo_u32_b32 v2, s58, 0
	v_mbcnt_hi_u32_b32 v2, s59, v2
	v_cmp_eq_u32_e32 vcc, 0, v2
	s_waitcnt lgkmcnt(0)
	s_and_saveexec_b64 s[56:57], vcc
	s_cbranch_execz .LBB5_689
; %bb.688:                              ;   in Loop: Header=BB5_553 Depth=3
	s_bcnt1_i32_b64 vcc_lo, s[58:59]
	v_mov_b32_e32 v38, vcc_lo
	ds_add_u64 v0, v[38:39]
	s_trap 2
.LBB5_689:                              ;   in Loop: Header=BB5_553 Depth=3
	s_or_b64 exec, exec, s[56:57]
	s_trap 2
	ds_read_b64 v[2:3], v0
	v_lshl_add_u64 v[14:15], v[14:15], 0, v[48:49]
	s_waitcnt lgkmcnt(0)
	v_cmp_lt_u64_e32 vcc, v[2:3], v[14:15]
	s_and_saveexec_b64 s[56:57], vcc
	s_cbranch_execz .LBB5_698
; %bb.690:                              ;   in Loop: Header=BB5_553 Depth=3
	s_mov_b32 s76, 0
	s_mov_b64 s[58:59], 0
                                        ; implicit-def: $sgpr60_sgpr61
                                        ; implicit-def: $sgpr62_sgpr63
	s_branch .LBB5_692
.LBB5_691:                              ;   in Loop: Header=BB5_692 Depth=4
	s_or_b64 exec, exec, s[66:67]
	s_and_b64 vcc, exec, vcc
	s_or_b64 s[58:59], vcc, s[58:59]
	s_andn2_b64 vcc, s[60:61], exec
	s_and_b64 s[60:61], s[62:63], exec
	s_or_b64 s[60:61], vcc, s[60:61]
	s_andn2_b64 exec, exec, s[58:59]
	s_cbranch_execz .LBB5_696
.LBB5_692:                              ;   Parent Loop BB5_81 Depth=1
                                        ;     Parent Loop BB5_550 Depth=2
                                        ;       Parent Loop BB5_553 Depth=3
                                        ; =>      This Inner Loop Header: Depth=4
	s_add_i32 s76, s76, 1
	s_cmpk_lg_i32 s76, 0x2710
	s_cselect_b64 s[64:65], -1, 0
	s_and_b64 vcc, exec, s[64:65]
                                        ; implicit-def: $sgpr66_sgpr67
	s_cbranch_vccnz .LBB5_694
; %bb.693:                              ;   in Loop: Header=BB5_692 Depth=4
	s_trap 2
	ds_read_b64 v[2:3], v0
	s_andn2_b64 s[64:65], s[64:65], exec
	s_mov_b32 s76, 0
	s_mov_b64 s[66:67], -1
	s_waitcnt vmcnt(0) lgkmcnt(0)
	flat_load_dword v2, v[2:3] sc0 sc1
	s_waitcnt vmcnt(0) lgkmcnt(0)
	buffer_inv sc0 sc1
	v_cmp_eq_u32_e32 vcc, 0, v2
	s_and_b64 vcc, vcc, exec
	s_or_b64 s[64:65], s[64:65], vcc
.LBB5_694:                              ;   in Loop: Header=BB5_692 Depth=4
	s_andn2_b64 s[62:63], s[62:63], exec
	s_and_b64 s[66:67], s[66:67], exec
	s_mov_b64 vcc, -1
	s_or_b64 s[62:63], s[62:63], s[66:67]
	s_and_saveexec_b64 s[66:67], s[64:65]
	s_cbranch_execz .LBB5_691
; %bb.695:                              ;   in Loop: Header=BB5_692 Depth=4
	s_sleep 1
	s_trap 2
	ds_read_b64 v[2:3], v0
	s_andn2_b64 s[62:63], s[62:63], exec
	s_waitcnt lgkmcnt(0)
	v_cmp_ge_u64_e32 vcc, v[2:3], v[14:15]
	s_orn2_b64 vcc, vcc, exec
	s_branch .LBB5_691
.LBB5_696:                              ;   in Loop: Header=BB5_553 Depth=3
	s_or_b64 exec, exec, s[58:59]
	s_and_saveexec_b64 vcc, s[60:61]
	s_xor_b64 vcc, exec, vcc
	s_cbranch_execz .LBB5_698
; %bb.697:                              ;   in Loop: Header=BB5_553 Depth=3
	ds_write_b32 v0, v25
	s_trap 2
.LBB5_698:                              ;   in Loop: Header=BB5_553 Depth=3
	s_or_b64 exec, exec, s[56:57]
	;;#ASMSTART
	s_wakeup
	;;#ASMEND
.LBB5_699:                              ;   in Loop: Header=BB5_553 Depth=3
	s_or_b64 exec, exec, s[28:29]
.LBB5_700:                              ;   in Loop: Header=BB5_553 Depth=3
	s_andn2_saveexec_b64 s[26:27], s[26:27]
	s_cbranch_execz .LBB5_702
; %bb.701:                              ;   in Loop: Header=BB5_553 Depth=3
	s_waitcnt lgkmcnt(0)
	s_barrier
.LBB5_702:                              ;   in Loop: Header=BB5_553 Depth=3
	s_or_b64 exec, exec, s[26:27]
.LBB5_703:                              ;   in Loop: Header=BB5_553 Depth=3
	s_or_b64 exec, exec, s[24:25]
                                        ; implicit-def: $vgpr2
	s_and_saveexec_b64 s[24:25], s[20:21]
	s_xor_b64 s[26:27], exec, s[24:25]
	s_cbranch_execz .LBB5_707
; %bb.704:                              ;   in Loop: Header=BB5_553 Depth=3
	v_and_b32_e32 v3, 16, v62
	v_cmp_lt_i32_e32 vcc, 0, v41
	v_cmp_ne_u32_e64 s[24:25], 0, v3
	v_and_b32_e32 v2, 16, v62
	s_and_b64 s[28:29], s[24:25], vcc
	s_and_saveexec_b64 s[24:25], s[28:29]
	s_cbranch_execz .LBB5_706
; %bb.705:                              ;   in Loop: Header=BB5_553 Depth=3
	v_mov_b32_e32 v2, 1
	buffer_wbl2 sc1
	s_waitcnt vmcnt(0) lgkmcnt(0)
	buffer_inv sc1
.LBB5_706:                              ;   in Loop: Header=BB5_553 Depth=3
	s_or_b64 exec, exec, s[24:25]
	s_andn2_saveexec_b64 s[24:25], s[26:27]
	s_cbranch_execz .LBB5_726
	s_branch .LBB5_708
.LBB5_707:                              ;   in Loop: Header=BB5_553 Depth=3
	s_andn2_saveexec_b64 s[24:25], s[26:27]
	s_cbranch_execz .LBB5_726
.LBB5_708:                              ;   in Loop: Header=BB5_553 Depth=3
	s_and_saveexec_b64 s[26:27], s[40:41]
	s_xor_b64 s[26:27], exec, s[26:27]
	s_cbranch_execz .LBB5_723
; %bb.709:                              ;   in Loop: Header=BB5_553 Depth=3
	s_and_saveexec_b64 s[28:29], s[12:13]
	s_cbranch_execz .LBB5_722
; %bb.710:                              ;   in Loop: Header=BB5_553 Depth=3
	s_mov_b64 s[58:59], exec
	v_mbcnt_lo_u32_b32 v2, s58, 0
	v_mbcnt_hi_u32_b32 v2, s59, v2
	v_cmp_eq_u32_e32 vcc, 0, v2
	;;#ASMSTART
	s_waitcnt lgkmcnt(0) vmcnt(0)
	;;#ASMEND
	s_and_saveexec_b64 s[56:57], vcc
	s_cbranch_execz .LBB5_712
; %bb.711:                              ;   in Loop: Header=BB5_553 Depth=3
	s_bcnt1_i32_b64 vcc_lo, s[58:59]
	v_mov_b32_e32 v38, vcc_lo
	ds_add_u64 v0, v[38:39]
	s_trap 2
.LBB5_712:                              ;   in Loop: Header=BB5_553 Depth=3
	s_or_b64 exec, exec, s[56:57]
	s_trap 2
	ds_read_b64 v[2:3], v0
	v_lshl_add_u64 v[14:15], v[14:15], 0, v[48:49]
	s_waitcnt lgkmcnt(0)
	v_cmp_lt_u64_e32 vcc, v[2:3], v[14:15]
	s_and_saveexec_b64 s[56:57], vcc
	s_cbranch_execz .LBB5_721
; %bb.713:                              ;   in Loop: Header=BB5_553 Depth=3
	s_mov_b32 s76, 0
	s_mov_b64 s[58:59], 0
                                        ; implicit-def: $sgpr60_sgpr61
                                        ; implicit-def: $sgpr62_sgpr63
	s_branch .LBB5_715
.LBB5_714:                              ;   in Loop: Header=BB5_715 Depth=4
	s_or_b64 exec, exec, s[66:67]
	s_and_b64 vcc, exec, vcc
	s_or_b64 s[58:59], vcc, s[58:59]
	s_andn2_b64 vcc, s[60:61], exec
	s_and_b64 s[60:61], s[62:63], exec
	s_or_b64 s[60:61], vcc, s[60:61]
	s_andn2_b64 exec, exec, s[58:59]
	s_cbranch_execz .LBB5_719
.LBB5_715:                              ;   Parent Loop BB5_81 Depth=1
                                        ;     Parent Loop BB5_550 Depth=2
                                        ;       Parent Loop BB5_553 Depth=3
                                        ; =>      This Inner Loop Header: Depth=4
	s_add_i32 s76, s76, 1
	s_cmpk_lg_i32 s76, 0x2710
	s_cselect_b64 s[64:65], -1, 0
	s_and_b64 vcc, exec, s[64:65]
                                        ; implicit-def: $sgpr66_sgpr67
	s_cbranch_vccnz .LBB5_717
; %bb.716:                              ;   in Loop: Header=BB5_715 Depth=4
	s_trap 2
	ds_read_b64 v[2:3], v0
	s_andn2_b64 s[64:65], s[64:65], exec
	s_mov_b32 s76, 0
	s_mov_b64 s[66:67], -1
	s_waitcnt vmcnt(0) lgkmcnt(0)
	flat_load_dword v2, v[2:3] sc0 sc1
	s_waitcnt vmcnt(0) lgkmcnt(0)
	buffer_inv sc0 sc1
	v_cmp_eq_u32_e32 vcc, 0, v2
	s_and_b64 vcc, vcc, exec
	s_or_b64 s[64:65], s[64:65], vcc
.LBB5_717:                              ;   in Loop: Header=BB5_715 Depth=4
	s_andn2_b64 s[62:63], s[62:63], exec
	s_and_b64 s[66:67], s[66:67], exec
	s_mov_b64 vcc, -1
	s_or_b64 s[62:63], s[62:63], s[66:67]
	s_and_saveexec_b64 s[66:67], s[64:65]
	s_cbranch_execz .LBB5_714
; %bb.718:                              ;   in Loop: Header=BB5_715 Depth=4
	s_sleep 1
	s_trap 2
	ds_read_b64 v[2:3], v0
	s_andn2_b64 s[62:63], s[62:63], exec
	s_waitcnt lgkmcnt(0)
	v_cmp_ge_u64_e32 vcc, v[2:3], v[14:15]
	s_orn2_b64 vcc, vcc, exec
	s_branch .LBB5_714
.LBB5_719:                              ;   in Loop: Header=BB5_553 Depth=3
	s_or_b64 exec, exec, s[58:59]
	s_and_saveexec_b64 vcc, s[60:61]
	s_xor_b64 vcc, exec, vcc
	s_cbranch_execz .LBB5_721
; %bb.720:                              ;   in Loop: Header=BB5_553 Depth=3
	ds_write_b32 v0, v25
	s_trap 2
.LBB5_721:                              ;   in Loop: Header=BB5_553 Depth=3
	s_or_b64 exec, exec, s[56:57]
	;;#ASMSTART
	s_wakeup
	;;#ASMEND
.LBB5_722:                              ;   in Loop: Header=BB5_553 Depth=3
	s_or_b64 exec, exec, s[28:29]
.LBB5_723:                              ;   in Loop: Header=BB5_553 Depth=3
	s_andn2_saveexec_b64 s[26:27], s[26:27]
	s_cbranch_execz .LBB5_725
; %bb.724:                              ;   in Loop: Header=BB5_553 Depth=3
	;;#ASMSTART
	s_waitcnt lgkmcnt(0) vmcnt(0)
	;;#ASMEND
	s_barrier
.LBB5_725:                              ;   in Loop: Header=BB5_553 Depth=3
	s_or_b64 exec, exec, s[26:27]
	v_and_b32_e32 v2, 16, v62
.LBB5_726:                              ;   in Loop: Header=BB5_553 Depth=3
	s_or_b64 exec, exec, s[24:25]
	v_cmp_ne_u32_e32 vcc, 0, v2
	s_xor_b64 s[24:25], s[6:7], -1
	s_and_b64 s[26:27], vcc, s[24:25]
	s_and_saveexec_b64 s[24:25], s[26:27]
	s_cbranch_execz .LBB5_728
; %bb.727:                              ;   in Loop: Header=BB5_553 Depth=3
	flat_store_dword v[0:1], v25 sc0 sc1
.LBB5_728:                              ;   in Loop: Header=BB5_553 Depth=3
	s_or_b64 exec, exec, s[24:25]
	v_and_b32_e32 v2, 48, v62
	v_cmp_ne_u32_e32 vcc, 0, v2
	s_and_saveexec_b64 s[24:25], vcc
	s_cbranch_execz .LBB5_552
; %bb.729:                              ;   in Loop: Header=BB5_553 Depth=3
	v_lshl_add_u64 v[50:51], v[50:51], 0, 2
	flat_store_dwordx2 v[26:27], v[50:51] sc0 sc1
	s_branch .LBB5_552
.LBB5_730:                              ;   in Loop: Header=BB5_550 Depth=2
	s_or_b64 exec, exec, s[50:51]
	v_cmp_gt_i32_e32 vcc, 2, v2
	s_and_saveexec_b64 s[26:27], vcc
	s_cbranch_execz .LBB5_804
.LBB5_731:                              ;   in Loop: Header=BB5_550 Depth=2
	v_cmp_eq_u32_e64 s[24:25], 0, v2
	s_mov_b64 s[28:29], 0
	s_branch .LBB5_733
.LBB5_732:                              ;   in Loop: Header=BB5_733 Depth=3
	s_or_b64 exec, exec, s[24:25]
	v_add_u32_e32 v46, v40, v46
	s_mov_b64 s[24:25], 0
	s_andn2_b64 exec, exec, s[28:29]
	s_cbranch_execz .LBB5_805
.LBB5_733:                              ;   Parent Loop BB5_81 Depth=1
                                        ;     Parent Loop BB5_550 Depth=2
                                        ; =>    This Loop Header: Depth=3
                                        ;         Child Loop BB5_739 Depth 4
                                        ;         Child Loop BB5_777 Depth 4
	;; [unrolled: 1-line block ×3, first 2 shown]
	v_and_b32_e32 v2, 12, v62
	s_mov_b64 s[52:53], -1
	v_cmp_ne_u32_e32 vcc, 0, v2
	s_and_saveexec_b64 s[50:51], vcc
	s_cbranch_execz .LBB5_745
; %bb.734:                              ;   in Loop: Header=BB5_733 Depth=3
	v_and_b32_e32 v38, 8, v62
	v_lshl_add_u64 v[4:5], v[36:37], 0, v[38:39]
	v_lshl_add_u64 v[2:3], v[50:51], 0, 2
	v_cmp_lt_u64_e32 vcc, v[4:5], v[2:3]
	v_mov_b32_e32 v4, 1
	s_and_saveexec_b64 s[52:53], vcc
	s_cbranch_execz .LBB5_744
; %bb.735:                              ;   in Loop: Header=BB5_733 Depth=3
	s_mov_b64 s[54:55], 0
	v_mov_b32_e32 v4, 0
                                        ; implicit-def: $sgpr56_sgpr57
	s_branch .LBB5_739
.LBB5_736:                              ;   in Loop: Header=BB5_739 Depth=4
	s_or_b64 exec, exec, s[64:65]
	v_mov_b32_e32 v5, 0
	s_orn2_b64 s[62:63], s[62:63], exec
.LBB5_737:                              ;   in Loop: Header=BB5_739 Depth=4
	s_or_b64 exec, exec, s[60:61]
	s_andn2_b64 vcc, s[56:57], exec
	s_and_b64 s[56:57], s[62:63], exec
	s_or_b64 s[56:57], vcc, s[56:57]
	v_mov_b32_e32 v4, v5
.LBB5_738:                              ;   in Loop: Header=BB5_739 Depth=4
	s_or_b64 exec, exec, s[58:59]
	s_waitcnt vmcnt(0) lgkmcnt(0)
	v_lshl_add_u64 v[6:7], v[36:37], 0, v[38:39]
	v_cmp_ge_u64_e32 vcc, v[6:7], v[2:3]
	s_xor_b64 s[58:59], s[56:57], -1
	s_or_b64 vcc, s[58:59], vcc
	s_and_b64 vcc, exec, vcc
	s_or_b64 s[54:55], vcc, s[54:55]
	s_andn2_b64 exec, exec, s[54:55]
	s_cbranch_execz .LBB5_743
.LBB5_739:                              ;   Parent Loop BB5_81 Depth=1
                                        ;     Parent Loop BB5_550 Depth=2
                                        ;       Parent Loop BB5_733 Depth=3
                                        ; =>      This Inner Loop Header: Depth=4
	s_sleep 1
	flat_load_dwordx2 v[36:37], v[26:27] sc0 sc1
	v_and_b32_e32 v5, 64, v62
	v_cmp_eq_u32_e32 vcc, 0, v5
	s_andn2_b64 s[56:57], s[56:57], exec
	s_and_saveexec_b64 s[58:59], vcc
	s_cbranch_execz .LBB5_738
; %bb.740:                              ;   in Loop: Header=BB5_739 Depth=4
	v_add_u32_e32 v5, 1, v4
	v_cmp_lt_i32_e32 vcc, s72, v4
	s_mov_b64 s[62:63], -1
	s_and_saveexec_b64 s[60:61], vcc
	s_cbranch_execz .LBB5_737
; %bb.741:                              ;   in Loop: Header=BB5_739 Depth=4
	s_trap 2
	ds_read_b64 v[4:5], v0
	s_waitcnt vmcnt(0) lgkmcnt(0)
	flat_load_dword v4, v[4:5] sc0 sc1
	s_waitcnt vmcnt(0) lgkmcnt(0)
	buffer_inv sc0 sc1
	v_cmp_ne_u32_e32 vcc, 0, v4
	s_and_saveexec_b64 s[64:65], vcc
	s_cbranch_execz .LBB5_736
; %bb.742:                              ;   in Loop: Header=BB5_739 Depth=4
	v_or_b32_e32 v62, 64, v62
	s_xor_b64 s[62:63], exec, -1
	ds_write_b32 v0, v4
	s_trap 2
	s_branch .LBB5_736
.LBB5_743:                              ;   in Loop: Header=BB5_733 Depth=3
	s_or_b64 exec, exec, s[54:55]
	v_and_b32_e32 v4, 12, v62
.LBB5_744:                              ;   in Loop: Header=BB5_733 Depth=3
	s_or_b64 exec, exec, s[52:53]
	v_cmp_eq_u32_e32 vcc, 0, v4
	s_orn2_b64 s[52:53], vcc, exec
	;;#ASMSTART
	s_wakeup
	;;#ASMEND
.LBB5_745:                              ;   in Loop: Header=BB5_733 Depth=3
	s_or_b64 exec, exec, s[50:51]
	s_xor_b64 s[24:25], s[24:25], -1
	s_and_b64 s[24:25], exec, s[24:25]
	s_or_b64 s[28:29], s[24:25], s[28:29]
	v_sub_u32_e32 v2, v54, v46
	s_xor_b64 s[24:25], s[52:53], -1
	v_min_i32_e32 v40, v40, v2
	s_and_saveexec_b64 s[50:51], s[24:25]
	s_cbranch_execz .LBB5_769
; %bb.746:                              ;   in Loop: Header=BB5_733 Depth=3
	v_and_b32_e32 v2, 0x108, v62
	v_cmp_ne_u32_e32 vcc, s73, v2
	v_and_b32_e32 v2, 7, v50
	s_and_saveexec_b64 s[24:25], vcc
	s_xor_b64 s[24:25], exec, s[24:25]
	s_andn2_saveexec_b64 s[24:25], s[24:25]
	s_cbranch_execz .LBB5_748
; %bb.747:                              ;   in Loop: Header=BB5_733 Depth=3
	v_accvgpr_read_b32 v4, a20
	v_accvgpr_read_b32 v5, a21
	v_mad_u64_u32 v[4:5], vcc, v2, 24, v[4:5]
	v_ashrrev_i32_e32 v41, 31, v40
	flat_store_dwordx2 v[4:5], v[40:41] offset:8
.LBB5_748:                              ;   in Loop: Header=BB5_733 Depth=3
	s_or_b64 exec, exec, s[24:25]
	v_and_b32_e32 v3, 0x100, v62
	v_cmp_ne_u32_e32 vcc, 0, v3
	s_mov_b64 s[24:25], -1
                                        ; implicit-def: $vgpr4_vgpr5
	s_and_saveexec_b64 s[52:53], vcc
	s_cbranch_execz .LBB5_752
; %bb.749:                              ;   in Loop: Header=BB5_733 Depth=3
	v_accvgpr_read_b32 v4, a20
	v_accvgpr_read_b32 v5, a21
	v_mad_u64_u32 v[6:7], s[24:25], v2, 24, v[4:5]
	v_mov_b32_e32 v4, v7
	v_mad_u64_u32 v[4:5], s[24:25], v39, 24, v[4:5]
	v_mov_b32_e32 v7, v4
	flat_load_dword v3, v[6:7]
                                        ; implicit-def: $vgpr4_vgpr5
	s_waitcnt vmcnt(0) lgkmcnt(0)
	v_cmp_ne_u32_e32 vcc, 1, v3
	v_cmp_eq_u32_e64 s[24:25], 1, v3
	s_and_saveexec_b64 s[54:55], s[24:25]
	s_cbranch_execz .LBB5_751
; %bb.750:                              ;   in Loop: Header=BB5_733 Depth=3
	flat_load_dword v4, v[6:7] offset:4 sc0 sc1
	s_waitcnt vmcnt(0) lgkmcnt(0)
	v_ashrrev_i32_e32 v5, 31, v4
.LBB5_751:                              ;   in Loop: Header=BB5_733 Depth=3
	s_or_b64 exec, exec, s[54:55]
	s_orn2_b64 s[24:25], vcc, exec
.LBB5_752:                              ;   in Loop: Header=BB5_733 Depth=3
	s_or_b64 exec, exec, s[52:53]
	s_and_saveexec_b64 vcc, s[24:25]
; %bb.753:                              ;   in Loop: Header=BB5_733 Depth=3
	v_mul_lo_u32 v3, v39, v52
	v_mul_lo_u32 v6, v2, v35
	v_mad_u64_u32 v[4:5], s[24:25], v2, v52, 0
	v_add3_u32 v5, v5, v6, v3
; %bb.754:                              ;   in Loop: Header=BB5_733 Depth=3
	s_or_b64 exec, exec, vcc
	v_lshl_add_u64 v[2:3], v[12:13], 0, v[4:5]
	s_trap 2
	ds_write_b64 v0, v[2:3]
	v_and_b32_e32 v2, 0x2000, v62
	v_cmp_ne_u32_e32 vcc, 0, v2
	s_and_saveexec_b64 s[24:25], vcc
	s_cbranch_execz .LBB5_756
; %bb.755:                              ;   in Loop: Header=BB5_733 Depth=3
	ds_read_b64 v[2:3], v0 offset:584
	s_waitcnt lgkmcnt(0)
	v_lshl_add_u64 v[2:3], v[2:3], 0, 1
	ds_write_b64 v0, v[2:3] offset:584
.LBB5_756:                              ;   in Loop: Header=BB5_733 Depth=3
	s_or_b64 exec, exec, s[24:25]
	v_lshl_add_u64 v[50:51], v[50:51], 0, 2
	s_or_b64 exec, exec, s[50:51]
	s_and_saveexec_b64 s[24:25], s[4:5]
	s_cbranch_execnz .LBB5_770
.LBB5_757:                              ;   in Loop: Header=BB5_733 Depth=3
	s_or_b64 exec, exec, s[24:25]
                                        ; implicit-def: $vgpr2
	s_and_saveexec_b64 s[24:25], s[48:49]
	s_xor_b64 s[24:25], exec, s[24:25]
	s_cbranch_execz .LBB5_795
.LBB5_758:                              ;   in Loop: Header=BB5_733 Depth=3
	s_and_saveexec_b64 vcc, s[40:41]
	s_xor_b64 s[50:51], exec, vcc
	s_cbranch_execz .LBB5_785
; %bb.759:                              ;   in Loop: Header=BB5_733 Depth=3
	s_and_saveexec_b64 s[52:53], s[12:13]
	s_cbranch_execz .LBB5_784
; %bb.760:                              ;   in Loop: Header=BB5_733 Depth=3
	s_mov_b64 s[56:57], exec
	v_mbcnt_lo_u32_b32 v2, s56, 0
	v_mbcnt_hi_u32_b32 v2, s57, v2
	v_cmp_eq_u32_e32 vcc, 0, v2
	;;#ASMSTART
	s_waitcnt lgkmcnt(0) vmcnt(0)
	;;#ASMEND
	s_and_saveexec_b64 s[54:55], vcc
	s_cbranch_execz .LBB5_762
; %bb.761:                              ;   in Loop: Header=BB5_733 Depth=3
	s_bcnt1_i32_b64 vcc_lo, s[56:57]
	v_mov_b32_e32 v38, vcc_lo
	ds_add_u64 v0, v[38:39]
	s_trap 2
.LBB5_762:                              ;   in Loop: Header=BB5_733 Depth=3
	s_or_b64 exec, exec, s[54:55]
	s_trap 2
	ds_read_b64 v[2:3], v0
	v_lshl_add_u64 v[14:15], v[14:15], 0, v[48:49]
	s_waitcnt lgkmcnt(0)
	v_cmp_lt_u64_e32 vcc, v[2:3], v[14:15]
	s_and_saveexec_b64 s[54:55], vcc
	s_cbranch_execz .LBB5_783
; %bb.763:                              ;   in Loop: Header=BB5_733 Depth=3
	s_mov_b32 s66, 0
	s_mov_b64 s[56:57], 0
                                        ; implicit-def: $sgpr58_sgpr59
                                        ; implicit-def: $sgpr60_sgpr61
	s_branch .LBB5_765
.LBB5_764:                              ;   in Loop: Header=BB5_765 Depth=4
	s_or_b64 exec, exec, s[64:65]
	s_and_b64 vcc, exec, vcc
	s_or_b64 s[56:57], vcc, s[56:57]
	s_andn2_b64 vcc, s[58:59], exec
	s_and_b64 s[58:59], s[60:61], exec
	s_or_b64 s[58:59], vcc, s[58:59]
	s_andn2_b64 exec, exec, s[56:57]
	s_cbranch_execz .LBB5_781
.LBB5_765:                              ;   Parent Loop BB5_81 Depth=1
                                        ;     Parent Loop BB5_550 Depth=2
                                        ;       Parent Loop BB5_733 Depth=3
                                        ; =>      This Inner Loop Header: Depth=4
	s_add_i32 s66, s66, 1
	s_cmpk_lg_i32 s66, 0x2710
	s_cselect_b64 s[62:63], -1, 0
	s_and_b64 vcc, exec, s[62:63]
                                        ; implicit-def: $sgpr64_sgpr65
	s_cbranch_vccnz .LBB5_767
; %bb.766:                              ;   in Loop: Header=BB5_765 Depth=4
	s_trap 2
	ds_read_b64 v[2:3], v0
	s_andn2_b64 s[62:63], s[62:63], exec
	s_mov_b32 s66, 0
	s_mov_b64 s[64:65], -1
	s_waitcnt vmcnt(0) lgkmcnt(0)
	flat_load_dword v2, v[2:3] sc0 sc1
	s_waitcnt vmcnt(0) lgkmcnt(0)
	buffer_inv sc0 sc1
	v_cmp_eq_u32_e32 vcc, 0, v2
	s_and_b64 vcc, vcc, exec
	s_or_b64 s[62:63], s[62:63], vcc
.LBB5_767:                              ;   in Loop: Header=BB5_765 Depth=4
	s_andn2_b64 s[60:61], s[60:61], exec
	s_and_b64 s[64:65], s[64:65], exec
	s_mov_b64 vcc, -1
	s_or_b64 s[60:61], s[60:61], s[64:65]
	s_and_saveexec_b64 s[64:65], s[62:63]
	s_cbranch_execz .LBB5_764
; %bb.768:                              ;   in Loop: Header=BB5_765 Depth=4
	s_sleep 1
	s_trap 2
	ds_read_b64 v[2:3], v0
	s_andn2_b64 s[60:61], s[60:61], exec
	s_waitcnt lgkmcnt(0)
	v_cmp_ge_u64_e32 vcc, v[2:3], v[14:15]
	s_orn2_b64 vcc, vcc, exec
	s_branch .LBB5_764
.LBB5_769:                              ;   in Loop: Header=BB5_733 Depth=3
	s_or_b64 exec, exec, s[50:51]
	s_and_saveexec_b64 s[24:25], s[4:5]
	s_cbranch_execz .LBB5_757
.LBB5_770:                              ;   in Loop: Header=BB5_733 Depth=3
	s_and_saveexec_b64 vcc, s[40:41]
	s_xor_b64 s[50:51], exec, vcc
	s_cbranch_execz .LBB5_792
; %bb.771:                              ;   in Loop: Header=BB5_733 Depth=3
	s_and_saveexec_b64 s[52:53], s[12:13]
	s_cbranch_execz .LBB5_791
; %bb.772:                              ;   in Loop: Header=BB5_733 Depth=3
	s_mov_b64 s[56:57], exec
	v_mbcnt_lo_u32_b32 v2, s56, 0
	v_mbcnt_hi_u32_b32 v2, s57, v2
	v_cmp_eq_u32_e32 vcc, 0, v2
	s_waitcnt lgkmcnt(0)
	s_and_saveexec_b64 s[54:55], vcc
	s_cbranch_execz .LBB5_774
; %bb.773:                              ;   in Loop: Header=BB5_733 Depth=3
	s_bcnt1_i32_b64 vcc_lo, s[56:57]
	v_mov_b32_e32 v38, vcc_lo
	ds_add_u64 v0, v[38:39]
	s_trap 2
.LBB5_774:                              ;   in Loop: Header=BB5_733 Depth=3
	s_or_b64 exec, exec, s[54:55]
	s_trap 2
	ds_read_b64 v[2:3], v0
	v_lshl_add_u64 v[14:15], v[14:15], 0, v[48:49]
	s_waitcnt lgkmcnt(0)
	v_cmp_lt_u64_e32 vcc, v[2:3], v[14:15]
	s_and_saveexec_b64 s[54:55], vcc
	s_cbranch_execz .LBB5_790
; %bb.775:                              ;   in Loop: Header=BB5_733 Depth=3
	s_mov_b32 s66, 0
	s_mov_b64 s[56:57], 0
                                        ; implicit-def: $sgpr58_sgpr59
                                        ; implicit-def: $sgpr60_sgpr61
	s_branch .LBB5_777
.LBB5_776:                              ;   in Loop: Header=BB5_777 Depth=4
	s_or_b64 exec, exec, s[64:65]
	s_and_b64 vcc, exec, vcc
	s_or_b64 s[56:57], vcc, s[56:57]
	s_andn2_b64 vcc, s[58:59], exec
	s_and_b64 s[58:59], s[60:61], exec
	s_or_b64 s[58:59], vcc, s[58:59]
	s_andn2_b64 exec, exec, s[56:57]
	s_cbranch_execz .LBB5_788
.LBB5_777:                              ;   Parent Loop BB5_81 Depth=1
                                        ;     Parent Loop BB5_550 Depth=2
                                        ;       Parent Loop BB5_733 Depth=3
                                        ; =>      This Inner Loop Header: Depth=4
	s_add_i32 s66, s66, 1
	s_cmpk_lg_i32 s66, 0x2710
	s_cselect_b64 s[62:63], -1, 0
	s_and_b64 vcc, exec, s[62:63]
                                        ; implicit-def: $sgpr64_sgpr65
	s_cbranch_vccnz .LBB5_779
; %bb.778:                              ;   in Loop: Header=BB5_777 Depth=4
	s_trap 2
	ds_read_b64 v[2:3], v0
	s_andn2_b64 s[62:63], s[62:63], exec
	s_mov_b32 s66, 0
	s_mov_b64 s[64:65], -1
	s_waitcnt vmcnt(0) lgkmcnt(0)
	flat_load_dword v2, v[2:3] sc0 sc1
	s_waitcnt vmcnt(0) lgkmcnt(0)
	buffer_inv sc0 sc1
	v_cmp_eq_u32_e32 vcc, 0, v2
	s_and_b64 vcc, vcc, exec
	s_or_b64 s[62:63], s[62:63], vcc
.LBB5_779:                              ;   in Loop: Header=BB5_777 Depth=4
	s_andn2_b64 s[60:61], s[60:61], exec
	s_and_b64 s[64:65], s[64:65], exec
	s_mov_b64 vcc, -1
	s_or_b64 s[60:61], s[60:61], s[64:65]
	s_and_saveexec_b64 s[64:65], s[62:63]
	s_cbranch_execz .LBB5_776
; %bb.780:                              ;   in Loop: Header=BB5_777 Depth=4
	s_sleep 1
	s_trap 2
	ds_read_b64 v[2:3], v0
	s_andn2_b64 s[60:61], s[60:61], exec
	s_waitcnt lgkmcnt(0)
	v_cmp_ge_u64_e32 vcc, v[2:3], v[14:15]
	s_orn2_b64 vcc, vcc, exec
	s_branch .LBB5_776
.LBB5_781:                              ;   in Loop: Header=BB5_733 Depth=3
	s_or_b64 exec, exec, s[56:57]
	s_and_saveexec_b64 vcc, s[58:59]
	s_xor_b64 vcc, exec, vcc
	s_cbranch_execz .LBB5_783
; %bb.782:                              ;   in Loop: Header=BB5_733 Depth=3
	ds_write_b32 v0, v25
	s_trap 2
.LBB5_783:                              ;   in Loop: Header=BB5_733 Depth=3
	s_or_b64 exec, exec, s[54:55]
	;;#ASMSTART
	s_wakeup
	;;#ASMEND
.LBB5_784:                              ;   in Loop: Header=BB5_733 Depth=3
	s_or_b64 exec, exec, s[52:53]
.LBB5_785:                              ;   in Loop: Header=BB5_733 Depth=3
	s_andn2_saveexec_b64 vcc, s[50:51]
	s_cbranch_execz .LBB5_787
; %bb.786:                              ;   in Loop: Header=BB5_733 Depth=3
	;;#ASMSTART
	s_waitcnt lgkmcnt(0) vmcnt(0)
	;;#ASMEND
	s_barrier
.LBB5_787:                              ;   in Loop: Header=BB5_733 Depth=3
	s_or_b64 exec, exec, vcc
	v_and_b32_e32 v2, 16, v62
	s_andn2_saveexec_b64 s[24:25], s[24:25]
	s_cbranch_execz .LBB5_799
	s_branch .LBB5_796
.LBB5_788:                              ;   in Loop: Header=BB5_733 Depth=3
	s_or_b64 exec, exec, s[56:57]
	s_and_saveexec_b64 vcc, s[58:59]
	s_xor_b64 vcc, exec, vcc
	s_cbranch_execz .LBB5_790
; %bb.789:                              ;   in Loop: Header=BB5_733 Depth=3
	ds_write_b32 v0, v25
	s_trap 2
.LBB5_790:                              ;   in Loop: Header=BB5_733 Depth=3
	s_or_b64 exec, exec, s[54:55]
	;;#ASMSTART
	s_wakeup
	;;#ASMEND
.LBB5_791:                              ;   in Loop: Header=BB5_733 Depth=3
	s_or_b64 exec, exec, s[52:53]
.LBB5_792:                              ;   in Loop: Header=BB5_733 Depth=3
	s_andn2_saveexec_b64 vcc, s[50:51]
	s_cbranch_execz .LBB5_794
; %bb.793:                              ;   in Loop: Header=BB5_733 Depth=3
	s_waitcnt lgkmcnt(0)
	s_barrier
.LBB5_794:                              ;   in Loop: Header=BB5_733 Depth=3
	s_or_b64 exec, exec, vcc
	s_or_b64 exec, exec, s[24:25]
                                        ; implicit-def: $vgpr2
	s_and_saveexec_b64 s[24:25], s[48:49]
	s_xor_b64 s[24:25], exec, s[24:25]
	s_cbranch_execnz .LBB5_758
.LBB5_795:                              ;   in Loop: Header=BB5_733 Depth=3
	s_andn2_saveexec_b64 s[24:25], s[24:25]
	s_cbranch_execz .LBB5_799
.LBB5_796:                              ;   in Loop: Header=BB5_733 Depth=3
	s_trap 2
	ds_read_b32 v3, v0
	v_cmp_lt_i32_e32 vcc, 0, v40
	v_and_b32_e32 v4, 16, v62
	v_and_b32_e32 v2, 16, v62
	s_waitcnt lgkmcnt(0)
	v_readfirstlane_b32 s50, v3
	s_cmp_eq_u32 s50, 0
	s_cselect_b64 s[50:51], -1, 0
	s_and_b64 s[50:51], vcc, s[50:51]
	v_cmp_ne_u32_e32 vcc, 0, v4
	s_and_b64 s[50:51], vcc, s[50:51]
	s_and_saveexec_b64 vcc, s[50:51]
	s_cbranch_execz .LBB5_798
; %bb.797:                              ;   in Loop: Header=BB5_733 Depth=3
	v_mov_b32_e32 v2, 1
	buffer_wbl2 sc1
	s_waitcnt vmcnt(0)
	buffer_inv sc1
.LBB5_798:                              ;   in Loop: Header=BB5_733 Depth=3
	s_or_b64 exec, exec, vcc
.LBB5_799:                              ;   in Loop: Header=BB5_733 Depth=3
	s_or_b64 exec, exec, s[24:25]
	v_cmp_ne_u32_e32 vcc, 0, v2
	s_xor_b64 s[24:25], s[6:7], -1
	s_and_b64 vcc, vcc, s[24:25]
	s_and_saveexec_b64 s[24:25], vcc
	s_cbranch_execz .LBB5_801
; %bb.800:                              ;   in Loop: Header=BB5_733 Depth=3
	flat_store_dword v[0:1], v25 sc0 sc1
.LBB5_801:                              ;   in Loop: Header=BB5_733 Depth=3
	s_or_b64 exec, exec, s[24:25]
	v_and_b32_e32 v2, 48, v62
	v_cmp_ne_u32_e32 vcc, 0, v2
	s_and_saveexec_b64 s[24:25], vcc
	s_cbranch_execz .LBB5_732
; %bb.802:                              ;   in Loop: Header=BB5_733 Depth=3
	v_lshl_add_u64 v[50:51], v[50:51], 0, 2
	flat_store_dwordx2 v[26:27], v[50:51] sc0 sc1
	s_branch .LBB5_732
.LBB5_803:                              ;   in Loop: Header=BB5_550 Depth=2
	s_or_b64 exec, exec, s[52:53]
	s_or_b64 exec, exec, s[50:51]
	v_cmp_gt_i32_e32 vcc, 2, v2
	s_and_saveexec_b64 s[26:27], vcc
	s_cbranch_execnz .LBB5_731
.LBB5_804:                              ;   in Loop: Header=BB5_550 Depth=2
	s_or_b64 exec, exec, s[26:27]
	s_add_i32 s24, s68, 1
	s_cmp_eq_u32 s68, s75
	s_cbranch_scc0 .LBB5_806
	s_branch .LBB5_807
.LBB5_805:                              ;   in Loop: Header=BB5_550 Depth=2
	s_or_b64 exec, exec, s[28:29]
	s_or_b64 exec, exec, s[26:27]
	s_add_i32 s24, s68, 1
	s_cmp_eq_u32 s68, s75
	s_cbranch_scc1 .LBB5_807
.LBB5_806:                              ;   in Loop: Header=BB5_550 Depth=2
	s_mov_b32 s68, s24
	s_branch .LBB5_550
.LBB5_807:                              ;   in Loop: Header=BB5_81 Depth=1
	v_accvgpr_read_b32 v47, a25
	v_accvgpr_read_b32 v46, a24
	v_mov_b32_e32 v3, 0
	v_mov_b32_e32 v2, 0
	s_and_saveexec_b64 s[24:25], s[22:23]
	s_cbranch_execnz .LBB5_812
.LBB5_808:                              ;   in Loop: Header=BB5_81 Depth=1
	s_or_b64 exec, exec, s[24:25]
	v_cmp_gt_i32_e32 vcc, 2, v3
	s_and_saveexec_b64 s[24:25], vcc
	s_cbranch_execz .LBB5_80
	s_branch .LBB5_951
.LBB5_809:                              ;   in Loop: Header=BB5_81 Depth=1
	s_or_b64 exec, exec, s[50:51]
.LBB5_810:                              ;   in Loop: Header=BB5_81 Depth=1
	s_or_b64 exec, exec, s[28:29]
	s_or_b64 exec, exec, s[26:27]
	s_andn2_b64 vcc, exec, s[46:47]
	s_cbranch_vccz .LBB5_549
.LBB5_811:                              ;   in Loop: Header=BB5_81 Depth=1
	v_mov_b32_e32 v3, 0
	v_mov_b32_e32 v2, 0
	s_and_saveexec_b64 s[24:25], s[22:23]
	s_cbranch_execz .LBB5_808
.LBB5_812:                              ;   in Loop: Header=BB5_81 Depth=1
	v_accvgpr_read_b32 v2, a4
	v_accvgpr_read_b32 v3, a5
	flat_load_dword v2, v[2:3] offset:4
	v_accvgpr_read_b32 v6, a14
	v_accvgpr_read_b32 v4, a36
	;; [unrolled: 1-line block ×4, first 2 shown]
	s_mov_b32 s66, 1
	s_mov_b64 s[28:29], -1
	s_mov_b64 s[26:27], 0
	s_waitcnt vmcnt(0) lgkmcnt(0)
	v_ashrrev_i32_e32 v3, 31, v2
	v_mad_u64_u32 v[4:5], s[22:23], v6, v2, v[4:5]
	v_mul_lo_u32 v2, v7, v2
	v_mul_lo_u32 v3, v6, v3
	v_add3_u32 v5, v2, v5, v3
	v_mov_b32_e32 v2, 0
	s_branch .LBB5_814
.LBB5_813:                              ;   in Loop: Header=BB5_814 Depth=2
	s_or_b64 exec, exec, s[22:23]
	v_add_u32_e32 v2, v17, v2
	v_cmp_ge_i32_e32 vcc, v2, v54
	s_xor_b64 s[22:23], s[28:29], -1
	s_or_b64 s[22:23], s[22:23], vcc
	s_and_b64 s[22:23], exec, s[22:23]
	s_or_b64 s[26:27], s[22:23], s[26:27]
	s_mov_b64 s[28:29], 0
	v_mov_b32_e32 v3, s66
	s_mov_b32 s66, 2
	s_andn2_b64 exec, exec, s[26:27]
	s_cbranch_execz .LBB5_950
.LBB5_814:                              ;   Parent Loop BB5_81 Depth=1
                                        ; =>  This Loop Header: Depth=2
                                        ;       Child Loop BB5_822 Depth 3
                                        ;       Child Loop BB5_846 Depth 3
	;; [unrolled: 1-line block ×9, first 2 shown]
	s_and_saveexec_b64 s[22:23], s[0:1]
	s_cbranch_execz .LBB5_816
; %bb.815:                              ;   in Loop: Header=BB5_814 Depth=2
	s_trap 2
	ds_read_b128 v[6:9], v0
	v_ashrrev_i32_e32 v3, 31, v2
	s_waitcnt lgkmcnt(0)
	v_lshl_add_u64 v[6:7], v[6:7], 0, v[4:5]
	v_lshl_add_u64 v[10:11], v[8:9], 0, v[4:5]
	;; [unrolled: 1-line block ×4, first 2 shown]
	v_cmp_ne_u64_e32 vcc, 0, v[8:9]
	ds_write_b64 v0, v[6:7]
	s_nop 0
	v_cndmask_b32_e32 v7, 0, v11, vcc
	v_cndmask_b32_e32 v6, 0, v10, vcc
	ds_write_b64 v0, v[6:7]
.LBB5_816:                              ;   in Loop: Header=BB5_814 Depth=2
	s_or_b64 exec, exec, s[22:23]
	v_and_b32_e32 v3, 4, v62
	v_cmp_ne_u32_e32 vcc, 0, v3
	s_mov_b64 s[50:51], -1
	s_and_saveexec_b64 s[22:23], vcc
	s_cbranch_execz .LBB5_826
; %bb.817:                              ;   in Loop: Header=BB5_814 Depth=2
	v_lshl_add_u64 v[6:7], v[50:51], 0, 2
	v_cmp_lt_u64_e32 vcc, v[36:37], v[6:7]
	v_mov_b32_e32 v3, 1
	s_and_saveexec_b64 s[50:51], vcc
	s_cbranch_execz .LBB5_837
; %bb.818:                              ;   in Loop: Header=BB5_814 Depth=2
	s_mov_b64 s[52:53], 0
	v_mov_b32_e32 v3, 0
                                        ; implicit-def: $sgpr54_sgpr55
	s_branch .LBB5_822
.LBB5_819:                              ;   in Loop: Header=BB5_822 Depth=3
	s_or_b64 exec, exec, s[62:63]
	v_mov_b32_e32 v8, 0
	s_orn2_b64 s[60:61], s[60:61], exec
.LBB5_820:                              ;   in Loop: Header=BB5_822 Depth=3
	s_or_b64 exec, exec, s[58:59]
	s_andn2_b64 vcc, s[54:55], exec
	s_and_b64 s[54:55], s[60:61], exec
	s_or_b64 s[54:55], vcc, s[54:55]
	v_mov_b32_e32 v3, v8
.LBB5_821:                              ;   in Loop: Header=BB5_822 Depth=3
	s_or_b64 exec, exec, s[56:57]
	s_waitcnt vmcnt(0) lgkmcnt(0)
	v_cmp_ge_u64_e32 vcc, v[36:37], v[6:7]
	s_xor_b64 s[56:57], s[54:55], -1
	s_or_b64 vcc, s[56:57], vcc
	s_and_b64 vcc, exec, vcc
	s_or_b64 s[52:53], vcc, s[52:53]
	s_andn2_b64 exec, exec, s[52:53]
	s_cbranch_execz .LBB5_836
.LBB5_822:                              ;   Parent Loop BB5_81 Depth=1
                                        ;     Parent Loop BB5_814 Depth=2
                                        ; =>    This Inner Loop Header: Depth=3
	s_sleep 1
	flat_load_dwordx2 v[36:37], v[26:27] sc0 sc1
	v_and_b32_e32 v8, 64, v62
	v_cmp_eq_u32_e32 vcc, 0, v8
	s_andn2_b64 s[54:55], s[54:55], exec
	s_and_saveexec_b64 s[56:57], vcc
	s_cbranch_execz .LBB5_821
; %bb.823:                              ;   in Loop: Header=BB5_822 Depth=3
	v_add_u32_e32 v8, 1, v3
	v_cmp_lt_i32_e32 vcc, s72, v3
	s_mov_b64 s[60:61], -1
	s_and_saveexec_b64 s[58:59], vcc
	s_cbranch_execz .LBB5_820
; %bb.824:                              ;   in Loop: Header=BB5_822 Depth=3
	s_trap 2
	ds_read_b64 v[8:9], v0
	s_waitcnt vmcnt(0) lgkmcnt(0)
	flat_load_dword v3, v[8:9] sc0 sc1
	s_waitcnt vmcnt(0) lgkmcnt(0)
	buffer_inv sc0 sc1
	v_cmp_ne_u32_e32 vcc, 0, v3
	s_and_saveexec_b64 s[62:63], vcc
	s_cbranch_execz .LBB5_819
; %bb.825:                              ;   in Loop: Header=BB5_822 Depth=3
	v_or_b32_e32 v62, 64, v62
	s_xor_b64 s[60:61], exec, -1
	ds_write_b32 v0, v3
	s_trap 2
	s_branch .LBB5_819
.LBB5_826:                              ;   in Loop: Header=BB5_814 Depth=2
	s_or_b64 exec, exec, s[22:23]
	s_xor_b64 s[22:23], s[50:51], -1
	s_and_saveexec_b64 s[50:51], s[22:23]
	s_cbranch_execz .LBB5_838
.LBB5_827:                              ;   in Loop: Header=BB5_814 Depth=2
	v_and_b32_e32 v3, 0x100, v62
	v_cmp_ne_u32_e32 vcc, 0, v3
	v_and_b32_e32 v3, 7, v50
	s_mov_b64 s[22:23], -1
                                        ; implicit-def: $vgpr6_vgpr7
	s_and_saveexec_b64 s[52:53], vcc
	s_cbranch_execz .LBB5_831
; %bb.828:                              ;   in Loop: Header=BB5_814 Depth=2
	v_accvgpr_read_b32 v6, a20
	v_accvgpr_read_b32 v7, a21
	v_mad_u64_u32 v[8:9], s[22:23], v3, 24, v[6:7]
	flat_load_dword v6, v[8:9]
	s_waitcnt vmcnt(0) lgkmcnt(0)
	v_cmp_ne_u32_e32 vcc, 1, v6
	v_cmp_eq_u32_e64 s[22:23], 1, v6
                                        ; implicit-def: $vgpr6_vgpr7
	s_and_saveexec_b64 s[54:55], s[22:23]
	s_cbranch_execz .LBB5_830
; %bb.829:                              ;   in Loop: Header=BB5_814 Depth=2
	flat_load_dword v6, v[8:9] offset:4 sc0 sc1
	s_waitcnt vmcnt(0) lgkmcnt(0)
	v_ashrrev_i32_e32 v7, 31, v6
.LBB5_830:                              ;   in Loop: Header=BB5_814 Depth=2
	s_or_b64 exec, exec, s[54:55]
	s_orn2_b64 s[22:23], vcc, exec
.LBB5_831:                              ;   in Loop: Header=BB5_814 Depth=2
	s_or_b64 exec, exec, s[52:53]
	s_and_saveexec_b64 vcc, s[22:23]
; %bb.832:                              ;   in Loop: Header=BB5_814 Depth=2
	v_mad_i64_i32 v[6:7], s[22:23], v3, v52, 0
; %bb.833:                              ;   in Loop: Header=BB5_814 Depth=2
	s_or_b64 exec, exec, vcc
	v_and_b32_e32 v3, 0x2000, v62
	v_lshl_add_u64 v[6:7], v[12:13], 0, v[6:7]
	v_cmp_ne_u32_e32 vcc, 0, v3
	ds_write_b64 v0, v[6:7] offset:720
	s_and_saveexec_b64 s[22:23], vcc
	s_cbranch_execz .LBB5_835
; %bb.834:                              ;   in Loop: Header=BB5_814 Depth=2
	ds_read_b64 v[6:7], v0 offset:584
	s_waitcnt lgkmcnt(0)
	v_lshl_add_u64 v[6:7], v[6:7], 0, 1
	ds_write_b64 v0, v[6:7] offset:584
.LBB5_835:                              ;   in Loop: Header=BB5_814 Depth=2
	s_or_b64 exec, exec, s[22:23]
	v_lshl_add_u64 v[50:51], v[50:51], 0, 2
	s_or_b64 exec, exec, s[50:51]
	s_and_saveexec_b64 s[22:23], s[4:5]
	s_cbranch_execz .LBB5_857
	s_branch .LBB5_839
.LBB5_836:                              ;   in Loop: Header=BB5_814 Depth=2
	s_or_b64 exec, exec, s[52:53]
	v_and_b32_e32 v3, 4, v62
.LBB5_837:                              ;   in Loop: Header=BB5_814 Depth=2
	s_or_b64 exec, exec, s[50:51]
	v_cmp_eq_u32_e32 vcc, 0, v3
	s_orn2_b64 s[50:51], vcc, exec
	;;#ASMSTART
	s_wakeup
	;;#ASMEND
	s_or_b64 exec, exec, s[22:23]
	s_xor_b64 s[22:23], s[50:51], -1
	s_and_saveexec_b64 s[50:51], s[22:23]
	s_cbranch_execnz .LBB5_827
.LBB5_838:                              ;   in Loop: Header=BB5_814 Depth=2
	s_or_b64 exec, exec, s[50:51]
	s_and_saveexec_b64 s[22:23], s[4:5]
	s_cbranch_execz .LBB5_857
.LBB5_839:                              ;   in Loop: Header=BB5_814 Depth=2
	s_and_saveexec_b64 vcc, s[40:41]
	s_xor_b64 s[50:51], exec, vcc
	s_cbranch_execz .LBB5_854
; %bb.840:                              ;   in Loop: Header=BB5_814 Depth=2
	s_and_saveexec_b64 s[52:53], s[12:13]
	s_cbranch_execz .LBB5_853
; %bb.841:                              ;   in Loop: Header=BB5_814 Depth=2
	s_mov_b64 s[56:57], exec
	v_mbcnt_lo_u32_b32 v3, s56, 0
	v_mbcnt_hi_u32_b32 v3, s57, v3
	v_cmp_eq_u32_e32 vcc, 0, v3
	s_waitcnt lgkmcnt(0)
	s_and_saveexec_b64 s[54:55], vcc
	s_cbranch_execz .LBB5_843
; %bb.842:                              ;   in Loop: Header=BB5_814 Depth=2
	s_bcnt1_i32_b64 vcc_lo, s[56:57]
	v_mov_b32_e32 v38, vcc_lo
	ds_add_u64 v0, v[38:39]
	s_trap 2
.LBB5_843:                              ;   in Loop: Header=BB5_814 Depth=2
	s_or_b64 exec, exec, s[54:55]
	s_trap 2
	ds_read_b64 v[6:7], v0
	v_lshl_add_u64 v[14:15], v[14:15], 0, v[48:49]
	s_waitcnt lgkmcnt(0)
	v_cmp_lt_u64_e32 vcc, v[6:7], v[14:15]
	s_and_saveexec_b64 s[54:55], vcc
	s_cbranch_execz .LBB5_852
; %bb.844:                              ;   in Loop: Header=BB5_814 Depth=2
	s_mov_b32 s67, 0
	s_mov_b64 s[56:57], 0
                                        ; implicit-def: $sgpr58_sgpr59
                                        ; implicit-def: $sgpr60_sgpr61
	s_branch .LBB5_846
.LBB5_845:                              ;   in Loop: Header=BB5_846 Depth=3
	s_or_b64 exec, exec, s[64:65]
	s_and_b64 vcc, exec, vcc
	s_or_b64 s[56:57], vcc, s[56:57]
	s_andn2_b64 vcc, s[58:59], exec
	s_and_b64 s[58:59], s[60:61], exec
	s_or_b64 s[58:59], vcc, s[58:59]
	s_andn2_b64 exec, exec, s[56:57]
	s_cbranch_execz .LBB5_850
.LBB5_846:                              ;   Parent Loop BB5_81 Depth=1
                                        ;     Parent Loop BB5_814 Depth=2
                                        ; =>    This Inner Loop Header: Depth=3
	s_add_i32 s67, s67, 1
	s_cmpk_lg_i32 s67, 0x2710
	s_cselect_b64 s[62:63], -1, 0
	s_and_b64 vcc, exec, s[62:63]
                                        ; implicit-def: $sgpr64_sgpr65
	s_cbranch_vccnz .LBB5_848
; %bb.847:                              ;   in Loop: Header=BB5_846 Depth=3
	s_trap 2
	ds_read_b64 v[6:7], v0
	s_andn2_b64 s[62:63], s[62:63], exec
	s_mov_b32 s67, 0
	s_mov_b64 s[64:65], -1
	s_waitcnt lgkmcnt(0)
	flat_load_dword v3, v[6:7] sc0 sc1
	s_waitcnt vmcnt(0) lgkmcnt(0)
	buffer_inv sc0 sc1
	v_cmp_eq_u32_e32 vcc, 0, v3
	s_and_b64 vcc, vcc, exec
	s_or_b64 s[62:63], s[62:63], vcc
.LBB5_848:                              ;   in Loop: Header=BB5_846 Depth=3
	s_andn2_b64 s[60:61], s[60:61], exec
	s_and_b64 s[64:65], s[64:65], exec
	s_mov_b64 vcc, -1
	s_or_b64 s[60:61], s[60:61], s[64:65]
	s_and_saveexec_b64 s[64:65], s[62:63]
	s_cbranch_execz .LBB5_845
; %bb.849:                              ;   in Loop: Header=BB5_846 Depth=3
	s_sleep 1
	s_trap 2
	ds_read_b64 v[6:7], v0
	s_andn2_b64 s[60:61], s[60:61], exec
	s_waitcnt lgkmcnt(0)
	v_cmp_ge_u64_e32 vcc, v[6:7], v[14:15]
	s_orn2_b64 vcc, vcc, exec
	s_branch .LBB5_845
.LBB5_850:                              ;   in Loop: Header=BB5_814 Depth=2
	s_or_b64 exec, exec, s[56:57]
	s_and_saveexec_b64 vcc, s[58:59]
	s_xor_b64 vcc, exec, vcc
	s_cbranch_execz .LBB5_852
; %bb.851:                              ;   in Loop: Header=BB5_814 Depth=2
	ds_write_b32 v0, v25
	s_trap 2
.LBB5_852:                              ;   in Loop: Header=BB5_814 Depth=2
	s_or_b64 exec, exec, s[54:55]
	;;#ASMSTART
	s_wakeup
	;;#ASMEND
.LBB5_853:                              ;   in Loop: Header=BB5_814 Depth=2
	s_or_b64 exec, exec, s[52:53]
.LBB5_854:                              ;   in Loop: Header=BB5_814 Depth=2
	s_andn2_saveexec_b64 vcc, s[50:51]
	s_cbranch_execz .LBB5_856
; %bb.855:                              ;   in Loop: Header=BB5_814 Depth=2
	s_waitcnt lgkmcnt(0)
	s_barrier
.LBB5_856:                              ;   in Loop: Header=BB5_814 Depth=2
	s_or_b64 exec, exec, vcc
.LBB5_857:                              ;   in Loop: Header=BB5_814 Depth=2
	s_or_b64 exec, exec, s[22:23]
	s_trap 2
	ds_read_b32 v6, v0
	v_and_b32_e32 v3, 0x4000, v62
	v_cmp_ne_u32_e32 vcc, 0, v3
	s_xor_b64 s[22:23], s[2:3], -1
	s_and_b64 vcc, s[22:23], vcc
	s_and_saveexec_b64 s[22:23], vcc
	s_cbranch_execz .LBB5_876
; %bb.858:                              ;   in Loop: Header=BB5_814 Depth=2
	s_and_saveexec_b64 vcc, s[40:41]
	s_xor_b64 s[50:51], exec, vcc
	s_cbranch_execz .LBB5_873
; %bb.859:                              ;   in Loop: Header=BB5_814 Depth=2
	s_and_saveexec_b64 s[52:53], s[12:13]
	s_cbranch_execz .LBB5_872
; %bb.860:                              ;   in Loop: Header=BB5_814 Depth=2
	s_mov_b64 s[56:57], exec
	v_mbcnt_lo_u32_b32 v3, s56, 0
	v_mbcnt_hi_u32_b32 v3, s57, v3
	v_cmp_eq_u32_e32 vcc, 0, v3
	s_waitcnt lgkmcnt(0)
	s_and_saveexec_b64 s[54:55], vcc
	s_cbranch_execz .LBB5_862
; %bb.861:                              ;   in Loop: Header=BB5_814 Depth=2
	s_bcnt1_i32_b64 vcc_lo, s[56:57]
	v_mov_b32_e32 v38, vcc_lo
	ds_add_u64 v0, v[38:39]
	s_trap 2
.LBB5_862:                              ;   in Loop: Header=BB5_814 Depth=2
	s_or_b64 exec, exec, s[54:55]
	s_trap 2
	ds_read_b64 v[8:9], v0
	v_lshl_add_u64 v[14:15], v[14:15], 0, v[48:49]
	s_waitcnt lgkmcnt(0)
	v_cmp_lt_u64_e32 vcc, v[8:9], v[14:15]
	s_and_saveexec_b64 s[54:55], vcc
	s_cbranch_execz .LBB5_871
; %bb.863:                              ;   in Loop: Header=BB5_814 Depth=2
	s_mov_b32 s67, 0
	s_mov_b64 s[56:57], 0
                                        ; implicit-def: $sgpr58_sgpr59
                                        ; implicit-def: $sgpr60_sgpr61
	s_branch .LBB5_865
.LBB5_864:                              ;   in Loop: Header=BB5_865 Depth=3
	s_or_b64 exec, exec, s[64:65]
	s_and_b64 vcc, exec, vcc
	s_or_b64 s[56:57], vcc, s[56:57]
	s_andn2_b64 vcc, s[58:59], exec
	s_and_b64 s[58:59], s[60:61], exec
	s_or_b64 s[58:59], vcc, s[58:59]
	s_andn2_b64 exec, exec, s[56:57]
	s_cbranch_execz .LBB5_869
.LBB5_865:                              ;   Parent Loop BB5_81 Depth=1
                                        ;     Parent Loop BB5_814 Depth=2
                                        ; =>    This Inner Loop Header: Depth=3
	s_add_i32 s67, s67, 1
	s_cmpk_lg_i32 s67, 0x2710
	s_cselect_b64 s[62:63], -1, 0
	s_and_b64 vcc, exec, s[62:63]
                                        ; implicit-def: $sgpr64_sgpr65
	s_cbranch_vccnz .LBB5_867
; %bb.866:                              ;   in Loop: Header=BB5_865 Depth=3
	s_trap 2
	ds_read_b64 v[8:9], v0
	s_andn2_b64 s[62:63], s[62:63], exec
	s_mov_b32 s67, 0
	s_mov_b64 s[64:65], -1
	s_waitcnt lgkmcnt(0)
	flat_load_dword v3, v[8:9] sc0 sc1
	s_waitcnt vmcnt(0) lgkmcnt(0)
	buffer_inv sc0 sc1
	v_cmp_eq_u32_e32 vcc, 0, v3
	s_and_b64 vcc, vcc, exec
	s_or_b64 s[62:63], s[62:63], vcc
.LBB5_867:                              ;   in Loop: Header=BB5_865 Depth=3
	s_andn2_b64 s[60:61], s[60:61], exec
	s_and_b64 s[64:65], s[64:65], exec
	s_mov_b64 vcc, -1
	s_or_b64 s[60:61], s[60:61], s[64:65]
	s_and_saveexec_b64 s[64:65], s[62:63]
	s_cbranch_execz .LBB5_864
; %bb.868:                              ;   in Loop: Header=BB5_865 Depth=3
	s_sleep 1
	s_trap 2
	ds_read_b64 v[8:9], v0
	s_andn2_b64 s[60:61], s[60:61], exec
	s_waitcnt lgkmcnt(0)
	v_cmp_ge_u64_e32 vcc, v[8:9], v[14:15]
	s_orn2_b64 vcc, vcc, exec
	s_branch .LBB5_864
.LBB5_869:                              ;   in Loop: Header=BB5_814 Depth=2
	s_or_b64 exec, exec, s[56:57]
	s_and_saveexec_b64 vcc, s[58:59]
	s_xor_b64 vcc, exec, vcc
	s_cbranch_execz .LBB5_871
; %bb.870:                              ;   in Loop: Header=BB5_814 Depth=2
	ds_write_b32 v0, v25
	s_trap 2
.LBB5_871:                              ;   in Loop: Header=BB5_814 Depth=2
	s_or_b64 exec, exec, s[54:55]
	;;#ASMSTART
	s_wakeup
	;;#ASMEND
.LBB5_872:                              ;   in Loop: Header=BB5_814 Depth=2
	s_or_b64 exec, exec, s[52:53]
.LBB5_873:                              ;   in Loop: Header=BB5_814 Depth=2
	s_andn2_saveexec_b64 vcc, s[50:51]
	s_cbranch_execz .LBB5_875
; %bb.874:                              ;   in Loop: Header=BB5_814 Depth=2
	s_waitcnt lgkmcnt(0)
	s_barrier
.LBB5_875:                              ;   in Loop: Header=BB5_814 Depth=2
	s_or_b64 exec, exec, vcc
.LBB5_876:                              ;   in Loop: Header=BB5_814 Depth=2
	s_or_b64 exec, exec, s[22:23]
	s_trap 2
	ds_read_b64 v[8:9], v0
	v_sub_u32_e32 v3, v54, v2
	v_min_i32_e32 v17, v17, v3
	v_mov_b32_e32 v3, 0
	s_waitcnt lgkmcnt(0)
	v_readfirstlane_b32 s22, v8
	v_readfirstlane_b32 s23, v9
	s_cmp_eq_u64 s[22:23], 0
	s_cselect_b64 s[22:23], -1, 0
	s_or_b64 s[22:23], s[22:23], s[22:23]
	s_and_b64 vcc, exec, s[22:23]
	s_cbranch_vccnz .LBB5_892
; %bb.877:                              ;   in Loop: Header=BB5_814 Depth=2
	s_mov_b64 s[22:23], -1
	s_and_saveexec_b64 s[50:51], s[18:19]
	s_cbranch_execz .LBB5_879
; %bb.878:                              ;   in Loop: Header=BB5_814 Depth=2
	ds_read_b32 v3, v0 offset:720
	s_waitcnt lgkmcnt(0)
	v_and_b32_e32 v3, 15, v3
	v_cmp_eq_u32_e32 vcc, 0, v3
	s_orn2_b64 s[22:23], vcc, exec
.LBB5_879:                              ;   in Loop: Header=BB5_814 Depth=2
	s_or_b64 exec, exec, s[50:51]
	s_and_saveexec_b64 s[50:51], s[14:15]
	s_cbranch_execz .LBB5_881
; %bb.880:                              ;   in Loop: Header=BB5_814 Depth=2
	ds_read_b32 v3, v0 offset:784
	s_waitcnt lgkmcnt(0)
	v_and_b32_e32 v3, 15, v3
	v_cmp_eq_u32_e32 vcc, 0, v3
	s_and_b64 vcc, s[22:23], vcc
	s_andn2_b64 s[22:23], s[22:23], exec
	s_and_b64 vcc, vcc, exec
	s_or_b64 s[22:23], s[22:23], vcc
.LBB5_881:                              ;   in Loop: Header=BB5_814 Depth=2
	s_or_b64 exec, exec, s[50:51]
	v_cmp_eq_u32_e32 vcc, 0, v6
	s_xor_b64 s[22:23], s[22:23], -1
	v_cndmask_b32_e64 v6, 0, 1, s[22:23]
	v_cndmask_b32_e32 v3, 0, v17, vcc
	v_mov_b32_e32 v18, 0
	s_mov_b64 s[52:53], -1
	;;#ASMSTART
	;;#ASMEND
	v_mov_b32_e32 v19, v3
	v_cmp_ne_u32_e32 vcc, 0, v6
	v_mov_b32_e32 v20, v53
	v_mov_b32_e32 v8, v34
	s_cbranch_vccz .LBB5_904
; %bb.882:                              ;   in Loop: Header=BB5_814 Depth=2
	s_and_saveexec_b64 s[22:23], s[52:53]
	s_cbranch_execz .LBB5_917
.LBB5_883:                              ;   in Loop: Header=BB5_814 Depth=2
	v_ashrrev_i32_e32 v6, 31, v19
	v_lshrrev_b32_e32 v6, 23, v6
	v_add_u32_e32 v6, v19, v6
	v_ashrrev_i32_e32 v31, 9, v6
	v_sub_u32_e32 v21, v31, v8
	v_ashrrev_i32_e32 v6, 31, v20
	v_cmp_lt_i32_e32 vcc, 0, v21
	v_lshrrev_b32_e32 v30, 26, v6
	s_and_saveexec_b64 s[50:51], vcc
	s_cbranch_execz .LBB5_887
; %bb.884:                              ;   in Loop: Header=BB5_814 Depth=2
	s_trap 2
	ds_read_b64 v[6:7], v0
	v_add_u32_e32 v9, v20, v30
	v_and_b32_e32 v9, 0xffffffc0, v9
	v_sub_u32_e32 v9, v20, v9
	v_lshlrev_b32_e32 v8, 9, v8
	v_add3_u32 v8, v18, v9, v8
	v_ashrrev_i32_e32 v9, 31, v8
	s_mov_b64 s[52:53], 0
	s_waitcnt lgkmcnt(0)
	v_mov_b64_e32 v[10:11], v[6:7]
.LBB5_885:                              ;   Parent Loop BB5_81 Depth=1
                                        ;     Parent Loop BB5_814 Depth=2
                                        ; =>    This Inner Loop Header: Depth=3
	v_lshl_add_u64 v[28:29], v[8:9], 0, v[10:11]
	flat_load_ubyte v32, v[28:29] nt
	flat_load_ubyte v33, v[28:29] offset:64 nt
	flat_load_ubyte v34, v[28:29] offset:128 nt
	;; [unrolled: 1-line block ×7, first 2 shown]
	v_sub_u32_e32 v21, v21, v48
	v_cmp_gt_i32_e32 vcc, 1, v21
	v_lshl_add_u64 v[28:29], v[8:9], 0, v[6:7]
	v_lshl_add_u64 v[10:11], v[10:11], 0, v[56:57]
	;; [unrolled: 1-line block ×3, first 2 shown]
	s_or_b64 s[52:53], vcc, s[52:53]
	s_waitcnt vmcnt(0) lgkmcnt(0)
	flat_store_byte v[28:29], v32 nt
	flat_store_byte v[28:29], v33 offset:64 nt
	flat_store_byte v[28:29], v34 offset:128 nt
	;; [unrolled: 1-line block ×7, first 2 shown]
	s_andn2_b64 exec, exec, s[52:53]
	s_cbranch_execnz .LBB5_885
; %bb.886:                              ;   in Loop: Header=BB5_814 Depth=2
	s_or_b64 exec, exec, s[52:53]
	v_accvgpr_read_b32 v35, a7
	v_accvgpr_read_b32 v34, a30
.LBB5_887:                              ;   in Loop: Header=BB5_814 Depth=2
	s_or_b64 exec, exec, s[50:51]
	v_lshlrev_b32_e32 v6, 9, v31
	v_cmp_ne_u32_e32 vcc, v19, v6
	s_and_saveexec_b64 s[50:51], vcc
	s_cbranch_execz .LBB5_891
; %bb.888:                              ;   in Loop: Header=BB5_814 Depth=2
	v_add_u32_e32 v7, v20, v30
	v_and_b32_e32 v7, 0xffffffc0, v7
	v_sub_u32_e32 v7, v20, v7
	v_lshlrev_b32_e32 v8, 6, v21
	v_sub_u32_e32 v7, v7, v8
	v_add_u32_e32 v8, v6, v7
	v_sub_u32_e32 v10, v19, v8
	v_cmp_lt_i32_e32 vcc, 0, v10
	s_and_b64 exec, exec, vcc
	s_cbranch_execz .LBB5_891
; %bb.889:                              ;   in Loop: Header=BB5_814 Depth=2
	s_trap 2
	ds_read_b64 v[6:7], v0
	v_add_u32_e32 v8, v8, v18
	v_ashrrev_i32_e32 v9, 31, v8
	s_mov_b64 s[52:53], 0
.LBB5_890:                              ;   Parent Loop BB5_81 Depth=1
                                        ;     Parent Loop BB5_814 Depth=2
                                        ; =>    This Inner Loop Header: Depth=3
	s_waitcnt lgkmcnt(0)
	v_lshl_add_u64 v[18:19], v[6:7], 0, v[8:9]
	flat_load_ubyte v11, v[18:19] nt
	v_sub_u32_e32 v10, v10, v24
	v_cmp_gt_i32_e32 vcc, 1, v10
	v_lshl_add_u64 v[8:9], v[8:9], 0, v[58:59]
	s_or_b64 s[52:53], vcc, s[52:53]
	s_waitcnt vmcnt(0) lgkmcnt(0)
	flat_store_byte v[18:19], v11 nt
	s_andn2_b64 exec, exec, s[52:53]
	s_cbranch_execnz .LBB5_890
.LBB5_891:                              ;   in Loop: Header=BB5_814 Depth=2
	s_or_b64 exec, exec, s[50:51]
	s_or_b64 exec, exec, s[22:23]
	s_and_saveexec_b64 s[22:23], s[4:5]
	s_cbranch_execz .LBB5_918
	s_branch .LBB5_893
.LBB5_892:                              ;   in Loop: Header=BB5_814 Depth=2
	s_and_saveexec_b64 s[22:23], s[4:5]
	s_cbranch_execz .LBB5_918
.LBB5_893:                              ;   in Loop: Header=BB5_814 Depth=2
	s_and_saveexec_b64 vcc, s[40:41]
	s_xor_b64 s[50:51], exec, vcc
	s_cbranch_execz .LBB5_926
; %bb.894:                              ;   in Loop: Header=BB5_814 Depth=2
	s_and_saveexec_b64 s[52:53], s[12:13]
	s_cbranch_execz .LBB5_925
; %bb.895:                              ;   in Loop: Header=BB5_814 Depth=2
	s_mov_b64 s[56:57], exec
	v_mbcnt_lo_u32_b32 v6, s56, 0
	v_mbcnt_hi_u32_b32 v6, s57, v6
	v_cmp_eq_u32_e32 vcc, 0, v6
	s_waitcnt lgkmcnt(0)
	s_and_saveexec_b64 s[54:55], vcc
	s_cbranch_execz .LBB5_897
; %bb.896:                              ;   in Loop: Header=BB5_814 Depth=2
	s_bcnt1_i32_b64 vcc_lo, s[56:57]
	v_mov_b32_e32 v38, vcc_lo
	ds_add_u64 v0, v[38:39]
	s_trap 2
.LBB5_897:                              ;   in Loop: Header=BB5_814 Depth=2
	s_or_b64 exec, exec, s[54:55]
	s_trap 2
	ds_read_b64 v[6:7], v0
	v_lshl_add_u64 v[14:15], v[14:15], 0, v[48:49]
	s_waitcnt lgkmcnt(0)
	v_cmp_lt_u64_e32 vcc, v[6:7], v[14:15]
	s_and_saveexec_b64 s[54:55], vcc
	s_cbranch_execz .LBB5_924
; %bb.898:                              ;   in Loop: Header=BB5_814 Depth=2
	s_mov_b32 s67, 0
	s_mov_b64 s[56:57], 0
                                        ; implicit-def: $sgpr58_sgpr59
                                        ; implicit-def: $sgpr60_sgpr61
	s_branch .LBB5_900
.LBB5_899:                              ;   in Loop: Header=BB5_900 Depth=3
	s_or_b64 exec, exec, s[64:65]
	s_and_b64 vcc, exec, vcc
	s_or_b64 s[56:57], vcc, s[56:57]
	s_andn2_b64 vcc, s[58:59], exec
	s_and_b64 s[58:59], s[60:61], exec
	s_or_b64 s[58:59], vcc, s[58:59]
	s_andn2_b64 exec, exec, s[56:57]
	s_cbranch_execz .LBB5_922
.LBB5_900:                              ;   Parent Loop BB5_81 Depth=1
                                        ;     Parent Loop BB5_814 Depth=2
                                        ; =>    This Inner Loop Header: Depth=3
	s_add_i32 s67, s67, 1
	s_cmpk_lg_i32 s67, 0x2710
	s_cselect_b64 s[62:63], -1, 0
	s_and_b64 vcc, exec, s[62:63]
                                        ; implicit-def: $sgpr64_sgpr65
	s_cbranch_vccnz .LBB5_902
; %bb.901:                              ;   in Loop: Header=BB5_900 Depth=3
	s_trap 2
	ds_read_b64 v[6:7], v0
	s_andn2_b64 s[62:63], s[62:63], exec
	s_mov_b32 s67, 0
	s_mov_b64 s[64:65], -1
	s_waitcnt vmcnt(0) lgkmcnt(0)
	flat_load_dword v6, v[6:7] sc0 sc1
	s_waitcnt vmcnt(0) lgkmcnt(0)
	buffer_inv sc0 sc1
	v_cmp_eq_u32_e32 vcc, 0, v6
	s_and_b64 vcc, vcc, exec
	s_or_b64 s[62:63], s[62:63], vcc
.LBB5_902:                              ;   in Loop: Header=BB5_900 Depth=3
	s_andn2_b64 s[60:61], s[60:61], exec
	s_and_b64 s[64:65], s[64:65], exec
	s_mov_b64 vcc, -1
	s_or_b64 s[60:61], s[60:61], s[64:65]
	s_and_saveexec_b64 s[64:65], s[62:63]
	s_cbranch_execz .LBB5_899
; %bb.903:                              ;   in Loop: Header=BB5_900 Depth=3
	s_sleep 1
	s_trap 2
	ds_read_b64 v[6:7], v0
	s_andn2_b64 s[60:61], s[60:61], exec
	s_waitcnt lgkmcnt(0)
	v_cmp_ge_u64_e32 vcc, v[6:7], v[14:15]
	s_orn2_b64 vcc, vcc, exec
	s_branch .LBB5_899
.LBB5_904:                              ;   in Loop: Header=BB5_814 Depth=2
	v_ashrrev_i32_e32 v6, 31, v3
	v_lshrrev_b32_e32 v6, 21, v6
	v_add_u32_e32 v6, v3, v6
	v_ashrrev_i32_e32 v10, 11, v6
	v_sub_u32_e32 v11, v10, v34
	v_cmp_lt_i32_e32 vcc, 0, v11
	s_and_saveexec_b64 s[22:23], vcc
	s_cbranch_execz .LBB5_908
; %bb.905:                              ;   in Loop: Header=BB5_814 Depth=2
	s_trap 2
	ds_read_b64 v[6:7], v0
	v_accvgpr_read_b32 v8, a34
	s_mov_b64 s[50:51], 0
	v_accvgpr_read_b32 v9, a35
.LBB5_906:                              ;   Parent Loop BB5_81 Depth=1
                                        ;     Parent Loop BB5_814 Depth=2
                                        ; =>    This Inner Loop Header: Depth=3
	s_waitcnt lgkmcnt(0)
	v_lshl_add_u64 v[32:33], v[6:7], 0, v[8:9]
	global_load_dwordx4 v[18:21], v[32:33], off nt
	global_load_dwordx4 v[28:31], v[32:33], off offset:1024 nt
	v_sub_u32_e32 v11, v11, v48
	v_cmp_gt_i32_e32 vcc, 1, v11
	v_lshl_add_u64 v[8:9], v[8:9], 0, v[60:61]
	s_or_b64 s[50:51], vcc, s[50:51]
	s_waitcnt vmcnt(0)
	global_store_dwordx4 v[32:33], v[18:21], off nt
	s_waitcnt vmcnt(1)
	global_store_dwordx4 v[32:33], v[28:31], off offset:1024 nt
	s_andn2_b64 exec, exec, s[50:51]
	s_cbranch_execnz .LBB5_906
; %bb.907:                              ;   in Loop: Header=BB5_814 Depth=2
	s_or_b64 exec, exec, s[50:51]
.LBB5_908:                              ;   in Loop: Header=BB5_814 Depth=2
	s_or_b64 exec, exec, s[22:23]
	v_lshlrev_b32_e32 v10, 11, v10
	v_cmp_ne_u32_e32 vcc, v3, v10
	s_mov_b64 s[52:53], 0
	v_mov_b32_e32 v18, 0
                                        ; implicit-def: $vgpr19
                                        ; implicit-def: $vgpr20
                                        ; implicit-def: $vgpr8
	s_and_saveexec_b64 s[50:51], vcc
	s_cbranch_execz .LBB5_916
; %bb.909:                              ;   in Loop: Header=BB5_814 Depth=2
	v_lshlrev_b32_e32 v7, 6, v11
	v_accvgpr_read_b32 v8, a31
	v_sub_u32_e32 v7, v8, v7
	v_ashrrev_i32_e32 v8, 31, v7
	v_lshrrev_b32_e32 v8, 26, v8
	v_add_u32_e32 v8, v7, v8
	v_ashrrev_i32_e32 v9, 6, v8
	v_and_b32_e32 v8, 0xffffffc0, v8
	v_sub_u32_e32 v11, v7, v8
	v_sub_u32_e32 v6, v3, v10
	v_lshlrev_b32_e32 v7, 4, v11
	v_lshl_add_u32 v8, v9, 10, v7
	v_ashrrev_i32_e32 v7, 31, v6
	v_lshrrev_b32_e32 v7, 22, v7
	v_add_u32_e32 v7, v6, v7
	v_and_b32_e32 v21, 0xfffffc00, v7
	v_sub_u32_e32 v31, v6, v21
	v_ashrrev_i32_e32 v19, 10, v7
	v_cmp_lt_i32_e32 vcc, 15, v31
	v_sub_u32_e32 v18, v6, v8
	s_nop 0
	v_addc_co_u32_e64 v6, s[22:23], 0, v19, vcc
	v_sub_u32_e32 v30, v6, v9
	v_cmp_lt_i32_e64 s[22:23], 15, v18
	s_and_saveexec_b64 s[52:53], s[22:23]
	s_cbranch_execz .LBB5_913
; %bb.910:                              ;   in Loop: Header=BB5_814 Depth=2
	s_trap 2
	ds_read_b64 v[6:7], v0
	v_add_u32_e32 v8, v8, v10
	v_ashrrev_i32_e32 v9, 31, v8
	s_mov_b64 s[54:55], 0
.LBB5_911:                              ;   Parent Loop BB5_81 Depth=1
                                        ;     Parent Loop BB5_814 Depth=2
                                        ; =>    This Inner Loop Header: Depth=3
	s_waitcnt lgkmcnt(0)
	v_lshl_add_u64 v[28:29], v[6:7], 0, v[8:9]
	global_load_dwordx4 v[32:35], v[28:29], off nt
	v_sub_u32_e32 v18, v18, v16
	v_cmp_gt_i32_e64 s[22:23], 16, v18
	v_sub_u32_e32 v30, v30, v48
	v_lshl_add_u64 v[8:9], v[8:9], 0, v[22:23]
	s_or_b64 s[54:55], s[22:23], s[54:55]
	s_waitcnt vmcnt(0)
	global_store_dwordx4 v[28:29], v[32:35], off nt
	s_andn2_b64 exec, exec, s[54:55]
	s_cbranch_execnz .LBB5_911
; %bb.912:                              ;   in Loop: Header=BB5_814 Depth=2
	s_or_b64 exec, exec, s[54:55]
	v_accvgpr_read_b32 v35, a7
	v_accvgpr_read_b32 v34, a30
.LBB5_913:                              ;   in Loop: Header=BB5_814 Depth=2
	s_or_b64 exec, exec, s[52:53]
	v_and_b32_e32 v6, 15, v3
	v_cndmask_b32_e32 v19, v31, v6, vcc
	v_cmp_ne_u32_e64 s[22:23], 0, v19
	s_mov_b64 s[52:53], 0
	v_mov_b32_e32 v18, 0
                                        ; implicit-def: $vgpr20
                                        ; implicit-def: $vgpr8
	s_and_saveexec_b64 s[54:55], s[22:23]
	s_cbranch_execz .LBB5_915
; %bb.914:                              ;   in Loop: Header=BB5_814 Depth=2
	v_sub_u32_e32 v6, v31, v6
	v_cndmask_b32_e32 v6, 0, v6, vcc
	v_cmp_lt_i32_e32 vcc, 0, v30
	v_add3_u32 v18, v21, v10, v6
	s_mov_b64 s[52:53], exec
	v_cndmask_b32_e32 v6, 0, v48, vcc
	v_sub_u32_e32 v6, v6, v30
	v_lshl_add_u32 v20, v6, 6, v11
	v_ashrrev_i32_e32 v6, 31, v20
	v_lshrrev_b32_e32 v6, 26, v6
	v_add_u32_e32 v6, v20, v6
	v_ashrrev_i32_e32 v8, 6, v6
.LBB5_915:                              ;   in Loop: Header=BB5_814 Depth=2
	s_or_b64 exec, exec, s[54:55]
	s_and_b64 s[52:53], s[52:53], exec
.LBB5_916:                              ;   in Loop: Header=BB5_814 Depth=2
	s_or_b64 exec, exec, s[50:51]
	s_and_saveexec_b64 s[22:23], s[52:53]
	s_cbranch_execnz .LBB5_883
.LBB5_917:                              ;   in Loop: Header=BB5_814 Depth=2
	s_or_b64 exec, exec, s[22:23]
	s_and_saveexec_b64 s[22:23], s[4:5]
	s_cbranch_execnz .LBB5_893
.LBB5_918:                              ;   in Loop: Header=BB5_814 Depth=2
	s_or_b64 exec, exec, s[22:23]
	s_and_saveexec_b64 s[22:23], s[20:21]
	s_xor_b64 s[50:51], exec, s[22:23]
	s_cbranch_execz .LBB5_929
.LBB5_919:                              ;   in Loop: Header=BB5_814 Depth=2
	v_cmp_lt_i32_e32 vcc, 0, v3
	v_and_b32_e32 v3, 16, v62
	v_cmp_ne_u32_e64 s[22:23], 0, v3
	s_and_b64 vcc, s[22:23], vcc
	s_and_saveexec_b64 s[22:23], vcc
	s_cbranch_execz .LBB5_921
; %bb.920:                              ;   in Loop: Header=BB5_814 Depth=2
	buffer_wbl2 sc1
	s_waitcnt vmcnt(0) lgkmcnt(0)
	buffer_inv sc1
.LBB5_921:                              ;   in Loop: Header=BB5_814 Depth=2
	s_or_b64 exec, exec, s[22:23]
	s_andn2_saveexec_b64 s[22:23], s[50:51]
	s_cbranch_execz .LBB5_948
	s_branch .LBB5_930
.LBB5_922:                              ;   in Loop: Header=BB5_814 Depth=2
	s_or_b64 exec, exec, s[56:57]
	s_and_saveexec_b64 vcc, s[58:59]
	s_xor_b64 vcc, exec, vcc
	s_cbranch_execz .LBB5_924
; %bb.923:                              ;   in Loop: Header=BB5_814 Depth=2
	ds_write_b32 v0, v25
	s_trap 2
.LBB5_924:                              ;   in Loop: Header=BB5_814 Depth=2
	s_or_b64 exec, exec, s[54:55]
	;;#ASMSTART
	s_wakeup
	;;#ASMEND
.LBB5_925:                              ;   in Loop: Header=BB5_814 Depth=2
	s_or_b64 exec, exec, s[52:53]
.LBB5_926:                              ;   in Loop: Header=BB5_814 Depth=2
	s_andn2_saveexec_b64 vcc, s[50:51]
	s_cbranch_execz .LBB5_928
; %bb.927:                              ;   in Loop: Header=BB5_814 Depth=2
	s_waitcnt lgkmcnt(0)
	s_barrier
.LBB5_928:                              ;   in Loop: Header=BB5_814 Depth=2
	s_or_b64 exec, exec, vcc
	s_or_b64 exec, exec, s[22:23]
	s_and_saveexec_b64 s[22:23], s[20:21]
	s_xor_b64 s[50:51], exec, s[22:23]
	s_cbranch_execnz .LBB5_919
.LBB5_929:                              ;   in Loop: Header=BB5_814 Depth=2
	s_andn2_saveexec_b64 s[22:23], s[50:51]
	s_cbranch_execz .LBB5_948
.LBB5_930:                              ;   in Loop: Header=BB5_814 Depth=2
	s_and_saveexec_b64 vcc, s[40:41]
	s_xor_b64 s[50:51], exec, vcc
	s_cbranch_execz .LBB5_945
; %bb.931:                              ;   in Loop: Header=BB5_814 Depth=2
	s_and_saveexec_b64 s[52:53], s[12:13]
	s_cbranch_execz .LBB5_944
; %bb.932:                              ;   in Loop: Header=BB5_814 Depth=2
	s_mov_b64 s[56:57], exec
	v_mbcnt_lo_u32_b32 v3, s56, 0
	v_mbcnt_hi_u32_b32 v3, s57, v3
	v_cmp_eq_u32_e32 vcc, 0, v3
	;;#ASMSTART
	s_waitcnt lgkmcnt(0) vmcnt(0)
	;;#ASMEND
	s_and_saveexec_b64 s[54:55], vcc
	s_cbranch_execz .LBB5_934
; %bb.933:                              ;   in Loop: Header=BB5_814 Depth=2
	s_bcnt1_i32_b64 vcc_lo, s[56:57]
	v_mov_b32_e32 v38, vcc_lo
	ds_add_u64 v0, v[38:39]
	s_trap 2
.LBB5_934:                              ;   in Loop: Header=BB5_814 Depth=2
	s_or_b64 exec, exec, s[54:55]
	s_trap 2
	ds_read_b64 v[6:7], v0
	v_lshl_add_u64 v[14:15], v[14:15], 0, v[48:49]
	s_waitcnt lgkmcnt(0)
	v_cmp_lt_u64_e32 vcc, v[6:7], v[14:15]
	s_and_saveexec_b64 s[54:55], vcc
	s_cbranch_execz .LBB5_943
; %bb.935:                              ;   in Loop: Header=BB5_814 Depth=2
	s_mov_b32 s67, 0
	s_mov_b64 s[56:57], 0
                                        ; implicit-def: $sgpr58_sgpr59
                                        ; implicit-def: $sgpr60_sgpr61
	s_branch .LBB5_937
.LBB5_936:                              ;   in Loop: Header=BB5_937 Depth=3
	s_or_b64 exec, exec, s[64:65]
	s_and_b64 vcc, exec, vcc
	s_or_b64 s[56:57], vcc, s[56:57]
	s_andn2_b64 vcc, s[58:59], exec
	s_and_b64 s[58:59], s[60:61], exec
	s_or_b64 s[58:59], vcc, s[58:59]
	s_andn2_b64 exec, exec, s[56:57]
	s_cbranch_execz .LBB5_941
.LBB5_937:                              ;   Parent Loop BB5_81 Depth=1
                                        ;     Parent Loop BB5_814 Depth=2
                                        ; =>    This Inner Loop Header: Depth=3
	s_add_i32 s67, s67, 1
	s_cmpk_lg_i32 s67, 0x2710
	s_cselect_b64 s[62:63], -1, 0
	s_and_b64 vcc, exec, s[62:63]
                                        ; implicit-def: $sgpr64_sgpr65
	s_cbranch_vccnz .LBB5_939
; %bb.938:                              ;   in Loop: Header=BB5_937 Depth=3
	s_trap 2
	ds_read_b64 v[6:7], v0
	s_andn2_b64 s[62:63], s[62:63], exec
	s_mov_b32 s67, 0
	s_mov_b64 s[64:65], -1
	s_waitcnt vmcnt(0) lgkmcnt(0)
	flat_load_dword v3, v[6:7] sc0 sc1
	s_waitcnt vmcnt(0) lgkmcnt(0)
	buffer_inv sc0 sc1
	v_cmp_eq_u32_e32 vcc, 0, v3
	s_and_b64 vcc, vcc, exec
	s_or_b64 s[62:63], s[62:63], vcc
.LBB5_939:                              ;   in Loop: Header=BB5_937 Depth=3
	s_andn2_b64 s[60:61], s[60:61], exec
	s_and_b64 s[64:65], s[64:65], exec
	s_mov_b64 vcc, -1
	s_or_b64 s[60:61], s[60:61], s[64:65]
	s_and_saveexec_b64 s[64:65], s[62:63]
	s_cbranch_execz .LBB5_936
; %bb.940:                              ;   in Loop: Header=BB5_937 Depth=3
	s_sleep 1
	s_trap 2
	ds_read_b64 v[6:7], v0
	s_andn2_b64 s[60:61], s[60:61], exec
	s_waitcnt lgkmcnt(0)
	v_cmp_ge_u64_e32 vcc, v[6:7], v[14:15]
	s_orn2_b64 vcc, vcc, exec
	s_branch .LBB5_936
.LBB5_941:                              ;   in Loop: Header=BB5_814 Depth=2
	s_or_b64 exec, exec, s[56:57]
	s_and_saveexec_b64 vcc, s[58:59]
	s_xor_b64 vcc, exec, vcc
	s_cbranch_execz .LBB5_943
; %bb.942:                              ;   in Loop: Header=BB5_814 Depth=2
	ds_write_b32 v0, v25
	s_trap 2
.LBB5_943:                              ;   in Loop: Header=BB5_814 Depth=2
	s_or_b64 exec, exec, s[54:55]
	;;#ASMSTART
	s_wakeup
	;;#ASMEND
.LBB5_944:                              ;   in Loop: Header=BB5_814 Depth=2
	s_or_b64 exec, exec, s[52:53]
.LBB5_945:                              ;   in Loop: Header=BB5_814 Depth=2
	s_andn2_saveexec_b64 vcc, s[50:51]
	s_cbranch_execz .LBB5_947
; %bb.946:                              ;   in Loop: Header=BB5_814 Depth=2
	;;#ASMSTART
	s_waitcnt lgkmcnt(0) vmcnt(0)
	;;#ASMEND
	s_barrier
.LBB5_947:                              ;   in Loop: Header=BB5_814 Depth=2
	s_or_b64 exec, exec, vcc
.LBB5_948:                              ;   in Loop: Header=BB5_814 Depth=2
	s_or_b64 exec, exec, s[22:23]
	v_and_b32_e32 v3, 32, v62
	v_cmp_ne_u32_e32 vcc, 0, v3
	s_and_saveexec_b64 s[22:23], vcc
	s_cbranch_execz .LBB5_813
; %bb.949:                              ;   in Loop: Header=BB5_814 Depth=2
	v_lshl_add_u64 v[50:51], v[50:51], 0, 2
	flat_store_dwordx2 v[26:27], v[50:51] sc0 sc1
	s_branch .LBB5_813
.LBB5_950:                              ;   in Loop: Header=BB5_81 Depth=1
	s_or_b64 exec, exec, s[26:27]
	s_or_b64 exec, exec, s[24:25]
	v_cmp_gt_i32_e32 vcc, 2, v3
	s_and_saveexec_b64 s[24:25], vcc
	s_cbranch_execz .LBB5_80
.LBB5_951:                              ;   in Loop: Header=BB5_81 Depth=1
	v_cmp_eq_u32_e64 s[22:23], 0, v3
	s_mov_b64 s[26:27], 0
	s_branch .LBB5_953
.LBB5_952:                              ;   in Loop: Header=BB5_953 Depth=2
	s_or_b64 exec, exec, s[22:23]
	v_add_u32_e32 v2, v17, v2
	s_mov_b64 s[22:23], 0
	s_andn2_b64 exec, exec, s[26:27]
	s_cbranch_execz .LBB5_79
.LBB5_953:                              ;   Parent Loop BB5_81 Depth=1
                                        ; =>  This Loop Header: Depth=2
                                        ;       Child Loop BB5_959 Depth 3
                                        ;       Child Loop BB5_983 Depth 3
	;; [unrolled: 1-line block ×3, first 2 shown]
	v_and_b32_e32 v3, 4, v62
	s_mov_b64 s[50:51], -1
	v_cmp_ne_u32_e32 vcc, 0, v3
	s_and_saveexec_b64 s[28:29], vcc
	s_cbranch_execz .LBB5_965
; %bb.954:                              ;   in Loop: Header=BB5_953 Depth=2
	v_lshl_add_u64 v[4:5], v[50:51], 0, 2
	v_cmp_lt_u64_e32 vcc, v[36:37], v[4:5]
	v_mov_b32_e32 v3, 1
	s_and_saveexec_b64 s[50:51], vcc
	s_cbranch_execz .LBB5_964
; %bb.955:                              ;   in Loop: Header=BB5_953 Depth=2
	s_mov_b64 s[52:53], 0
	v_mov_b32_e32 v3, 0
                                        ; implicit-def: $sgpr54_sgpr55
	s_branch .LBB5_959
.LBB5_956:                              ;   in Loop: Header=BB5_959 Depth=3
	s_or_b64 exec, exec, s[62:63]
	v_mov_b32_e32 v6, 0
	s_orn2_b64 s[60:61], s[60:61], exec
.LBB5_957:                              ;   in Loop: Header=BB5_959 Depth=3
	s_or_b64 exec, exec, s[58:59]
	s_andn2_b64 vcc, s[54:55], exec
	s_and_b64 s[54:55], s[60:61], exec
	s_or_b64 s[54:55], vcc, s[54:55]
	v_mov_b32_e32 v3, v6
.LBB5_958:                              ;   in Loop: Header=BB5_959 Depth=3
	s_or_b64 exec, exec, s[56:57]
	s_waitcnt vmcnt(0) lgkmcnt(0)
	v_cmp_ge_u64_e32 vcc, v[36:37], v[4:5]
	s_xor_b64 s[56:57], s[54:55], -1
	s_or_b64 vcc, s[56:57], vcc
	s_and_b64 vcc, exec, vcc
	s_or_b64 s[52:53], vcc, s[52:53]
	s_andn2_b64 exec, exec, s[52:53]
	s_cbranch_execz .LBB5_963
.LBB5_959:                              ;   Parent Loop BB5_81 Depth=1
                                        ;     Parent Loop BB5_953 Depth=2
                                        ; =>    This Inner Loop Header: Depth=3
	s_sleep 1
	flat_load_dwordx2 v[36:37], v[26:27] sc0 sc1
	v_and_b32_e32 v6, 64, v62
	v_cmp_eq_u32_e32 vcc, 0, v6
	s_andn2_b64 s[54:55], s[54:55], exec
	s_and_saveexec_b64 s[56:57], vcc
	s_cbranch_execz .LBB5_958
; %bb.960:                              ;   in Loop: Header=BB5_959 Depth=3
	v_add_u32_e32 v6, 1, v3
	v_cmp_lt_i32_e32 vcc, s72, v3
	s_mov_b64 s[60:61], -1
	s_and_saveexec_b64 s[58:59], vcc
	s_cbranch_execz .LBB5_957
; %bb.961:                              ;   in Loop: Header=BB5_959 Depth=3
	s_trap 2
	ds_read_b64 v[6:7], v0
	s_waitcnt vmcnt(0) lgkmcnt(0)
	flat_load_dword v3, v[6:7] sc0 sc1
	s_waitcnt vmcnt(0) lgkmcnt(0)
	buffer_inv sc0 sc1
	v_cmp_ne_u32_e32 vcc, 0, v3
	s_and_saveexec_b64 s[62:63], vcc
	s_cbranch_execz .LBB5_956
; %bb.962:                              ;   in Loop: Header=BB5_959 Depth=3
	v_or_b32_e32 v62, 64, v62
	s_xor_b64 s[60:61], exec, -1
	ds_write_b32 v0, v3
	s_trap 2
	s_branch .LBB5_956
.LBB5_963:                              ;   in Loop: Header=BB5_953 Depth=2
	s_or_b64 exec, exec, s[52:53]
	v_and_b32_e32 v3, 4, v62
.LBB5_964:                              ;   in Loop: Header=BB5_953 Depth=2
	s_or_b64 exec, exec, s[50:51]
	v_cmp_eq_u32_e32 vcc, 0, v3
	s_orn2_b64 s[50:51], vcc, exec
	;;#ASMSTART
	s_wakeup
	;;#ASMEND
.LBB5_965:                              ;   in Loop: Header=BB5_953 Depth=2
	s_or_b64 exec, exec, s[28:29]
	s_xor_b64 s[22:23], s[22:23], -1
	s_and_b64 s[22:23], exec, s[22:23]
	s_or_b64 s[26:27], s[22:23], s[26:27]
	s_xor_b64 s[22:23], s[50:51], -1
	s_and_saveexec_b64 s[28:29], s[22:23]
	s_cbranch_execz .LBB5_975
; %bb.966:                              ;   in Loop: Header=BB5_953 Depth=2
	v_and_b32_e32 v3, 0x100, v62
	v_cmp_ne_u32_e32 vcc, 0, v3
	v_and_b32_e32 v3, 7, v50
	s_mov_b64 s[22:23], -1
                                        ; implicit-def: $vgpr4_vgpr5
	s_and_saveexec_b64 s[50:51], vcc
	s_cbranch_execz .LBB5_970
; %bb.967:                              ;   in Loop: Header=BB5_953 Depth=2
	v_accvgpr_read_b32 v4, a20
	v_accvgpr_read_b32 v5, a21
	v_mad_u64_u32 v[6:7], s[22:23], v3, 24, v[4:5]
	flat_load_dword v4, v[6:7]
	s_waitcnt vmcnt(0) lgkmcnt(0)
	v_cmp_ne_u32_e32 vcc, 1, v4
	v_cmp_eq_u32_e64 s[22:23], 1, v4
                                        ; implicit-def: $vgpr4_vgpr5
	s_and_saveexec_b64 s[52:53], s[22:23]
	s_cbranch_execz .LBB5_969
; %bb.968:                              ;   in Loop: Header=BB5_953 Depth=2
	flat_load_dword v4, v[6:7] offset:4 sc0 sc1
	s_waitcnt vmcnt(0) lgkmcnt(0)
	v_ashrrev_i32_e32 v5, 31, v4
.LBB5_969:                              ;   in Loop: Header=BB5_953 Depth=2
	s_or_b64 exec, exec, s[52:53]
	s_orn2_b64 s[22:23], vcc, exec
.LBB5_970:                              ;   in Loop: Header=BB5_953 Depth=2
	s_or_b64 exec, exec, s[50:51]
	s_and_saveexec_b64 vcc, s[22:23]
; %bb.971:                              ;   in Loop: Header=BB5_953 Depth=2
	v_mad_i64_i32 v[4:5], s[22:23], v3, v52, 0
; %bb.972:                              ;   in Loop: Header=BB5_953 Depth=2
	s_or_b64 exec, exec, vcc
	v_and_b32_e32 v3, 0x2000, v62
	v_lshl_add_u64 v[4:5], v[12:13], 0, v[4:5]
	v_cmp_ne_u32_e32 vcc, 0, v3
	ds_write_b64 v0, v[4:5] offset:720
	s_and_saveexec_b64 s[22:23], vcc
	s_cbranch_execz .LBB5_974
; %bb.973:                              ;   in Loop: Header=BB5_953 Depth=2
	ds_read_b64 v[4:5], v0 offset:584
	s_waitcnt lgkmcnt(0)
	v_lshl_add_u64 v[4:5], v[4:5], 0, 1
	ds_write_b64 v0, v[4:5] offset:584
.LBB5_974:                              ;   in Loop: Header=BB5_953 Depth=2
	s_or_b64 exec, exec, s[22:23]
	v_lshl_add_u64 v[50:51], v[50:51], 0, 2
.LBB5_975:                              ;   in Loop: Header=BB5_953 Depth=2
	s_or_b64 exec, exec, s[28:29]
	s_and_saveexec_b64 s[22:23], s[4:5]
	s_cbranch_execz .LBB5_994
; %bb.976:                              ;   in Loop: Header=BB5_953 Depth=2
	s_and_saveexec_b64 s[28:29], s[40:41]
	s_xor_b64 s[28:29], exec, s[28:29]
	s_cbranch_execz .LBB5_991
; %bb.977:                              ;   in Loop: Header=BB5_953 Depth=2
	s_and_saveexec_b64 s[50:51], s[12:13]
	s_cbranch_execz .LBB5_990
; %bb.978:                              ;   in Loop: Header=BB5_953 Depth=2
	s_mov_b64 s[54:55], exec
	v_mbcnt_lo_u32_b32 v3, s54, 0
	v_mbcnt_hi_u32_b32 v3, s55, v3
	v_cmp_eq_u32_e32 vcc, 0, v3
	s_waitcnt lgkmcnt(0)
	s_and_saveexec_b64 s[52:53], vcc
	s_cbranch_execz .LBB5_980
; %bb.979:                              ;   in Loop: Header=BB5_953 Depth=2
	s_bcnt1_i32_b64 vcc_lo, s[54:55]
	v_mov_b32_e32 v38, vcc_lo
	ds_add_u64 v0, v[38:39]
	s_trap 2
.LBB5_980:                              ;   in Loop: Header=BB5_953 Depth=2
	s_or_b64 exec, exec, s[52:53]
	s_trap 2
	ds_read_b64 v[4:5], v0
	v_lshl_add_u64 v[14:15], v[14:15], 0, v[48:49]
	s_waitcnt lgkmcnt(0)
	v_cmp_lt_u64_e32 vcc, v[4:5], v[14:15]
	s_and_saveexec_b64 s[52:53], vcc
	s_cbranch_execz .LBB5_989
; %bb.981:                              ;   in Loop: Header=BB5_953 Depth=2
	s_mov_b32 s64, 0
	s_mov_b64 s[54:55], 0
                                        ; implicit-def: $sgpr56_sgpr57
                                        ; implicit-def: $sgpr58_sgpr59
	s_branch .LBB5_983
.LBB5_982:                              ;   in Loop: Header=BB5_983 Depth=3
	s_or_b64 exec, exec, s[62:63]
	s_and_b64 vcc, exec, vcc
	s_or_b64 s[54:55], vcc, s[54:55]
	s_andn2_b64 vcc, s[56:57], exec
	s_and_b64 s[56:57], s[58:59], exec
	s_or_b64 s[56:57], vcc, s[56:57]
	s_andn2_b64 exec, exec, s[54:55]
	s_cbranch_execz .LBB5_987
.LBB5_983:                              ;   Parent Loop BB5_81 Depth=1
                                        ;     Parent Loop BB5_953 Depth=2
                                        ; =>    This Inner Loop Header: Depth=3
	s_add_i32 s64, s64, 1
	s_cmpk_lg_i32 s64, 0x2710
	s_cselect_b64 s[60:61], -1, 0
	s_and_b64 vcc, exec, s[60:61]
                                        ; implicit-def: $sgpr62_sgpr63
	s_cbranch_vccnz .LBB5_985
; %bb.984:                              ;   in Loop: Header=BB5_983 Depth=3
	s_trap 2
	ds_read_b64 v[4:5], v0
	s_andn2_b64 s[60:61], s[60:61], exec
	s_mov_b32 s64, 0
	s_mov_b64 s[62:63], -1
	s_waitcnt vmcnt(0) lgkmcnt(0)
	flat_load_dword v3, v[4:5] sc0 sc1
	s_waitcnt vmcnt(0) lgkmcnt(0)
	buffer_inv sc0 sc1
	v_cmp_eq_u32_e32 vcc, 0, v3
	s_and_b64 vcc, vcc, exec
	s_or_b64 s[60:61], s[60:61], vcc
.LBB5_985:                              ;   in Loop: Header=BB5_983 Depth=3
	s_andn2_b64 s[58:59], s[58:59], exec
	s_and_b64 s[62:63], s[62:63], exec
	s_mov_b64 vcc, -1
	s_or_b64 s[58:59], s[58:59], s[62:63]
	s_and_saveexec_b64 s[62:63], s[60:61]
	s_cbranch_execz .LBB5_982
; %bb.986:                              ;   in Loop: Header=BB5_983 Depth=3
	s_sleep 1
	s_trap 2
	ds_read_b64 v[4:5], v0
	s_andn2_b64 s[58:59], s[58:59], exec
	s_waitcnt lgkmcnt(0)
	v_cmp_ge_u64_e32 vcc, v[4:5], v[14:15]
	s_orn2_b64 vcc, vcc, exec
	s_branch .LBB5_982
.LBB5_987:                              ;   in Loop: Header=BB5_953 Depth=2
	s_or_b64 exec, exec, s[54:55]
	s_and_saveexec_b64 vcc, s[56:57]
	s_xor_b64 vcc, exec, vcc
	s_cbranch_execz .LBB5_989
; %bb.988:                              ;   in Loop: Header=BB5_953 Depth=2
	ds_write_b32 v0, v25
	s_trap 2
.LBB5_989:                              ;   in Loop: Header=BB5_953 Depth=2
	s_or_b64 exec, exec, s[52:53]
	;;#ASMSTART
	s_wakeup
	;;#ASMEND
.LBB5_990:                              ;   in Loop: Header=BB5_953 Depth=2
	s_or_b64 exec, exec, s[50:51]
.LBB5_991:                              ;   in Loop: Header=BB5_953 Depth=2
	s_andn2_saveexec_b64 s[28:29], s[28:29]
	s_cbranch_execz .LBB5_993
; %bb.992:                              ;   in Loop: Header=BB5_953 Depth=2
	s_waitcnt lgkmcnt(0)
	s_barrier
.LBB5_993:                              ;   in Loop: Header=BB5_953 Depth=2
	s_or_b64 exec, exec, s[28:29]
.LBB5_994:                              ;   in Loop: Header=BB5_953 Depth=2
	s_or_b64 exec, exec, s[22:23]
	v_sub_u32_e32 v3, v54, v2
	v_min_i32_e32 v17, v17, v3
	s_and_saveexec_b64 s[22:23], s[20:21]
	s_xor_b64 s[22:23], exec, s[22:23]
	s_cbranch_execz .LBB5_998
; %bb.995:                              ;   in Loop: Header=BB5_953 Depth=2
	s_trap 2
	ds_read_b32 v3, v0
	v_cmp_lt_i32_e32 vcc, 0, v17
	v_and_b32_e32 v4, 16, v62
	s_waitcnt lgkmcnt(0)
	v_readfirstlane_b32 s28, v3
	s_cmp_eq_u32 s28, 0
	s_cselect_b64 s[28:29], -1, 0
	s_and_b64 s[28:29], vcc, s[28:29]
	v_cmp_ne_u32_e32 vcc, 0, v4
	s_and_b64 vcc, vcc, s[28:29]
	s_and_saveexec_b64 s[28:29], vcc
	s_cbranch_execz .LBB5_997
; %bb.996:                              ;   in Loop: Header=BB5_953 Depth=2
	buffer_wbl2 sc1
	s_waitcnt vmcnt(0)
	buffer_inv sc1
.LBB5_997:                              ;   in Loop: Header=BB5_953 Depth=2
	s_or_b64 exec, exec, s[28:29]
.LBB5_998:                              ;   in Loop: Header=BB5_953 Depth=2
	s_andn2_saveexec_b64 s[22:23], s[22:23]
	s_cbranch_execz .LBB5_1017
; %bb.999:                              ;   in Loop: Header=BB5_953 Depth=2
	s_and_saveexec_b64 s[28:29], s[40:41]
	s_xor_b64 s[28:29], exec, s[28:29]
	s_cbranch_execz .LBB5_1014
; %bb.1000:                             ;   in Loop: Header=BB5_953 Depth=2
	s_and_saveexec_b64 s[50:51], s[12:13]
	s_cbranch_execz .LBB5_1013
; %bb.1001:                             ;   in Loop: Header=BB5_953 Depth=2
	s_mov_b64 s[54:55], exec
	v_mbcnt_lo_u32_b32 v3, s54, 0
	v_mbcnt_hi_u32_b32 v3, s55, v3
	v_cmp_eq_u32_e32 vcc, 0, v3
	;;#ASMSTART
	s_waitcnt lgkmcnt(0) vmcnt(0)
	;;#ASMEND
	s_and_saveexec_b64 s[52:53], vcc
	s_cbranch_execz .LBB5_1003
; %bb.1002:                             ;   in Loop: Header=BB5_953 Depth=2
	s_bcnt1_i32_b64 vcc_lo, s[54:55]
	v_mov_b32_e32 v38, vcc_lo
	ds_add_u64 v0, v[38:39]
	s_trap 2
.LBB5_1003:                             ;   in Loop: Header=BB5_953 Depth=2
	s_or_b64 exec, exec, s[52:53]
	s_trap 2
	ds_read_b64 v[4:5], v0
	v_lshl_add_u64 v[14:15], v[14:15], 0, v[48:49]
	s_waitcnt lgkmcnt(0)
	v_cmp_lt_u64_e32 vcc, v[4:5], v[14:15]
	s_and_saveexec_b64 s[52:53], vcc
	s_cbranch_execz .LBB5_1012
; %bb.1004:                             ;   in Loop: Header=BB5_953 Depth=2
	s_mov_b32 s64, 0
	s_mov_b64 s[54:55], 0
                                        ; implicit-def: $sgpr56_sgpr57
                                        ; implicit-def: $sgpr58_sgpr59
	s_branch .LBB5_1006
.LBB5_1005:                             ;   in Loop: Header=BB5_1006 Depth=3
	s_or_b64 exec, exec, s[62:63]
	s_and_b64 vcc, exec, vcc
	s_or_b64 s[54:55], vcc, s[54:55]
	s_andn2_b64 vcc, s[56:57], exec
	s_and_b64 s[56:57], s[58:59], exec
	s_or_b64 s[56:57], vcc, s[56:57]
	s_andn2_b64 exec, exec, s[54:55]
	s_cbranch_execz .LBB5_1010
.LBB5_1006:                             ;   Parent Loop BB5_81 Depth=1
                                        ;     Parent Loop BB5_953 Depth=2
                                        ; =>    This Inner Loop Header: Depth=3
	s_add_i32 s64, s64, 1
	s_cmpk_lg_i32 s64, 0x2710
	s_cselect_b64 s[60:61], -1, 0
	s_and_b64 vcc, exec, s[60:61]
                                        ; implicit-def: $sgpr62_sgpr63
	s_cbranch_vccnz .LBB5_1008
; %bb.1007:                             ;   in Loop: Header=BB5_1006 Depth=3
	s_trap 2
	ds_read_b64 v[4:5], v0
	s_andn2_b64 s[60:61], s[60:61], exec
	s_mov_b32 s64, 0
	s_mov_b64 s[62:63], -1
	s_waitcnt vmcnt(0) lgkmcnt(0)
	flat_load_dword v3, v[4:5] sc0 sc1
	s_waitcnt vmcnt(0) lgkmcnt(0)
	buffer_inv sc0 sc1
	v_cmp_eq_u32_e32 vcc, 0, v3
	s_and_b64 vcc, vcc, exec
	s_or_b64 s[60:61], s[60:61], vcc
.LBB5_1008:                             ;   in Loop: Header=BB5_1006 Depth=3
	s_andn2_b64 s[58:59], s[58:59], exec
	s_and_b64 s[62:63], s[62:63], exec
	s_mov_b64 vcc, -1
	s_or_b64 s[58:59], s[58:59], s[62:63]
	s_and_saveexec_b64 s[62:63], s[60:61]
	s_cbranch_execz .LBB5_1005
; %bb.1009:                             ;   in Loop: Header=BB5_1006 Depth=3
	s_sleep 1
	s_trap 2
	ds_read_b64 v[4:5], v0
	s_andn2_b64 s[58:59], s[58:59], exec
	s_waitcnt lgkmcnt(0)
	v_cmp_ge_u64_e32 vcc, v[4:5], v[14:15]
	s_orn2_b64 vcc, vcc, exec
	s_branch .LBB5_1005
.LBB5_1010:                             ;   in Loop: Header=BB5_953 Depth=2
	s_or_b64 exec, exec, s[54:55]
	s_and_saveexec_b64 vcc, s[56:57]
	s_xor_b64 vcc, exec, vcc
	s_cbranch_execz .LBB5_1012
; %bb.1011:                             ;   in Loop: Header=BB5_953 Depth=2
	ds_write_b32 v0, v25
	s_trap 2
.LBB5_1012:                             ;   in Loop: Header=BB5_953 Depth=2
	s_or_b64 exec, exec, s[52:53]
	;;#ASMSTART
	s_wakeup
	;;#ASMEND
.LBB5_1013:                             ;   in Loop: Header=BB5_953 Depth=2
	s_or_b64 exec, exec, s[50:51]
.LBB5_1014:                             ;   in Loop: Header=BB5_953 Depth=2
	s_andn2_saveexec_b64 s[28:29], s[28:29]
	s_cbranch_execz .LBB5_1016
; %bb.1015:                             ;   in Loop: Header=BB5_953 Depth=2
	;;#ASMSTART
	s_waitcnt lgkmcnt(0) vmcnt(0)
	;;#ASMEND
	s_barrier
.LBB5_1016:                             ;   in Loop: Header=BB5_953 Depth=2
	s_or_b64 exec, exec, s[28:29]
.LBB5_1017:                             ;   in Loop: Header=BB5_953 Depth=2
	s_or_b64 exec, exec, s[22:23]
	v_and_b32_e32 v3, 32, v62
	v_cmp_ne_u32_e32 vcc, 0, v3
	s_and_saveexec_b64 s[22:23], vcc
	s_cbranch_execz .LBB5_952
; %bb.1018:                             ;   in Loop: Header=BB5_953 Depth=2
	v_lshl_add_u64 v[50:51], v[50:51], 0, 2
	flat_store_dwordx2 v[26:27], v[50:51] sc0 sc1
	s_branch .LBB5_952
.LBB5_1019:
	s_or_b64 exec, exec, s[38:39]
	v_accvgpr_read_b32 v25, a19
	v_accvgpr_read_b32 v16, a0
	;; [unrolled: 1-line block ×5, first 2 shown]
.LBB5_1020:
	s_or_b64 exec, exec, s[36:37]
	s_waitcnt vmcnt(0)
	v_and_b32_e32 v0, 0x800, v62
	v_cmp_eq_u32_e32 vcc, 0, v0
	s_and_saveexec_b64 s[0:1], vcc
	s_cbranch_execz .LBB5_1055
; %bb.1021:
	v_and_b32_e32 v0, 48, v62
	v_cmp_ne_u32_e32 vcc, 0, v0
	s_and_saveexec_b64 s[2:3], vcc
	s_cbranch_execz .LBB5_1023
; %bb.1022:
	flat_store_dwordx2 v[24:25], v[50:51] offset:104
.LBB5_1023:
	s_or_b64 exec, exec, s[2:3]
	s_movk_i32 s2, 0x88
	v_and_b32_e32 v0, 0x88, v62
	v_cmp_eq_u32_e32 vcc, s2, v0
	s_and_saveexec_b64 s[2:3], vcc
	s_cbranch_execz .LBB5_1035
; %bb.1024:
	v_add_u32_e32 v0, 6, v50
	v_accvgpr_read_b32 v2, a20
	v_and_b32_e32 v0, 7, v0
	v_accvgpr_read_b32 v3, a21
	v_mad_u64_u32 v[0:1], s[4:5], v0, 24, v[2:3]
	v_lshl_add_u64 v[2:3], v[0:1], 0, 8
	s_mov_b64 s[4:5], 0
	v_mov_b32_e32 v0, 0
	s_movk_i32 s20, 0x270e
                                        ; implicit-def: $sgpr6_sgpr7
	s_branch .LBB5_1029
.LBB5_1025:                             ;   in Loop: Header=BB5_1029 Depth=1
	s_or_b64 exec, exec, s[18:19]
	v_mov_b32_e32 v1, 0
	s_orn2_b64 s[16:17], s[16:17], exec
.LBB5_1026:                             ;   in Loop: Header=BB5_1029 Depth=1
	s_or_b64 exec, exec, s[14:15]
	s_and_b64 s[14:15], s[16:17], exec
	v_mov_b32_e32 v0, v1
.LBB5_1027:                             ;   in Loop: Header=BB5_1029 Depth=1
	s_or_b64 exec, exec, s[12:13]
	s_xor_b64 s[12:13], s[14:15], -1
	s_andn2_b64 s[6:7], s[6:7], exec
	s_and_b64 s[12:13], s[12:13], exec
	s_or_b64 s[6:7], s[6:7], s[12:13]
.LBB5_1028:                             ;   in Loop: Header=BB5_1029 Depth=1
	s_or_b64 exec, exec, s[10:11]
	s_and_b64 s[10:11], exec, s[6:7]
	s_or_b64 s[4:5], s[10:11], s[4:5]
	s_andn2_b64 exec, exec, s[4:5]
	s_cbranch_execz .LBB5_1034
.LBB5_1029:                             ; =>This Inner Loop Header: Depth=1
	flat_load_dwordx2 v[4:5], v[2:3] sc0 sc1
	s_waitcnt vmcnt(0)
	s_or_b64 s[6:7], s[6:7], exec
	s_waitcnt lgkmcnt(0)
	v_cmp_ne_u64_e32 vcc, -1, v[4:5]
	s_and_saveexec_b64 s[10:11], vcc
	s_cbranch_execz .LBB5_1028
; %bb.1030:                             ;   in Loop: Header=BB5_1029 Depth=1
	v_and_b32_e32 v1, 64, v62
	v_cmp_eq_u32_e32 vcc, 0, v1
	s_mov_b64 s[14:15], 0
	s_and_saveexec_b64 s[12:13], vcc
	s_cbranch_execz .LBB5_1027
; %bb.1031:                             ;   in Loop: Header=BB5_1029 Depth=1
	v_add_u32_e32 v1, 1, v0
	v_cmp_lt_i32_e32 vcc, s20, v0
	s_mov_b64 s[16:17], -1
	s_and_saveexec_b64 s[14:15], vcc
	s_cbranch_execz .LBB5_1026
; %bb.1032:                             ;   in Loop: Header=BB5_1029 Depth=1
	s_trap 2
	ds_read_b64 v[0:1], v0
	s_waitcnt lgkmcnt(0)
	flat_load_dword v0, v[0:1] sc0 sc1
	s_waitcnt vmcnt(0) lgkmcnt(0)
	buffer_inv sc0 sc1
	v_cmp_ne_u32_e32 vcc, 0, v0
	s_and_saveexec_b64 s[18:19], vcc
	s_cbranch_execz .LBB5_1025
; %bb.1033:                             ;   in Loop: Header=BB5_1029 Depth=1
	v_or_b32_e32 v62, 64, v62
	s_xor_b64 s[16:17], exec, -1
	ds_write_b32 v0, v0
	s_trap 2
	s_branch .LBB5_1025
.LBB5_1034:
	s_or_b64 exec, exec, s[4:5]
.LBB5_1035:
	s_or_b64 exec, exec, s[2:3]
	v_and_b32_e32 v0, 0x2000, v62
	v_cmp_ne_u32_e32 vcc, 0, v0
	s_and_saveexec_b64 s[2:3], vcc
	s_cbranch_execz .LBB5_1037
; %bb.1036:
	s_trap 2
	ds_read_b64 v[0:1], v0
	v_accvgpr_read_b32 v2, a16
	v_accvgpr_read_b32 v3, a17
	s_waitcnt lgkmcnt(0)
	flat_store_dwordx2 v[2:3], v[0:1] offset:16
.LBB5_1037:
	s_or_b64 exec, exec, s[2:3]
	v_cmp_ne_u32_e32 vcc, 64, v16
	s_and_b64 exec, exec, vcc
	s_cbranch_execz .LBB5_1055
; %bb.1038:
	v_cmp_ne_u32_sdwa s[2:3], v17, v16 src0_sel:WORD_0 src1_sel:DWORD
	s_and_saveexec_b64 s[4:5], s[2:3]
	s_xor_b64 s[2:3], exec, s[4:5]
	s_cbranch_execz .LBB5_1053
; %bb.1039:
	v_and_b32_e32 v0, 63, v31
	v_cmp_eq_u32_e32 vcc, 0, v0
	s_and_saveexec_b64 s[4:5], vcc
	s_cbranch_execz .LBB5_1052
; %bb.1040:
	s_mov_b64 s[10:11], exec
	v_mbcnt_lo_u32_b32 v0, s10, 0
	v_mbcnt_hi_u32_b32 v0, s11, v0
	v_cmp_eq_u32_e32 vcc, 0, v0
	s_waitcnt lgkmcnt(0)
	s_and_saveexec_b64 s[6:7], vcc
	s_cbranch_execz .LBB5_1042
; %bb.1041:
	s_bcnt1_i32_b64 s10, s[10:11]
	v_mov_b32_e32 v0, s10
	v_mov_b32_e32 v1, 0
	ds_add_u64 v0, v[0:1]
	s_trap 2
.LBB5_1042:
	s_or_b64 exec, exec, s[6:7]
	v_ashrrev_i32_e32 v0, 31, v16
	v_lshrrev_b32_e32 v0, 26, v0
	s_trap 2
	ds_read_b64 v[2:3], v0
	v_add_u32_e32 v0, v16, v0
	v_ashrrev_i32_e32 v0, 6, v0
	v_ashrrev_i32_e32 v1, 31, v0
	v_lshl_add_u64 v[0:1], v[14:15], 0, v[0:1]
	s_waitcnt lgkmcnt(0)
	v_cmp_lt_u64_e32 vcc, v[2:3], v[0:1]
	s_and_saveexec_b64 s[6:7], vcc
	s_cbranch_execz .LBB5_1051
; %bb.1043:
	s_mov_b32 s22, 0
	s_mov_b64 s[10:11], 0
                                        ; implicit-def: $sgpr12_sgpr13
                                        ; implicit-def: $sgpr14_sgpr15
	s_branch .LBB5_1045
.LBB5_1044:                             ;   in Loop: Header=BB5_1045 Depth=1
	s_or_b64 exec, exec, s[20:21]
	s_and_b64 s[16:17], exec, s[18:19]
	s_or_b64 s[10:11], s[16:17], s[10:11]
	s_andn2_b64 s[12:13], s[12:13], exec
	s_and_b64 s[16:17], s[14:15], exec
	s_or_b64 s[12:13], s[12:13], s[16:17]
	s_andn2_b64 exec, exec, s[10:11]
	s_cbranch_execz .LBB5_1049
.LBB5_1045:                             ; =>This Inner Loop Header: Depth=1
	s_add_i32 s22, s22, 1
	s_cmpk_lg_i32 s22, 0x2710
	s_cselect_b64 s[16:17], -1, 0
	s_and_b64 vcc, exec, s[16:17]
                                        ; implicit-def: $sgpr20_sgpr21
	s_cbranch_vccnz .LBB5_1047
; %bb.1046:                             ;   in Loop: Header=BB5_1045 Depth=1
	s_trap 2
	ds_read_b64 v[2:3], v0
	s_andn2_b64 s[16:17], s[16:17], exec
	s_mov_b32 s22, 0
	s_mov_b64 s[20:21], -1
	s_waitcnt vmcnt(0) lgkmcnt(0)
	flat_load_dword v2, v[2:3] sc0 sc1
	s_waitcnt vmcnt(0) lgkmcnt(0)
	buffer_inv sc0 sc1
	v_cmp_eq_u32_e32 vcc, 0, v2
	s_and_b64 s[18:19], vcc, exec
	s_or_b64 s[16:17], s[16:17], s[18:19]
.LBB5_1047:                             ;   in Loop: Header=BB5_1045 Depth=1
	s_andn2_b64 s[14:15], s[14:15], exec
	s_and_b64 s[20:21], s[20:21], exec
	s_mov_b64 s[18:19], -1
	s_or_b64 s[14:15], s[14:15], s[20:21]
	s_and_saveexec_b64 s[20:21], s[16:17]
	s_cbranch_execz .LBB5_1044
; %bb.1048:                             ;   in Loop: Header=BB5_1045 Depth=1
	s_sleep 1
	s_trap 2
	ds_read_b64 v[2:3], v0
	s_andn2_b64 s[14:15], s[14:15], exec
	s_waitcnt lgkmcnt(0)
	v_cmp_ge_u64_e32 vcc, v[2:3], v[0:1]
	s_orn2_b64 s[18:19], vcc, exec
	s_branch .LBB5_1044
.LBB5_1049:
	s_or_b64 exec, exec, s[10:11]
	s_and_saveexec_b64 s[10:11], s[12:13]
	s_xor_b64 s[10:11], exec, s[10:11]
	s_cbranch_execz .LBB5_1051
; %bb.1050:
	v_mov_b32_e32 v0, 1
	ds_write_b32 v0, v0
	s_trap 2
.LBB5_1051:
	s_or_b64 exec, exec, s[6:7]
	;;#ASMSTART
	s_wakeup
	;;#ASMEND
.LBB5_1052:
	s_or_b64 exec, exec, s[4:5]
.LBB5_1053:
	s_andn2_saveexec_b64 s[2:3], s[2:3]
	s_cbranch_execz .LBB5_1055
; %bb.1054:
	s_waitcnt lgkmcnt(0)
	s_barrier
.LBB5_1055:
	s_or_b64 exec, exec, s[0:1]
.LBB5_1056:
	s_andn2_saveexec_b64 s[22:23], s[30:31]
	s_cbranch_execz .LBB5_1058
; %bb.1057:
	s_getpc_b64 s[0:1]
	s_add_u32 s0, s0, __PRETTY_FUNCTION__._ZN10PrimitivesIa7FuncSumIaE12FanSymmetricILi1EELi0E11ProtoSimpleILi2ELi2ELi0ELi1ELi0ELi0EELi0ELb0ELi0ELi0ELi0EEC2EiiPKiS8_PKvPvmhhhP15ncclDevWorkCollP14ncclDevWorkP2pii@rel32@lo+4
	s_addc_u32 s1, s1, __PRETTY_FUNCTION__._ZN10PrimitivesIa7FuncSumIaE12FanSymmetricILi1EELi0E11ProtoSimpleILi2ELi2ELi0ELi1ELi0ELi0EELi0ELb0ELi0ELi0ELi0EEC2EiiPKiS8_PKvPvmhhhP15ncclDevWorkCollP14ncclDevWorkP2pii@rel32@hi+12
	v_mov_b32_e32 v0, s0
	v_mov_b32_e32 v1, s1
	s_getpc_b64 s[2:3]
	s_add_u32 s2, s2, __assert_fail@rel32@lo+4
	s_addc_u32 s3, s3, __assert_fail@rel32@hi+12
	s_swappc_b64 s[30:31], s[2:3]
	; divergent unreachable
.LBB5_1058:
	s_or_b64 exec, exec, s[22:23]
.LBB5_1059:
	s_or_b64 exec, exec, s[34:35]
	scratch_load_dword a37, off, s33        ; 4-byte Folded Reload
	scratch_load_dword a36, off, s33 offset:4 ; 4-byte Folded Reload
	scratch_load_dword a35, off, s33 offset:8 ; 4-byte Folded Reload
	;; [unrolled: 1-line block ×19, first 2 shown]
	v_readlane_b32 s30, v63, 44
	v_readlane_b32 s31, v63, 45
	;; [unrolled: 1-line block ×47, first 2 shown]
	s_or_saveexec_b64 s[2:3], -1
	scratch_load_dword v63, off, s33 offset:80 ; 4-byte Folded Reload
	s_mov_b64 exec, s[2:3]
	s_addk_i32 s32, 0xffa0
	s_mov_b32 s33, s0
	s_waitcnt vmcnt(0) lgkmcnt(0)
	s_setpc_b64 s[30:31]
.Lfunc_end5:
	.size	_ZN12_GLOBAL__N_17runRingIa7FuncSumIaE11ProtoSimpleILi2ELi2ELi0ELi1ELi0ELi0EELi0ELi1ELi0ELb0EEEviiP15ncclDevWorkColl, .Lfunc_end5-_ZN12_GLOBAL__N_17runRingIa7FuncSumIaE11ProtoSimpleILi2ELi2ELi0ELi1ELi0ELi0EELi0ELi1ELi0ELb0EEEviiP15ncclDevWorkColl
                                        ; -- End function
	.section	.AMDGPU.csdata,"",@progbits
; Function info:
; codeLenInByte = 30828
; NumSgprs: 84
; NumVgprs: 64
; NumAgprs: 38
; TotalNumVgprs: 102
; ScratchSize: 160
; MemoryBound: 0
	.text
	.p2align	2                               ; -- Begin function _Z46ncclDevFunc_AllGather_RING_SIMPLE_Sum_i8_0_0_1v
	.type	_Z46ncclDevFunc_AllGather_RING_SIMPLE_Sum_i8_0_0_1v,@function
_Z46ncclDevFunc_AllGather_RING_SIMPLE_Sum_i8_0_0_1v: ; @_Z46ncclDevFunc_AllGather_RING_SIMPLE_Sum_i8_0_0_1v
; %bb.0:
	s_waitcnt vmcnt(0) expcnt(0) lgkmcnt(0)
	s_mov_b32 s0, s33
	s_mov_b32 s33, s32
	s_or_saveexec_b64 s[2:3], -1
	scratch_store_dword off, v44, s33 offset:20 ; 4-byte Folded Spill
	s_mov_b64 exec, s[2:3]
	v_writelane_b32 v44, s0, 57
	s_add_i32 s32, s32, 32
	scratch_store_dword off, v40, s33 offset:16 ; 4-byte Folded Spill
	scratch_store_dword off, v41, s33 offset:12 ; 4-byte Folded Spill
	;; [unrolled: 1-line block ×4, first 2 shown]
	scratch_store_dword off, v63, s33       ; 4-byte Folded Spill
	v_writelane_b32 v44, s34, 0
	v_writelane_b32 v44, s35, 1
	;; [unrolled: 1-line block ×56, first 2 shown]
	s_nop 1
	v_writelane_b32 v44, s31, 56
	s_trap 2
	ds_read_b32 v0, v0
	v_mov_b32_e32 v40, v31
	s_mov_b32 s81, s12
	s_mov_b64 s[82:83], s[8:9]
	s_waitcnt lgkmcnt(0)
	v_cmp_gt_i32_e32 vcc, 1, v0
	s_cbranch_vccnz .LBB6_11
; %bb.1:
	s_mov_b32 s88, 0
	v_and_b32_e32 v41, 0x3ff, v40
	s_mov_b64 s[84:85], src_shared_base
	v_mov_b32_e32 v43, 6
	s_branch .LBB6_3
.LBB6_2:                                ;   in Loop: Header=BB6_3 Depth=1
	s_or_b64 exec, exec, s[86:87]
	s_trap 2
	ds_read_b32 v0, v0
	s_add_i32 s88, s88, 1
	s_waitcnt lgkmcnt(0)
	v_cmp_lt_i32_e32 vcc, s88, v0
	s_cbranch_vccz .LBB6_11
.LBB6_3:                                ; =>This Inner Loop Header: Depth=1
	s_trap 2
	ds_read_b32 v0, v0
	s_cmp_eq_u32 s88, 0
	s_cbranch_scc1 .LBB6_6
; %bb.4:                                ;   in Loop: Header=BB6_3 Depth=1
	s_trap 2
	s_waitcnt lgkmcnt(0)
	ds_read_b32 v1, v0
	s_waitcnt lgkmcnt(0)
	v_xor_b32_e32 v1, v1, v0
	v_and_b32_e32 v1, 0xff0000, v1
	v_cmp_eq_u32_e32 vcc, 0, v1
	s_cbranch_vccnz .LBB6_6
; %bb.5:                                ;   in Loop: Header=BB6_3 Depth=1
	s_barrier
	ds_read_b32 v0, v0
.LBB6_6:                                ;   in Loop: Header=BB6_3 Depth=1
	s_waitcnt lgkmcnt(0)
	v_lshlrev_b32_sdwa v42, v43, v0 dst_sel:DWORD dst_unused:UNUSED_PAD src0_sel:DWORD src1_sel:BYTE_2
	v_cmp_lt_u32_e32 vcc, v41, v42
	s_and_saveexec_b64 s[86:87], vcc
	s_cbranch_execz .LBB6_2
; %bb.7:                                ;   in Loop: Header=BB6_3 Depth=1
	v_cmp_lt_i32_e32 vcc, -1, v0
	s_mov_b64 s[0:1], -1
	s_cbranch_vccnz .LBB6_9
; %bb.8:                                ;   in Loop: Header=BB6_3 Depth=1
	s_mov_b64 s[8:9], s[82:83]
	s_mov_b32 s12, s81
	v_mov_b32_e32 v31, v40
	v_mov_b32_e32 v0, v41
	v_mov_b32_e32 v1, v42
	v_mov_b32_e32 v3, s85
	s_getpc_b64 s[0:1]
	s_add_u32 s0, s0, _ZN12_GLOBAL__N_17runRingIa7FuncSumIaE11ProtoSimpleILi1ELi4ELi0ELi1ELi0ELi0EELi0ELi1ELi0ELb0EEEviiP15ncclDevWorkColl@rel32@lo+4
	s_addc_u32 s1, s1, _ZN12_GLOBAL__N_17runRingIa7FuncSumIaE11ProtoSimpleILi1ELi4ELi0ELi1ELi0ELi0EELi0ELi1ELi0ELb0EEEviiP15ncclDevWorkColl@rel32@hi+12
	s_swappc_b64 s[30:31], s[0:1]
	s_mov_b64 s[0:1], 0
.LBB6_9:                                ;   in Loop: Header=BB6_3 Depth=1
	s_andn2_b64 vcc, exec, s[0:1]
	s_cbranch_vccnz .LBB6_2
; %bb.10:                               ;   in Loop: Header=BB6_3 Depth=1
	s_mov_b64 s[8:9], s[82:83]
	s_mov_b32 s12, s81
	v_mov_b32_e32 v31, v40
	v_mov_b32_e32 v0, v41
	;; [unrolled: 1-line block ×4, first 2 shown]
	s_getpc_b64 s[0:1]
	s_add_u32 s0, s0, _ZN12_GLOBAL__N_17runRingIa7FuncSumIaE11ProtoSimpleILi2ELi2ELi0ELi1ELi0ELi0EELi0ELi1ELi0ELb0EEEviiP15ncclDevWorkColl@rel32@lo+4
	s_addc_u32 s1, s1, _ZN12_GLOBAL__N_17runRingIa7FuncSumIaE11ProtoSimpleILi2ELi2ELi0ELi1ELi0ELi0EELi0ELi1ELi0ELb0EEEviiP15ncclDevWorkColl@rel32@hi+12
	s_swappc_b64 s[30:31], s[0:1]
	s_branch .LBB6_2
.LBB6_11:
	scratch_load_dword v63, off, s33        ; 4-byte Folded Reload
	scratch_load_dword v43, off, s33 offset:4 ; 4-byte Folded Reload
	scratch_load_dword v42, off, s33 offset:8 ; 4-byte Folded Reload
	;; [unrolled: 1-line block ×4, first 2 shown]
	v_readlane_b32 s30, v44, 55
	v_readlane_b32 s31, v44, 56
	;; [unrolled: 1-line block ×58, first 2 shown]
	s_or_saveexec_b64 s[2:3], -1
	scratch_load_dword v44, off, s33 offset:20 ; 4-byte Folded Reload
	s_mov_b64 exec, s[2:3]
	s_addk_i32 s32, 0xffe0
	s_mov_b32 s33, s0
	s_waitcnt vmcnt(0)
	s_setpc_b64 s[30:31]
.Lfunc_end6:
	.size	_Z46ncclDevFunc_AllGather_RING_SIMPLE_Sum_i8_0_0_1v, .Lfunc_end6-_Z46ncclDevFunc_AllGather_RING_SIMPLE_Sum_i8_0_0_1v
                                        ; -- End function
	.section	.AMDGPU.csdata,"",@progbits
; Function info:
; codeLenInByte = 1388
; NumSgprs: 95
; NumVgprs: 64
; NumAgprs: 38
; TotalNumVgprs: 102
; ScratchSize: 192
; MemoryBound: 0
	.text
	.p2align	2                               ; -- Begin function _Z41ncclDevFunc_AllGather_PAT_LL_Sum_i8_0_0_1v
	.type	_Z41ncclDevFunc_AllGather_PAT_LL_Sum_i8_0_0_1v,@function
_Z41ncclDevFunc_AllGather_PAT_LL_Sum_i8_0_0_1v: ; @_Z41ncclDevFunc_AllGather_PAT_LL_Sum_i8_0_0_1v
; %bb.0:
	s_waitcnt vmcnt(0) expcnt(0) lgkmcnt(0)
	s_trap 2
	ds_read_b32 v0, v0
	s_waitcnt lgkmcnt(0)
	v_cmp_gt_i32_e32 vcc, 1, v0
	s_cbranch_vccnz .LBB7_6
; %bb.1:
	s_mov_b32 s0, 0
	s_branch .LBB7_3
.LBB7_2:                                ;   in Loop: Header=BB7_3 Depth=1
	s_add_i32 s0, s0, 1
	s_waitcnt lgkmcnt(0)
	v_cmp_lt_i32_e32 vcc, s0, v0
	s_cbranch_vccz .LBB7_6
.LBB7_3:                                ; =>This Inner Loop Header: Depth=1
	s_cmp_eq_u32 s0, 0
	s_cbranch_scc1 .LBB7_2
; %bb.4:                                ;   in Loop: Header=BB7_3 Depth=1
	s_trap 2
	ds_read_b32 v1, v0
	s_waitcnt lgkmcnt(0)
	v_xor_b32_e32 v1, v1, v1
	v_and_b32_e32 v1, 0xff0000, v1
	v_cmp_eq_u32_e32 vcc, 0, v1
	s_cbranch_vccnz .LBB7_2
; %bb.5:                                ;   in Loop: Header=BB7_3 Depth=1
	s_barrier
	s_trap 2
	ds_read_b32 v0, v0
	s_branch .LBB7_2
.LBB7_6:
	s_setpc_b64 s[30:31]
.Lfunc_end7:
	.size	_Z41ncclDevFunc_AllGather_PAT_LL_Sum_i8_0_0_1v, .Lfunc_end7-_Z41ncclDevFunc_AllGather_PAT_LL_Sum_i8_0_0_1v
                                        ; -- End function
	.section	.AMDGPU.csdata,"",@progbits
; Function info:
; codeLenInByte = 120
; NumSgprs: 38
; NumVgprs: 2
; NumAgprs: 0
; TotalNumVgprs: 2
; ScratchSize: 0
; MemoryBound: 0
	.text
	.p2align	2                               ; -- Begin function _Z45ncclDevFunc_AllGather_PAT_SIMPLE_Sum_i8_0_0_1v
	.type	_Z45ncclDevFunc_AllGather_PAT_SIMPLE_Sum_i8_0_0_1v,@function
_Z45ncclDevFunc_AllGather_PAT_SIMPLE_Sum_i8_0_0_1v: ; @_Z45ncclDevFunc_AllGather_PAT_SIMPLE_Sum_i8_0_0_1v
; %bb.0:
	s_waitcnt vmcnt(0) expcnt(0) lgkmcnt(0)
	s_or_saveexec_b64 s[0:1], -1
	scratch_store_dword off, v63, s32 offset:344 ; 4-byte Folded Spill
	s_mov_b64 exec, s[0:1]
	v_accvgpr_write_b32 a5, v40             ;  Reload Reuse
	v_accvgpr_write_b32 a10, v41            ;  Reload Reuse
	v_accvgpr_write_b32 a11, v42            ;  Reload Reuse
	;; [unrolled: 1-line block ×14, first 2 shown]
	v_writelane_b32 v63, s34, 0
	v_writelane_b32 v63, s35, 1
	;; [unrolled: 1-line block ×40, first 2 shown]
	s_nop 1
	v_writelane_b32 v63, s31, 40
	s_trap 2
	ds_read_b32 v0, v0
	s_waitcnt lgkmcnt(0)
	v_cmp_gt_i32_e32 vcc, 1, v0
	s_cbranch_vccnz .LBB8_389
; %bb.1:
	s_load_dword s0, s[8:9], 0x0
	v_mov_b32_e32 v8, 0
	v_and_b32_e32 v32, 0x3ff, v31
	v_and_b32_e32 v0, 63, v32
	s_mov_b32 s26, 0
	s_waitcnt lgkmcnt(0)
	s_cmp_lt_u32 s12, s0
	s_cselect_b32 s0, 12, 18
	s_add_u32 s0, s8, s0
	s_addc_u32 s1, s9, 0
	global_load_ushort a0, v8, s[0:1]
	s_movk_i32 s8, 0x80
	v_accvgpr_write_b32 a1, v0
	v_cmp_eq_u32_e64 s[10:11], 0, v0
	s_mov_b32 s68, s32
	s_mov_b64 s[38:39], src_shared_base
	v_mov_b32_e32 v0, 2
	s_brev_b32 s27, 1
	v_cmp_gt_u32_e64 s[0:1], 32, v32
	v_cmp_eq_u32_e64 s[2:3], 0, v32
	v_cmp_eq_u32_e64 s[4:5], s8, v32
	v_cmp_ne_u32_e64 s[6:7], s8, v32
	v_cmp_gt_u32_e64 s[8:9], s8, v32
	s_addk_i32 s68, 0xd8
	s_mov_b64 s[28:29], 0x1f8
	v_mov_b32_e32 v12, 1
	s_mov_b64 s[30:31], 0x800
	s_mov_b64 s[34:35], 0x400
	;; [unrolled: 1-line block ×3, first 2 shown]
	s_movk_i32 s38, 0x270e
	s_movk_i32 s69, 0x88
	v_mov_b32_e32 v33, -1
	v_accvgpr_write_b32 a24, v1             ;  Reload Reuse
	v_accvgpr_write_b32 a25, v0             ;  Reload Reuse
	s_mov_b32 s70, s26
	s_trap 2
	s_branch .LBB8_4
.LBB8_2:                                ;   in Loop: Header=BB8_4 Depth=1
	s_or_b64 exec, exec, s[22:23]
.LBB8_3:                                ;   in Loop: Header=BB8_4 Depth=1
	s_or_b64 exec, exec, s[40:41]
	s_trap 2
	ds_read_b32 v0, v0
	s_add_i32 s70, s70, 1
	s_waitcnt lgkmcnt(0)
	v_cmp_lt_i32_e32 vcc, s70, v0
	s_cbranch_vccz .LBB8_389
.LBB8_4:                                ; =>This Loop Header: Depth=1
                                        ;     Child Loop BB8_18 Depth 2
                                        ;     Child Loop BB8_26 Depth 2
	;; [unrolled: 1-line block ×4, first 2 shown]
                                        ;       Child Loop BB8_54 Depth 3
                                        ;       Child Loop BB8_63 Depth 3
	;; [unrolled: 1-line block ×12, first 2 shown]
                                        ;     Child Loop BB8_232 Depth 2
                                        ;     Child Loop BB8_243 Depth 2
	;; [unrolled: 1-line block ×7, first 2 shown]
                                        ;       Child Loop BB8_290 Depth 3
                                        ;       Child Loop BB8_352 Depth 3
	;; [unrolled: 1-line block ×5, first 2 shown]
	s_trap 2
	ds_read_b32 v0, v0
	s_cmp_eq_u32 s70, 0
	s_waitcnt lgkmcnt(0)
	v_readfirstlane_b32 s12, v0
	s_cbranch_scc1 .LBB8_7
; %bb.5:                                ;   in Loop: Header=BB8_4 Depth=1
	s_trap 2
	ds_read_b32 v0, v0
	s_waitcnt lgkmcnt(0)
	v_xor_b32_e32 v0, s12, v0
	v_and_b32_e32 v0, 0xff0000, v0
	v_cmp_eq_u32_e32 vcc, 0, v0
	s_cbranch_vccnz .LBB8_7
; %bb.6:                                ;   in Loop: Header=BB8_4 Depth=1
	s_barrier
	s_trap 2
	ds_read_b32 v0, v0
	s_waitcnt lgkmcnt(0)
	v_readfirstlane_b32 s12, v0
.LBB8_7:                                ;   in Loop: Header=BB8_4 Depth=1
	s_bfe_u32 s14, s12, 0x80010
	s_lshl_b32 s16, s14, 6
	v_cmp_gt_u32_e32 vcc, s16, v32
	s_and_saveexec_b64 s[40:41], vcc
	s_cbranch_execz .LBB8_3
; %bb.8:                                ;   in Loop: Header=BB8_4 Depth=1
	s_trap 2
	ds_read_b64 v[6:7], v0
	ds_read_b32 v4, v0
	ds_read2_b64 v[0:3], v0 offset1:1
	s_and_b32 s15, s12, 0xff
	s_bfe_u32 s13, s12, 0x80008
	s_not_b32 s12, s15
	s_add_i32 s17, s13, s12
	s_ashr_i32 s18, s17, 31
	s_waitcnt lgkmcnt(0)
	v_mul_lo_u32 v5, v2, s18
	v_mul_hi_u32 v9, v2, s17
	v_add_u32_e32 v5, v9, v5
	v_mul_lo_u32 v9, v3, s17
	v_add_u32_e32 v11, v5, v9
	v_mul_lo_u32 v10, v2, s17
	v_cmp_ne_u32_e32 vcc, s15, v4
	v_readfirstlane_b32 s72, v6
	v_readfirstlane_b32 s71, v7
	v_lshl_add_u64 v[16:17], v[10:11], 0, v[0:1]
	s_cbranch_vccz .LBB8_11
; %bb.9:                                ;   in Loop: Header=BB8_4 Depth=1
	v_cmp_ne_u32_e32 vcc, s13, v4
	s_cbranch_vccz .LBB8_12
; %bb.10:                               ;   in Loop: Header=BB8_4 Depth=1
	v_add_u32_e32 v4, s12, v4
	s_trap 2
	ds_read_b64 v[10:11], v0
	v_ashrrev_i32_e32 v5, 31, v4
	v_mul_lo_u32 v5, v2, v5
	v_mul_hi_u32 v9, v2, v4
	v_add_u32_e32 v5, v9, v5
	v_mul_lo_u32 v9, v3, v4
	v_add_u32_e32 v5, v5, v9
	v_mul_lo_u32 v4, v2, v4
	v_lshl_add_u64 v[4:5], v[4:5], 0, v[0:1]
	s_waitcnt lgkmcnt(0)
	v_lshrrev_b64 v[18:19], 12, v[10:11]
	s_cbranch_execz .LBB8_13
	s_branch .LBB8_14
.LBB8_11:                               ;   in Loop: Header=BB8_4 Depth=1
                                        ; implicit-def: $vgpr18_vgpr19
                                        ; implicit-def: $vgpr4_vgpr5
	s_branch .LBB8_15
.LBB8_12:                               ;   in Loop: Header=BB8_4 Depth=1
                                        ; implicit-def: $vgpr18_vgpr19
                                        ; implicit-def: $vgpr4_vgpr5
.LBB8_13:                               ;   in Loop: Header=BB8_4 Depth=1
	s_trap 2
	ds_read_b32 v2, v0
	v_mov_b64_e32 v[4:5], v[16:17]
	s_waitcnt lgkmcnt(0)
	v_lshrrev_b32_e32 v18, 1, v2
	v_mov_b64_e32 v[2:3], v[6:7]
.LBB8_14:                               ;   in Loop: Header=BB8_4 Depth=1
	s_cbranch_execnz .LBB8_16
.LBB8_15:                               ;   in Loop: Header=BB8_4 Depth=1
	s_trap 2
	ds_read_b64 v[2:3], v0
	v_mov_b64_e32 v[4:5], 0
	s_waitcnt lgkmcnt(0)
	v_lshlrev_b64 v[18:19], 9, v[2:3]
	v_mov_b64_e32 v[2:3], v[0:1]
.LBB8_16:                               ;   in Loop: Header=BB8_4 Depth=1
	s_barrier
	s_and_saveexec_b64 s[12:13], s[0:1]
	s_cbranch_execz .LBB8_19
; %bb.17:                               ;   in Loop: Header=BB8_4 Depth=1
	s_mul_i32 s17, s14, 0xe00
	s_mov_b64 s[14:15], 0
	v_mov_b32_e32 v1, v32
                                        ; implicit-def: $vgpr0
.LBB8_18:                               ;   Parent Loop BB8_4 Depth=1
                                        ; =>  This Inner Loop Header: Depth=2
	v_add_u32_e32 v1, s16, v1
	v_cmp_lt_u32_e32 vcc, 31, v1
	ds_write_b32 v0, v8
	s_or_b64 s[14:15], vcc, s[14:15]
	v_add_u32_e32 v0, s17, v0
	s_andn2_b64 exec, exec, s[14:15]
	s_cbranch_execnz .LBB8_18
.LBB8_19:                               ;   in Loop: Header=BB8_4 Depth=1
	s_or_b64 exec, exec, s[12:13]
	s_and_saveexec_b64 s[12:13], s[2:3]
	s_cbranch_execz .LBB8_21
; %bb.20:                               ;   in Loop: Header=BB8_4 Depth=1
	v_mov_b32_e32 v9, v8
	ds_write_b64 v0, v[8:9]
	s_trap 2
.LBB8_21:                               ;   in Loop: Header=BB8_4 Depth=1
	s_or_b64 exec, exec, s[12:13]
	s_and_saveexec_b64 s[12:13], s[4:5]
	s_cbranch_execz .LBB8_23
; %bb.22:                               ;   in Loop: Header=BB8_4 Depth=1
	ds_write_b32 v0, v8
	s_trap 2
.LBB8_23:                               ;   in Loop: Header=BB8_4 Depth=1
	s_or_b64 exec, exec, s[12:13]
	s_waitcnt lgkmcnt(0)
	s_barrier
	s_and_saveexec_b64 s[12:13], s[6:7]
	s_xor_b64 s[42:43], exec, s[12:13]
	s_cbranch_execz .LBB8_254
; %bb.24:                               ;   in Loop: Header=BB8_4 Depth=1
	s_and_saveexec_b64 s[44:45], s[8:9]
	s_cbranch_execz .LBB8_253
; %bb.25:                               ;   in Loop: Header=BB8_4 Depth=1
	s_trap 2
	ds_read_b128 v[0:3], v0
	s_mov_b64 s[12:13], 0
.LBB8_26:                               ;   Parent Loop BB8_4 Depth=1
                                        ; =>  This Inner Loop Header: Depth=2
	v_mov_b32_e32 v9, v8
	s_trap 2
	flat_load_dword v4, v[8:9] sc0 sc1
	s_waitcnt vmcnt(0) lgkmcnt(0)
	v_cmp_ne_u32_e32 vcc, 0, v4
	s_or_b64 s[12:13], vcc, s[12:13]
	s_andn2_b64 exec, exec, s[12:13]
	s_cbranch_execnz .LBB8_26
; %bb.27:                               ;   in Loop: Header=BB8_4 Depth=1
	s_or_b64 exec, exec, s[12:13]
	v_lshlrev_b32_e32 v5, 6, v4
	v_sub_u32_e32 v6, 0, v5
	v_max_i32_e32 v5, v5, v6
	v_cvt_f32_u32_e32 v6, v5
	v_sub_u32_e32 v7, 0, v5
	v_bfe_i32 v4, v4, 25, 1
	s_trap 2
	v_rcp_iflag_f32_e32 v6, v6
	s_nop 0
	v_mul_f32_e32 v6, 0x4f7ffffe, v6
	v_cvt_u32_f32_e32 v6, v6
	v_mul_lo_u32 v7, v7, v6
	v_mul_hi_u32 v7, v6, v7
	v_add_u32_e32 v6, v6, v7
	v_lshrrev_b32_e32 v6, 25, v6
	v_mul_lo_u32 v7, v6, v5
	v_sub_u32_e32 v7, 0x80, v7
	v_add_u32_e32 v9, 1, v6
	v_cmp_ge_u32_e32 vcc, v7, v5
	s_nop 1
	v_cndmask_b32_e32 v6, v6, v9, vcc
	v_sub_u32_e32 v9, v7, v5
	v_cndmask_b32_e32 v7, v7, v9, vcc
	v_add_u32_e32 v9, 1, v6
	v_cmp_ge_u32_e32 vcc, v7, v5
	s_nop 1
	v_cndmask_b32_e32 v5, v6, v9, vcc
	v_xor_b32_e32 v5, v5, v4
	v_sub_u32_e32 v16, v5, v4
	v_lshlrev_b32_e32 v18, 6, v16
	v_sub_u32_e32 v4, 0, v18
	v_max_i32_e32 v15, v18, v4
	v_cvt_f32_u32_e32 v4, v15
	v_sub_u32_e32 v7, 0, v15
	v_bfe_i32 v17, v16, 25, 1
	v_mov_b32_e32 v9, 0x800
	v_rcp_iflag_f32_e32 v6, v4
	ds_read_b64 v[4:5], v0
	v_mul_f32_e32 v6, 0x4f7ffffe, v6
	v_cvt_u32_f32_e32 v6, v6
	v_mul_lo_u32 v7, v7, v6
	v_mul_hi_u32 v7, v6, v7
	v_add_u32_e32 v24, v6, v7
	v_mul_hi_u32 v6, v32, v24
	v_mul_lo_u32 v7, v6, v15
	v_sub_u32_e32 v7, v32, v7
	v_add_u32_e32 v10, 1, v6
	v_cmp_ge_u32_e32 vcc, v7, v15
	s_nop 1
	v_cndmask_b32_e32 v6, v6, v10, vcc
	v_sub_u32_e32 v10, v7, v15
	v_cndmask_b32_e32 v7, v7, v10, vcc
	v_add_u32_e32 v10, 1, v6
	v_cmp_ge_u32_e32 vcc, v7, v15
	s_nop 1
	v_cndmask_b32_e32 v6, v6, v10, vcc
	v_xor_b32_e32 v6, v6, v17
	v_sub_u32_e32 v13, v6, v17
	v_mul_lo_u32 v19, v13, v18
	v_sub_u32_e32 v20, v32, v19
	v_cmp_gt_i32_e32 vcc, 5, v20
	v_ashrrev_i32_e32 v21, 31, v20
	s_and_saveexec_b64 s[12:13], vcc
	s_cbranch_execz .LBB8_29
; %bb.28:                               ;   in Loop: Header=BB8_4 Depth=1
	s_getpc_b64 s[14:15]
	s_add_u32 s14, s14, __const.Primitives.roles@rel32@lo+4
	s_addc_u32 s15, s15, __const.Primitives.roles@rel32@hi+12
	v_lshl_add_u64 v[6:7], v[20:21], 2, s[14:15]
	global_load_dword v6, v[6:7], off
	s_waitcnt vmcnt(0)
	v_or_b32_e32 v9, 0x800, v6
.LBB8_29:                               ;   in Loop: Header=BB8_4 Depth=1
	s_or_b64 exec, exec, s[12:13]
	ds_read_b32 v6, v0
	v_lshlrev_b64 v[10:11], v20, 1
	v_cmp_gt_i32_e32 vcc, 32, v20
	s_trap 2
	s_waitcnt lgkmcnt(0)
	v_ashrrev_i32_e32 v7, 31, v6
	v_cmp_lt_u64_e64 s[12:13], v[10:11], v[6:7]
	s_and_b64 s[14:15], vcc, s[12:13]
	s_mov_b64 s[12:13], exec
	s_and_b64 s[14:15], s[12:13], s[14:15]
	v_accvgpr_write_b32 a26, v21            ;  Reload Reuse
	v_accvgpr_write_b32 a27, v20            ;  Reload Reuse
	s_mov_b64 exec, s[14:15]
	s_cbranch_execz .LBB8_31
; %bb.30:                               ;   in Loop: Header=BB8_4 Depth=1
	v_cvt_f32_u32_e32 v7, v6
	ds_read_b32 v14, v0
	v_accvgpr_read_b32 v11, a26             ;  Reload Reuse
	v_sub_u32_e32 v21, 0, v6
	v_rcp_iflag_f32_e32 v7, v7
	v_accvgpr_read_b32 v10, a27             ;  Reload Reuse
	v_lshlrev_b32_e64 v20, v10, 1
	s_waitcnt lgkmcnt(0)
	v_add_u32_e32 v22, v14, v20
	v_mul_f32_e32 v7, 0x4f7ffffe, v7
	v_cvt_u32_f32_e32 v7, v7
	s_trap 2
	ds_read_b64 v[10:11], v0
	v_sub_u32_e32 v20, v6, v20
	v_mul_lo_u32 v21, v21, v7
	v_mul_hi_u32 v21, v7, v21
	v_add_u32_e32 v7, v7, v21
	v_mul_hi_u32 v21, v22, v7
	v_mul_lo_u32 v21, v21, v6
	v_sub_u32_e32 v21, v22, v21
	v_sub_u32_e32 v22, v21, v6
	v_cmp_ge_u32_e32 vcc, v21, v6
	v_add_u32_e32 v14, v20, v14
	v_mul_hi_u32 v7, v14, v7
	v_cndmask_b32_e32 v21, v21, v22, vcc
	v_sub_u32_e32 v22, v21, v6
	v_cmp_ge_u32_e32 vcc, v21, v6
	v_mul_lo_u32 v7, v7, v6
	v_sub_u32_e32 v7, v14, v7
	v_cndmask_b32_e32 v22, v21, v22, vcc
	v_ashrrev_i32_e32 v23, 31, v22
	s_waitcnt lgkmcnt(0)
	v_lshl_add_u64 v[22:23], v[22:23], 3, v[10:11]
	flat_load_dwordx2 v[22:23], v[22:23]
	v_sub_u32_e32 v14, v7, v6
	v_cmp_ge_u32_e32 vcc, v7, v6
	s_mov_b32 s14, s26
	s_mov_b32 s15, s26
	v_cndmask_b32_e32 v7, v7, v14, vcc
	v_sub_u32_e32 v14, v7, v6
	v_cmp_ge_u32_e32 vcc, v7, v6
	v_accvgpr_read_b32 v21, a26             ;  Reload Reuse
	v_accvgpr_read_b32 v20, a27             ;  Reload Reuse
	v_cndmask_b32_e32 v6, v7, v14, vcc
	v_ashrrev_i32_e32 v7, 31, v6
	v_lshl_add_u64 v[6:7], v[6:7], 3, v[10:11]
	s_waitcnt vmcnt(0) lgkmcnt(0)
	v_lshl_add_u64 v[26:27], v[22:23], 0, s[28:29]
	ds_write_b64 v0, v[26:27]
	flat_load_dwordx2 v[26:27], v[22:23] offset:520
	flat_load_dwordx2 v[30:31], v[22:23] offset:608
	s_waitcnt vmcnt(0) lgkmcnt(0)
	ds_write_b64 v0, v[26:27]
	flat_load_dwordx4 v[26:29], v[22:23] offset:552
	ds_write_b64 v0, v[30:31]
	s_waitcnt vmcnt(0) lgkmcnt(0)
	ds_write_b64 v0, v[26:27]
	flat_load_dwordx2 v[10:11], v[26:27] sc0 sc1
	ds_write_b64 v0, v[28:29]
	flat_load_dwordx2 v[6:7], v[6:7]
	v_mov_b64_e32 v[28:29], s[14:15]
	s_waitcnt vmcnt(0) lgkmcnt(0)
	flat_load_dwordx2 v[26:27], v[6:7] offset:104
	flat_load_dword v14, v[22:23] offset:576
	s_waitcnt vmcnt(0) lgkmcnt(0)
	ds_write2_b64 v0, v[26:27], v[6:7] offset1:1
	flat_load_dwordx2 v[22:23], v[6:7] offset:96
	s_waitcnt vmcnt(0) lgkmcnt(0)
	ds_write_b64 v0, v[22:23]
	flat_load_dwordx2 v[22:23], v[6:7] offset:16
	flat_load_dwordx2 v[26:27], v[6:7] offset:56
	ds_write_b64 v0, v[28:29]
	ds_write_b64 v0, v[10:11]
	ds_write_b32 v0, v14
	s_waitcnt vmcnt(0) lgkmcnt(0)
	ds_write2_b64 v0, v[22:23], v[26:27] offset1:1
	flat_load_dwordx2 v[10:11], v[26:27] sc0 sc1
	flat_load_dwordx2 v[22:23], v[6:7] offset:48
	s_waitcnt vmcnt(0) lgkmcnt(0)
	ds_write2_b64 v0, v[22:23], v[10:11] offset1:1
	flat_load_dword v6, v[6:7] offset:72
	ds_write_b64 v0, v[28:29]
	s_waitcnt vmcnt(0) lgkmcnt(0)
	ds_write_b32 v0, v6
.LBB8_31:                               ;   in Loop: Header=BB8_4 Depth=1
	s_or_b64 exec, exec, s[12:13]
	v_cmp_eq_u32_e32 vcc, 0, v20
	s_trap 2
	s_and_saveexec_b64 s[12:13], vcc
	s_cbranch_execz .LBB8_33
; %bb.32:                               ;   in Loop: Header=BB8_4 Depth=1
	ds_write2_b64 v0, v[2:3], v[0:1] offset0:14 offset1:15
	ds_write_b64 v0, v[4:5]
	s_trap 2
.LBB8_33:                               ;   in Loop: Header=BB8_4 Depth=1
	s_or_b64 exec, exec, s[12:13]
	v_accvgpr_read_b32 v0, a0
	v_cmp_ne_u32_e64 s[12:13], v18, v0
                                        ; implicit-def: $vgpr22_vgpr23
                                        ; implicit-def: $vgpr0
	s_and_saveexec_b64 s[14:15], s[12:13]
	s_xor_b64 s[14:15], exec, s[14:15]
	s_cbranch_execz .LBB8_49
; %bb.34:                               ;   in Loop: Header=BB8_4 Depth=1
	v_mov_b64_e32 v[22:23], 0
	v_accvgpr_read_b32 v0, a1
	s_and_saveexec_b64 s[16:17], s[10:11]
	s_cbranch_execz .LBB8_48
; %bb.35:                               ;   in Loop: Header=BB8_4 Depth=1
	s_mov_b64 s[20:21], exec
	v_mbcnt_lo_u32_b32 v0, s20, 0
	v_mbcnt_hi_u32_b32 v0, s21, v0
	v_cmp_eq_u32_e32 vcc, 0, v0
	s_waitcnt lgkmcnt(0)
	s_and_saveexec_b64 s[18:19], vcc
	s_cbranch_execz .LBB8_37
; %bb.36:                               ;   in Loop: Header=BB8_4 Depth=1
	s_bcnt1_i32_b64 s20, s[20:21]
	v_mov_b32_e32 v0, s20
	v_mov_b32_e32 v1, v8
	ds_add_u64 v0, v[0:1]
	s_trap 2
.LBB8_37:                               ;   in Loop: Header=BB8_4 Depth=1
	s_or_b64 exec, exec, s[18:19]
	s_trap 2
	ds_read_b64 v[0:1], v0
	s_waitcnt lgkmcnt(0)
	v_cmp_lt_u64_e32 vcc, 1, v[0:1]
	s_cbranch_vccnz .LBB8_47
; %bb.38:                               ;   in Loop: Header=BB8_4 Depth=1
	s_mov_b32 s48, 0
	s_mov_b64 s[18:19], 0
                                        ; implicit-def: $sgpr20_sgpr21
                                        ; implicit-def: $sgpr22_sgpr23
	s_branch .LBB8_40
.LBB8_39:                               ;   in Loop: Header=BB8_40 Depth=2
	s_or_b64 exec, exec, s[46:47]
	s_and_b64 s[24:25], exec, vcc
	s_or_b64 s[18:19], s[24:25], s[18:19]
	s_andn2_b64 s[20:21], s[20:21], exec
	s_and_b64 s[24:25], s[22:23], exec
	s_or_b64 s[20:21], s[20:21], s[24:25]
	s_andn2_b64 exec, exec, s[18:19]
	s_cbranch_execz .LBB8_44
.LBB8_40:                               ;   Parent Loop BB8_4 Depth=1
                                        ; =>  This Inner Loop Header: Depth=2
	s_add_i32 s48, s48, 1
	s_cmpk_lg_i32 s48, 0x2710
	s_cselect_b64 s[24:25], -1, 0
	s_and_b64 vcc, exec, s[24:25]
                                        ; implicit-def: $sgpr46_sgpr47
	s_cbranch_vccnz .LBB8_42
; %bb.41:                               ;   in Loop: Header=BB8_40 Depth=2
	s_trap 2
	ds_read_b64 v[0:1], v0
	s_andn2_b64 s[24:25], s[24:25], exec
	s_mov_b32 s48, 0
	s_mov_b64 s[46:47], -1
	s_waitcnt lgkmcnt(0)
	flat_load_dword v0, v[0:1] sc0 sc1
	s_waitcnt vmcnt(0) lgkmcnt(0)
	buffer_inv sc0 sc1
	v_cmp_eq_u32_e32 vcc, 0, v0
	s_and_b64 vcc, vcc, exec
	s_or_b64 s[24:25], s[24:25], vcc
.LBB8_42:                               ;   in Loop: Header=BB8_40 Depth=2
	s_andn2_b64 s[22:23], s[22:23], exec
	s_and_b64 s[46:47], s[46:47], exec
	s_mov_b64 vcc, -1
	s_or_b64 s[22:23], s[22:23], s[46:47]
	s_and_saveexec_b64 s[46:47], s[24:25]
	s_cbranch_execz .LBB8_39
; %bb.43:                               ;   in Loop: Header=BB8_40 Depth=2
	s_sleep 1
	s_trap 2
	ds_read_b64 v[0:1], v0
	s_andn2_b64 s[22:23], s[22:23], exec
	s_waitcnt lgkmcnt(0)
	v_cmp_lt_u64_e32 vcc, 1, v[0:1]
	s_orn2_b64 vcc, vcc, exec
	s_branch .LBB8_39
.LBB8_44:                               ;   in Loop: Header=BB8_4 Depth=1
	s_or_b64 exec, exec, s[18:19]
	s_and_saveexec_b64 s[18:19], s[20:21]
	s_xor_b64 s[18:19], exec, s[18:19]
	s_cbranch_execz .LBB8_46
; %bb.45:                               ;   in Loop: Header=BB8_4 Depth=1
	ds_write_b32 v0, v12
	s_trap 2
.LBB8_46:                               ;   in Loop: Header=BB8_4 Depth=1
	s_or_b64 exec, exec, s[18:19]
.LBB8_47:                               ;   in Loop: Header=BB8_4 Depth=1
	v_mov_b64_e32 v[22:23], 2
	v_mov_b32_e32 v0, 0
	;;#ASMSTART
	s_wakeup
	;;#ASMEND
.LBB8_48:                               ;   in Loop: Header=BB8_4 Depth=1
	s_or_b64 exec, exec, s[16:17]
.LBB8_49:                               ;   in Loop: Header=BB8_4 Depth=1
	s_or_saveexec_b64 s[14:15], s[14:15]
	v_accvgpr_write_b32 a2, v32
	s_xor_b64 exec, exec, s[14:15]
	s_cbranch_execz .LBB8_51
; %bb.50:                               ;   in Loop: Header=BB8_4 Depth=1
	v_mov_b64_e32 v[22:23], 0
	v_accvgpr_read_b32 v0, a1
	s_waitcnt lgkmcnt(0)
	s_barrier
.LBB8_51:                               ;   in Loop: Header=BB8_4 Depth=1
	s_or_b64 exec, exec, s[14:15]
	v_lshrrev_b32_e32 v1, 25, v24
	v_mul_lo_u32 v2, v1, v15
	v_sub_u32_e32 v2, 0x80, v2
	v_add_u32_e32 v3, 1, v1
	v_cmp_ge_u32_e32 vcc, v2, v15
	v_cmp_eq_u32_e64 s[14:15], 0, v0
	v_lshrrev_b32_e32 v0, 26, v21
	v_cndmask_b32_e32 v1, v1, v3, vcc
	v_sub_u32_e32 v3, v2, v15
	v_cndmask_b32_e32 v2, v2, v3, vcc
	v_add_u32_e32 v0, v20, v0
	v_add_u32_e32 v3, 1, v1
	v_cmp_ge_u32_e32 vcc, v2, v15
	v_ashrrev_i32_e32 v21, 6, v0
	v_and_b32_e32 v0, 0xffffffc0, v0
	v_cndmask_b32_e32 v1, v1, v3, vcc
	v_sub_u32_e32 v32, v20, v0
	v_lshlrev_b32_e32 v0, 11, v21
	v_xor_b32_e32 v1, v1, v17
	v_lshl_add_u32 v0, v32, 4, v0
	v_sub_u32_e32 v17, v1, v17
	v_ashrrev_i32_e32 v1, 31, v0
	v_accvgpr_write_b32 a7, v1
	v_lshlrev_b32_e32 v26, 11, v16
	v_accvgpr_write_b32 a6, v0
	v_add_u32_e32 v0, 0xfffff800, v26
	v_ashrrev_i32_e32 v1, 31, v0
	v_lshlrev_b32_e32 v30, 10, v16
	v_lshl_add_u64 v[28:29], v[0:1], 0, s[30:31]
	v_add_u32_e32 v0, 0xfffffc00, v30
	v_ashrrev_i32_e32 v1, 31, v0
	v_lshlrev_b32_e32 v34, 9, v16
	v_lshl_add_u64 v[14:15], v[0:1], 0, s[34:35]
	v_add_u32_e32 v0, 0xfffffe00, v34
	v_ashrrev_i32_e32 v1, 31, v0
	v_lshl_add_u64 v[36:37], v[0:1], 0, s[36:37]
	v_subrev_u32_e32 v0, 64, v18
	v_ashrrev_i32_e32 v1, 31, v0
	v_lshl_add_u64 v[38:39], v[0:1], 0, 64
	v_accvgpr_read_b32 v0, a2
	v_accvgpr_write_b32 a8, v14
	v_cmp_gt_i32_e64 s[16:17], 1, v32
	v_cmp_eq_u32_e64 s[18:19], v0, v19
	v_ashrrev_i32_e32 v27, 31, v26
	v_ashrrev_i32_e32 v31, 31, v30
	;; [unrolled: 1-line block ×4, first 2 shown]
	s_mov_b64 s[46:47], 0
	v_accvgpr_write_b32 a9, v15
	s_trap 2
                                        ; implicit-def: $vgpr48_vgpr49
	s_branch .LBB8_53
.LBB8_52:                               ;   in Loop: Header=BB8_53 Depth=2
	s_or_b64 exec, exec, s[20:21]
	s_waitcnt lgkmcnt(0)
	v_cmp_ne_u32_e32 vcc, 0, v62
	s_or_b64 s[46:47], vcc, s[46:47]
	v_add_u32_e32 v13, v13, v17
	s_andn2_b64 exec, exec, s[46:47]
	s_cbranch_execz .LBB8_223
.LBB8_53:                               ;   Parent Loop BB8_4 Depth=1
                                        ; =>  This Loop Header: Depth=2
                                        ;       Child Loop BB8_54 Depth 3
                                        ;       Child Loop BB8_63 Depth 3
	;; [unrolled: 1-line block ×12, first 2 shown]
	s_mov_b64 s[20:21], 0
	s_trap 2
.LBB8_54:                               ;   Parent Loop BB8_4 Depth=1
                                        ;     Parent Loop BB8_53 Depth=2
                                        ; =>    This Inner Loop Header: Depth=3
	ds_read_b32 v0, v0 offset:36
	s_waitcnt lgkmcnt(0)
	v_cmp_ne_u32_e32 vcc, 0, v0
	s_or_b64 s[20:21], vcc, s[20:21]
	s_andn2_b64 exec, exec, s[20:21]
	s_cbranch_execnz .LBB8_54
; %bb.55:                               ;   in Loop: Header=BB8_53 Depth=2
	s_or_b64 exec, exec, s[20:21]
	ds_read_b32 v62, v0 offset:32
	v_and_b32_e32 v0, 2, v0
	v_cmp_ne_u32_e32 vcc, 0, v0
	s_and_saveexec_b64 s[20:21], vcc
	s_xor_b64 s[20:21], exec, s[20:21]
	s_cbranch_execz .LBB8_67
; %bb.56:                               ;   in Loop: Header=BB8_53 Depth=2
	s_and_saveexec_b64 s[22:23], s[12:13]
	s_xor_b64 s[22:23], exec, s[22:23]
	s_cbranch_execz .LBB8_83
; %bb.57:                               ;   in Loop: Header=BB8_53 Depth=2
	s_and_saveexec_b64 s[24:25], s[14:15]
	s_cbranch_execz .LBB8_146
; %bb.58:                               ;   in Loop: Header=BB8_53 Depth=2
	s_mov_b64 s[50:51], exec
	v_mbcnt_lo_u32_b32 v0, s50, 0
	v_mbcnt_hi_u32_b32 v0, s51, v0
	v_cmp_eq_u32_e32 vcc, 0, v0
	s_waitcnt lgkmcnt(0)
	s_and_saveexec_b64 s[48:49], vcc
	s_cbranch_execz .LBB8_60
; %bb.59:                               ;   in Loop: Header=BB8_53 Depth=2
	s_bcnt1_i32_b64 vcc_lo, s[50:51]
	v_mov_b32_e32 v0, vcc_lo
	v_mov_b32_e32 v1, v8
	ds_add_u64 v0, v[0:1]
	s_trap 2
.LBB8_60:                               ;   in Loop: Header=BB8_53 Depth=2
	s_or_b64 exec, exec, s[48:49]
	s_trap 2
	ds_read_b64 v[0:1], v0
	v_lshl_add_u64 v[22:23], v[22:23], 0, 2
	s_waitcnt lgkmcnt(0)
	v_cmp_lt_u64_e32 vcc, v[0:1], v[22:23]
	s_and_saveexec_b64 s[48:49], vcc
	s_cbranch_execz .LBB8_145
; %bb.61:                               ;   in Loop: Header=BB8_53 Depth=2
	s_mov_b32 s60, 0
	s_mov_b64 s[50:51], 0
                                        ; implicit-def: $sgpr52_sgpr53
                                        ; implicit-def: $sgpr54_sgpr55
	s_branch .LBB8_63
.LBB8_62:                               ;   in Loop: Header=BB8_63 Depth=3
	s_or_b64 exec, exec, s[58:59]
	s_and_b64 vcc, exec, vcc
	s_or_b64 s[50:51], vcc, s[50:51]
	s_andn2_b64 vcc, s[52:53], exec
	s_and_b64 s[52:53], s[54:55], exec
	s_or_b64 s[52:53], vcc, s[52:53]
	s_andn2_b64 exec, exec, s[50:51]
	s_cbranch_execz .LBB8_143
.LBB8_63:                               ;   Parent Loop BB8_4 Depth=1
                                        ;     Parent Loop BB8_53 Depth=2
                                        ; =>    This Inner Loop Header: Depth=3
	s_add_i32 s60, s60, 1
	s_cmpk_lg_i32 s60, 0x2710
	s_cselect_b64 s[56:57], -1, 0
	s_and_b64 vcc, exec, s[56:57]
                                        ; implicit-def: $sgpr58_sgpr59
	s_cbranch_vccnz .LBB8_65
; %bb.64:                               ;   in Loop: Header=BB8_63 Depth=3
	s_trap 2
	ds_read_b64 v[0:1], v0
	s_andn2_b64 s[56:57], s[56:57], exec
	s_mov_b32 s60, 0
	s_mov_b64 s[58:59], -1
	s_waitcnt lgkmcnt(0)
	flat_load_dword v0, v[0:1] sc0 sc1
	s_waitcnt vmcnt(0) lgkmcnt(0)
	buffer_inv sc0 sc1
	v_cmp_eq_u32_e32 vcc, 0, v0
	s_and_b64 vcc, vcc, exec
	s_or_b64 s[56:57], s[56:57], vcc
.LBB8_65:                               ;   in Loop: Header=BB8_63 Depth=3
	s_andn2_b64 s[54:55], s[54:55], exec
	s_and_b64 s[58:59], s[58:59], exec
	s_mov_b64 vcc, -1
	s_or_b64 s[54:55], s[54:55], s[58:59]
	s_and_saveexec_b64 s[58:59], s[56:57]
	s_cbranch_execz .LBB8_62
; %bb.66:                               ;   in Loop: Header=BB8_63 Depth=3
	s_sleep 1
	s_trap 2
	ds_read_b64 v[0:1], v0
	s_andn2_b64 s[54:55], s[54:55], exec
	s_waitcnt lgkmcnt(0)
	v_cmp_ge_u64_e32 vcc, v[0:1], v[22:23]
	s_orn2_b64 vcc, vcc, exec
	s_branch .LBB8_62
.LBB8_67:                               ;   in Loop: Header=BB8_53 Depth=2
	s_andn2_saveexec_b64 s[48:49], s[20:21]
	s_cbranch_execz .LBB8_88
.LBB8_68:                               ;   in Loop: Header=BB8_53 Depth=2
	ds_read_b64 v[4:5], v0
	ds_read2_b64 v[0:3], v0 offset0:14 offset1:15
	v_and_b32_e32 v7, 36, v9
	v_cmp_ne_u32_e64 s[20:21], 0, v7
	v_mov_b64_e32 v[50:51], 0
	s_waitcnt lgkmcnt(0)
	v_cmp_lt_i32_e32 vcc, -1, v4
	s_waitcnt lgkmcnt(0)
	ds_read_b32 v6, v0 offset:28
	ds_read2_b32 v[54:55], v0 offset0:5 offset1:6
	s_and_b64 s[50:51], vcc, s[20:21]
	s_and_saveexec_b64 s[20:21], s[50:51]
	s_cbranch_execz .LBB8_70
; %bb.69:                               ;   in Loop: Header=BB8_53 Depth=2
	s_trap 2
	ds_read_b64 v[48:49], v0
	v_mov_b32_e32 v51, s39
.LBB8_70:                               ;   in Loop: Header=BB8_53 Depth=2
	s_or_b64 exec, exec, s[20:21]
	v_and_b32_e32 v4, 24, v9
	v_cmp_lt_i32_e32 vcc, -1, v5
	v_cmp_ne_u32_e64 s[20:21], 0, v4
	s_and_b64 s[52:53], vcc, s[20:21]
	s_and_saveexec_b64 s[20:21], s[52:53]
	s_cbranch_execz .LBB8_72
; %bb.71:                               ;   in Loop: Header=BB8_53 Depth=2
	s_trap 2
	s_waitcnt lgkmcnt(0)
	ds_read_b64 v[48:49], v0
	v_mov_b32_e32 v51, s39
.LBB8_72:                               ;   in Loop: Header=BB8_53 Depth=2
	s_or_b64 exec, exec, s[20:21]
	v_and_b32_e32 v4, 4, v9
	v_cmp_ne_u32_e32 vcc, 0, v4
	s_waitcnt lgkmcnt(0)
	v_max_i32_e32 v52, 0, v6
	s_and_b64 s[22:23], s[50:51], vcc
	s_waitcnt lgkmcnt(0)
	v_lshl_add_u64 v[40:41], v[48:49], 0, 1
	s_and_saveexec_b64 s[20:21], s[22:23]
	s_cbranch_execz .LBB8_96
; %bb.73:                               ;   in Loop: Header=BB8_53 Depth=2
	flat_load_dwordx2 v[6:7], v[50:51] offset:24
	flat_load_dword v14, v[50:51] offset:64
	ds_read2_b32 v[10:11], v0 offset0:2 offset1:4
	v_lshl_add_u64 v[4:5], v[48:49], 0, 1
	s_mov_b64 s[22:23], 0
                                        ; implicit-def: $sgpr56_sgpr57
                                        ; implicit-def: $sgpr54_sgpr55
	s_waitcnt lgkmcnt(0)
	v_add_u32_e32 v15, v48, v11
	v_and_b32_e32 v15, 7, v15
	v_ashrrev_i32_e32 v11, 31, v10
	s_waitcnt vmcnt(0)
	v_mad_i64_i32 v[6:7], s[24:25], v15, v14, v[6:7]
	v_lshl_add_u64 v[6:7], v[6:7], 0, v[10:11]
	v_mov_b32_e32 v11, 0
	ds_write_b64 v0, v[6:7] offset:584
                                        ; implicit-def: $sgpr24_sgpr25
	s_branch .LBB8_78
.LBB8_74:                               ;   in Loop: Header=BB8_78 Depth=3
	s_or_b64 exec, exec, s[66:67]
	v_mov_b32_e32 v6, 0
	s_orn2_b64 s[64:65], s[64:65], exec
.LBB8_75:                               ;   in Loop: Header=BB8_78 Depth=3
	s_or_b64 exec, exec, s[62:63]
	s_and_b64 s[62:63], s[64:65], exec
	v_mov_b32_e32 v11, v6
.LBB8_76:                               ;   in Loop: Header=BB8_78 Depth=3
	s_or_b64 exec, exec, s[60:61]
	s_xor_b64 vcc, s[62:63], -1
	s_andn2_b64 s[56:57], s[56:57], exec
	s_and_b64 vcc, vcc, exec
	s_andn2_b64 s[54:55], s[54:55], exec
	s_or_b64 s[56:57], s[56:57], vcc
                                        ; implicit-def: $vgpr6_vgpr7
.LBB8_77:                               ;   in Loop: Header=BB8_78 Depth=3
	s_or_b64 exec, exec, s[58:59]
	s_and_b64 vcc, exec, s[56:57]
	s_or_b64 s[22:23], vcc, s[22:23]
	s_andn2_b64 s[24:25], s[24:25], exec
	s_and_b64 vcc, s[54:55], exec
	s_or_b64 s[24:25], s[24:25], vcc
	s_andn2_b64 exec, exec, s[22:23]
	s_cbranch_execz .LBB8_89
.LBB8_78:                               ;   Parent Loop BB8_4 Depth=1
                                        ;     Parent Loop BB8_53 Depth=2
                                        ; =>    This Inner Loop Header: Depth=3
	flat_load_dwordx2 v[24:25], v[50:51] offset:48
	ds_read_b32 v6, v0 offset:16
	s_or_b64 s[54:55], s[54:55], exec
	s_or_b64 s[56:57], s[56:57], exec
	s_waitcnt lgkmcnt(0)
	v_ashrrev_i32_e32 v7, 31, v6
	v_lshl_add_u64 v[42:43], v[4:5], 0, v[6:7]
	s_waitcnt vmcnt(0)
	v_cmp_lt_u64_e32 vcc, v[24:25], v[42:43]
	s_and_saveexec_b64 s[58:59], vcc
	s_cbranch_execz .LBB8_77
; %bb.79:                               ;   in Loop: Header=BB8_78 Depth=3
	flat_load_dwordx2 v[6:7], v[50:51] offset:40
	v_and_b32_e32 v10, 64, v9
	v_cmp_eq_u32_e32 vcc, 0, v10
	s_mov_b64 s[62:63], 0
	s_waitcnt vmcnt(0) lgkmcnt(0)
	flat_load_dwordx2 v[6:7], v[6:7] sc0 sc1
	s_waitcnt vmcnt(0) lgkmcnt(0)
	flat_store_dwordx2 v[50:51], v[6:7] offset:48
	s_and_saveexec_b64 s[60:61], vcc
	s_cbranch_execz .LBB8_76
; %bb.80:                               ;   in Loop: Header=BB8_78 Depth=3
	v_add_u32_e32 v6, 1, v11
	v_cmp_lt_i32_e32 vcc, s38, v11
	s_mov_b64 s[64:65], -1
	s_and_saveexec_b64 s[62:63], vcc
	s_cbranch_execz .LBB8_75
; %bb.81:                               ;   in Loop: Header=BB8_78 Depth=3
	s_trap 2
	ds_read_b64 v[6:7], v0
	s_waitcnt vmcnt(0) lgkmcnt(0)
	flat_load_dword v6, v[6:7] sc0 sc1
	s_waitcnt vmcnt(0) lgkmcnt(0)
	buffer_inv sc0 sc1
	v_cmp_ne_u32_e32 vcc, 0, v6
	s_and_saveexec_b64 s[66:67], vcc
	s_cbranch_execz .LBB8_74
; %bb.82:                               ;   in Loop: Header=BB8_78 Depth=3
	v_or_b32_e32 v9, 64, v9
	s_xor_b64 s[64:65], exec, -1
	ds_write_b32 v0, v6
	s_trap 2
	s_branch .LBB8_74
.LBB8_83:                               ;   in Loop: Header=BB8_53 Depth=2
	s_andn2_saveexec_b64 s[22:23], s[22:23]
	s_cbranch_execz .LBB8_147
.LBB8_84:                               ;   in Loop: Header=BB8_53 Depth=2
	s_waitcnt lgkmcnt(0)
	s_barrier
	s_or_b64 exec, exec, s[22:23]
	s_and_saveexec_b64 s[22:23], s[12:13]
	s_xor_b64 s[22:23], exec, s[22:23]
	s_cbranch_execnz .LBB8_148
.LBB8_85:                               ;   in Loop: Header=BB8_53 Depth=2
	s_andn2_saveexec_b64 s[22:23], s[22:23]
	s_cbranch_execz .LBB8_87
.LBB8_86:                               ;   in Loop: Header=BB8_53 Depth=2
	s_waitcnt lgkmcnt(0)
	s_barrier
.LBB8_87:                               ;   in Loop: Header=BB8_53 Depth=2
	s_or_b64 exec, exec, s[22:23]
	s_andn2_saveexec_b64 s[48:49], s[20:21]
	s_cbranch_execnz .LBB8_68
.LBB8_88:                               ;   in Loop: Header=BB8_53 Depth=2
	s_or_b64 exec, exec, s[48:49]
	s_and_saveexec_b64 s[20:21], s[18:19]
	s_cbranch_execz .LBB8_52
	s_branch .LBB8_216
.LBB8_89:                               ;   in Loop: Header=BB8_53 Depth=2
	s_or_b64 exec, exec, s[22:23]
	s_xor_b64 s[22:23], s[24:25], -1
	s_and_saveexec_b64 s[24:25], s[22:23]
	s_xor_b64 s[22:23], exec, s[24:25]
	s_cbranch_execz .LBB8_91
; %bb.90:                               ;   in Loop: Header=BB8_53 Depth=2
	ds_read_b32 v6, v0 offset:16
	s_waitcnt lgkmcnt(0)
	v_ashrrev_i32_e32 v7, 31, v6
.LBB8_91:                               ;   in Loop: Header=BB8_53 Depth=2
	s_or_b64 exec, exec, s[22:23]
	flat_load_dwordx3 v[42:44], v[50:51] offset:56
	ds_read_b32 v10, v0 offset:8
	v_lshl_add_u64 v[4:5], v[6:7], 0, v[48:49]
	s_waitcnt lgkmcnt(0)
	v_add_u32_e32 v6, v10, v52
	v_ashrrev_i32_e32 v7, 31, v6
	s_waitcnt vmcnt(0)
	v_ashrrev_i32_e32 v10, 31, v44
	v_mad_u64_u32 v[6:7], s[22:23], v4, v44, v[6:7]
	v_mul_lo_u32 v4, v4, v10
	v_mul_lo_u32 v5, v5, v44
	v_add3_u32 v7, v5, v7, v4
	v_cmp_ge_u64_e32 vcc, v[42:43], v[6:7]
	s_mov_b64 s[22:23], exec
	s_and_b64 s[24:25], s[22:23], vcc
	v_accvgpr_read_b32 v15, a9
	s_xor_b64 s[22:23], s[24:25], s[22:23]
	v_accvgpr_read_b32 v14, a8
	s_mov_b64 exec, s[24:25]
	s_cbranch_execz .LBB8_93
; %bb.92:                               ;   in Loop: Header=BB8_53 Depth=2
	ds_read_b64 v[4:5], v0 offset:136
	s_waitcnt lgkmcnt(0)
	ds_write_b64 v0, v[4:5] offset:208
.LBB8_93:                               ;   in Loop: Header=BB8_53 Depth=2
	s_andn2_saveexec_b64 s[22:23], s[22:23]
	s_cbranch_execz .LBB8_95
; %bb.94:                               ;   in Loop: Header=BB8_53 Depth=2
	ds_read_b64 v[4:5], v0 offset:48
	s_waitcnt lgkmcnt(0)
	v_lshl_add_u64 v[4:5], v[2:3], 0, v[4:5]
	ds_write_b64 v0, v[4:5]
.LBB8_95:                               ;   in Loop: Header=BB8_53 Depth=2
	s_or_b64 exec, exec, s[22:23]
.LBB8_96:                               ;   in Loop: Header=BB8_53 Depth=2
	s_or_b64 exec, exec, s[20:21]
	v_and_b32_e32 v4, 8, v9
	v_cmp_ne_u32_e32 vcc, 0, v4
	s_and_b64 s[22:23], s[52:53], vcc
	s_and_saveexec_b64 s[20:21], s[22:23]
	s_cbranch_execz .LBB8_108
; %bb.97:                               ;   in Loop: Header=BB8_53 Depth=2
	v_lshl_add_u64 v[4:5], v[48:49], 0, 1
	s_mov_b64 s[22:23], 0
	v_mov_b32_e32 v6, 0
                                        ; implicit-def: $sgpr24_sgpr25
	s_branch .LBB8_102
.LBB8_98:                               ;   in Loop: Header=BB8_102 Depth=3
	s_or_b64 exec, exec, s[62:63]
	v_mov_b32_e32 v7, 0
	s_orn2_b64 s[60:61], s[60:61], exec
.LBB8_99:                               ;   in Loop: Header=BB8_102 Depth=3
	s_or_b64 exec, exec, s[58:59]
	s_and_b64 s[58:59], s[60:61], exec
	v_mov_b32_e32 v6, v7
.LBB8_100:                              ;   in Loop: Header=BB8_102 Depth=3
	s_or_b64 exec, exec, s[56:57]
	s_xor_b64 vcc, s[58:59], -1
	s_andn2_b64 s[24:25], s[24:25], exec
	s_and_b64 vcc, vcc, exec
	s_or_b64 s[24:25], s[24:25], vcc
.LBB8_101:                              ;   in Loop: Header=BB8_102 Depth=3
	s_or_b64 exec, exec, s[54:55]
	s_and_b64 vcc, exec, s[24:25]
	s_or_b64 s[22:23], vcc, s[22:23]
	s_andn2_b64 exec, exec, s[22:23]
	s_cbranch_execz .LBB8_107
.LBB8_102:                              ;   Parent Loop BB8_4 Depth=1
                                        ;     Parent Loop BB8_53 Depth=2
                                        ; =>    This Inner Loop Header: Depth=3
	flat_load_dwordx2 v[10:11], v[50:51] offset:48
	s_or_b64 s[24:25], s[24:25], exec
	s_waitcnt vmcnt(0) lgkmcnt(0)
	v_lshl_add_u64 v[10:11], v[10:11], 0, 8
	v_cmp_lt_u64_e32 vcc, v[10:11], v[4:5]
	s_and_saveexec_b64 s[54:55], vcc
	s_cbranch_execz .LBB8_101
; %bb.103:                              ;   in Loop: Header=BB8_102 Depth=3
	flat_load_dwordx2 v[10:11], v[50:51] offset:32
	v_and_b32_e32 v7, 64, v9
	v_cmp_eq_u32_e32 vcc, 0, v7
	s_mov_b64 s[58:59], 0
	s_waitcnt vmcnt(0) lgkmcnt(0)
	flat_load_dwordx2 v[10:11], v[10:11] sc0 sc1
	s_waitcnt vmcnt(0) lgkmcnt(0)
	flat_store_dwordx2 v[50:51], v[10:11] offset:48
	s_and_saveexec_b64 s[56:57], vcc
	s_cbranch_execz .LBB8_100
; %bb.104:                              ;   in Loop: Header=BB8_102 Depth=3
	v_add_u32_e32 v7, 1, v6
	v_cmp_lt_i32_e32 vcc, s38, v6
	s_mov_b64 s[60:61], -1
	s_and_saveexec_b64 s[58:59], vcc
	s_cbranch_execz .LBB8_99
; %bb.105:                              ;   in Loop: Header=BB8_102 Depth=3
	s_trap 2
	ds_read_b64 v[6:7], v0
	s_waitcnt vmcnt(0) lgkmcnt(0)
	flat_load_dword v6, v[6:7] sc0 sc1
	s_waitcnt vmcnt(0) lgkmcnt(0)
	buffer_inv sc0 sc1
	v_cmp_ne_u32_e32 vcc, 0, v6
	s_and_saveexec_b64 s[62:63], vcc
	s_cbranch_execz .LBB8_98
; %bb.106:                              ;   in Loop: Header=BB8_102 Depth=3
	v_or_b32_e32 v9, 64, v9
	s_xor_b64 s[60:61], exec, -1
	ds_write_b32 v0, v6
	s_trap 2
	s_branch .LBB8_98
.LBB8_107:                              ;   in Loop: Header=BB8_53 Depth=2
	s_or_b64 exec, exec, s[22:23]
	flat_load_dwordx2 v[4:5], v[50:51] offset:24
	flat_load_dword v7, v[50:51] offset:64
	ds_read_b32 v6, v0 offset:12
	v_and_b32_e32 v10, 7, v48
	s_waitcnt vmcnt(0) lgkmcnt(0)
	v_mad_i64_i32 v[4:5], s[22:23], v10, v7, v[4:5]
	v_ashrrev_i32_e32 v7, 31, v6
	v_lshl_add_u64 v[4:5], v[4:5], 0, v[6:7]
	ds_write_b64 v0, v[4:5] offset:584
.LBB8_108:                              ;   in Loop: Header=BB8_53 Depth=2
	s_or_b64 exec, exec, s[20:21]
	s_trap 2
	ds_read_b32 v4, v0
	ds_read_b64 v[42:43], v0
	v_and_b32_e32 v5, 1, v9
	v_cmp_eq_u32_e64 s[20:21], 1, v5
	s_waitcnt lgkmcnt(0)
	v_cmp_gt_i32_e32 vcc, 0, v4
	s_and_b64 s[24:25], vcc, s[20:21]
	s_and_saveexec_b64 s[22:23], s[24:25]
	s_cbranch_execz .LBB8_120
; %bb.109:                              ;   in Loop: Header=BB8_53 Depth=2
	ds_read_b64 v[4:5], v0 offset:40
	v_mov_b32_e32 v53, v8
	s_waitcnt lgkmcnt(0)
	v_lshl_add_u64 v[0:1], v[0:1], 0, v[4:5]
	v_lshl_add_u64 v[4:5], v[4:5], 0, v[52:53]
	v_cmp_lt_u64_e32 vcc, v[42:43], v[4:5]
	ds_write_b64 v0, v[0:1] offset:584
	s_and_saveexec_b64 s[24:25], vcc
	s_cbranch_execz .LBB8_111
; %bb.110:                              ;   in Loop: Header=BB8_53 Depth=2
	ds_read_b64 v[0:1], v0 offset:48
	v_mov_b64_e32 v[42:43], v[4:5]
	s_waitcnt lgkmcnt(0)
	v_lshl_add_u64 v[0:1], v[2:3], 0, v[0:1]
.LBB8_111:                              ;   in Loop: Header=BB8_53 Depth=2
	s_or_b64 exec, exec, s[24:25]
	ds_write_b64 v0, v[0:1]
	s_or_b64 exec, exec, s[22:23]
	s_and_saveexec_b64 s[22:23], s[12:13]
	s_xor_b64 s[22:23], exec, s[22:23]
	s_cbranch_execnz .LBB8_121
.LBB8_112:                              ;   in Loop: Header=BB8_53 Depth=2
	s_andn2_saveexec_b64 s[22:23], s[22:23]
	s_cbranch_execz .LBB8_114
.LBB8_113:                              ;   in Loop: Header=BB8_53 Depth=2
	s_waitcnt lgkmcnt(0)
	s_barrier
.LBB8_114:                              ;   in Loop: Header=BB8_53 Depth=2
	s_or_b64 exec, exec, s[22:23]
	ds_read_b32 v5, v0 offset:4
	ds_read2_b64 v[0:3], v0 offset0:17 offset1:26
	s_trap 2
	s_mov_b64 s[24:25], -1
	s_waitcnt lgkmcnt(0)
	ds_read_b32 v4, v0
	s_and_saveexec_b64 s[22:23], s[16:17]
	s_cbranch_execz .LBB8_116
; %bb.115:                              ;   in Loop: Header=BB8_53 Depth=2
	ds_read_b32 v6, v0 offset:584
	s_waitcnt lgkmcnt(0)
	v_and_b32_e32 v6, 15, v6
	v_cmp_eq_u32_e32 vcc, 0, v6
	s_orn2_b64 s[24:25], vcc, exec
.LBB8_116:                              ;   in Loop: Header=BB8_53 Depth=2
	s_or_b64 exec, exec, s[22:23]
	v_cmp_gt_i32_e32 vcc, 0, v5
	v_lshrrev_b32_e32 v5, 28, v5
	v_and_b32_e32 v5, 8, v5
	v_cndmask_b32_e64 v6, 2, 1, vcc
	v_cmp_eq_u64_e32 vcc, v[0:1], v[2:3]
	v_add_u32_e32 v53, v0, v5
	s_nop 0
	v_subbrev_co_u32_e32 v60, vcc, 0, v6, vcc
	v_cmp_lt_i32_e32 vcc, v32, v60
	s_and_saveexec_b64 s[22:23], vcc
	s_cbranch_execz .LBB8_118
; %bb.117:                              ;   in Loop: Header=BB8_53 Depth=2
	v_lshl_add_u32 v0, v32, 3, v53
	ds_read_b32 v0, v0 offset:584
	s_waitcnt lgkmcnt(0)
	v_and_b32_e32 v0, 15, v0
	v_cmp_eq_u32_e32 vcc, 0, v0
	s_and_b64 vcc, s[24:25], vcc
	s_andn2_b64 s[24:25], s[24:25], exec
	s_and_b64 vcc, vcc, exec
	s_or_b64 s[24:25], s[24:25], vcc
.LBB8_118:                              ;   in Loop: Header=BB8_53 Depth=2
	s_or_b64 exec, exec, s[22:23]
	s_xor_b64 s[24:25], s[24:25], -1
	s_waitcnt lgkmcnt(0)
	v_cmp_eq_u32_e32 vcc, 0, v4
	v_cndmask_b32_e64 v0, 0, 1, s[24:25]
	v_mov_b32_e32 v44, 0
	v_cndmask_b32_e32 v11, 0, v52, vcc
	s_mov_b64 s[22:23], -1
	;;#ASMSTART
	;;#ASMEND
	s_nop 0
	v_cmp_ne_u32_e32 vcc, 0, v0
	s_cbranch_vccz .LBB8_131
; %bb.119:                              ;   in Loop: Header=BB8_53 Depth=2
	v_mov_b32_e32 v45, v20
	v_mov_b32_e32 v4, v21
	s_and_saveexec_b64 s[24:25], s[22:23]
	s_cbranch_execnz .LBB8_171
	s_branch .LBB8_183
.LBB8_120:                              ;   in Loop: Header=BB8_53 Depth=2
	s_or_b64 exec, exec, s[22:23]
	s_and_saveexec_b64 s[22:23], s[12:13]
	s_xor_b64 s[22:23], exec, s[22:23]
	s_cbranch_execz .LBB8_112
.LBB8_121:                              ;   in Loop: Header=BB8_53 Depth=2
	s_and_saveexec_b64 s[24:25], s[14:15]
	s_cbranch_execz .LBB8_161
; %bb.122:                              ;   in Loop: Header=BB8_53 Depth=2
	s_mov_b64 s[56:57], exec
	v_mbcnt_lo_u32_b32 v0, s56, 0
	v_mbcnt_hi_u32_b32 v0, s57, v0
	v_cmp_eq_u32_e32 vcc, 0, v0
	s_waitcnt lgkmcnt(0)
	s_and_saveexec_b64 s[54:55], vcc
	s_cbranch_execz .LBB8_124
; %bb.123:                              ;   in Loop: Header=BB8_53 Depth=2
	s_bcnt1_i32_b64 vcc_lo, s[56:57]
	v_mov_b32_e32 v0, vcc_lo
	v_mov_b32_e32 v1, v8
	ds_add_u64 v0, v[0:1]
	s_trap 2
.LBB8_124:                              ;   in Loop: Header=BB8_53 Depth=2
	s_or_b64 exec, exec, s[54:55]
	s_trap 2
	ds_read_b64 v[0:1], v0
	v_lshl_add_u64 v[22:23], v[22:23], 0, 2
	s_waitcnt lgkmcnt(0)
	v_cmp_lt_u64_e32 vcc, v[0:1], v[22:23]
	s_and_saveexec_b64 s[54:55], vcc
	s_cbranch_execz .LBB8_160
; %bb.125:                              ;   in Loop: Header=BB8_53 Depth=2
	s_mov_b32 s66, 0
	s_mov_b64 s[56:57], 0
                                        ; implicit-def: $sgpr58_sgpr59
                                        ; implicit-def: $sgpr60_sgpr61
	s_branch .LBB8_127
.LBB8_126:                              ;   in Loop: Header=BB8_127 Depth=3
	s_or_b64 exec, exec, s[64:65]
	s_and_b64 vcc, exec, vcc
	s_or_b64 s[56:57], vcc, s[56:57]
	s_andn2_b64 vcc, s[58:59], exec
	s_and_b64 s[58:59], s[60:61], exec
	s_or_b64 s[58:59], vcc, s[58:59]
	s_andn2_b64 exec, exec, s[56:57]
	s_cbranch_execz .LBB8_158
.LBB8_127:                              ;   Parent Loop BB8_4 Depth=1
                                        ;     Parent Loop BB8_53 Depth=2
                                        ; =>    This Inner Loop Header: Depth=3
	s_add_i32 s66, s66, 1
	s_cmpk_lg_i32 s66, 0x2710
	s_cselect_b64 s[62:63], -1, 0
	s_and_b64 vcc, exec, s[62:63]
                                        ; implicit-def: $sgpr64_sgpr65
	s_cbranch_vccnz .LBB8_129
; %bb.128:                              ;   in Loop: Header=BB8_127 Depth=3
	s_trap 2
	ds_read_b64 v[0:1], v0
	s_andn2_b64 s[62:63], s[62:63], exec
	s_mov_b32 s66, 0
	s_mov_b64 s[64:65], -1
	s_waitcnt lgkmcnt(0)
	flat_load_dword v0, v[0:1] sc0 sc1
	s_waitcnt vmcnt(0) lgkmcnt(0)
	buffer_inv sc0 sc1
	v_cmp_eq_u32_e32 vcc, 0, v0
	s_and_b64 vcc, vcc, exec
	s_or_b64 s[62:63], s[62:63], vcc
.LBB8_129:                              ;   in Loop: Header=BB8_127 Depth=3
	s_andn2_b64 s[60:61], s[60:61], exec
	s_and_b64 s[64:65], s[64:65], exec
	s_mov_b64 vcc, -1
	s_or_b64 s[60:61], s[60:61], s[64:65]
	s_and_saveexec_b64 s[64:65], s[62:63]
	s_cbranch_execz .LBB8_126
; %bb.130:                              ;   in Loop: Header=BB8_127 Depth=3
	s_sleep 1
	s_trap 2
	ds_read_b64 v[0:1], v0
	s_andn2_b64 s[60:61], s[60:61], exec
	s_waitcnt lgkmcnt(0)
	v_cmp_ge_u64_e32 vcc, v[0:1], v[22:23]
	s_orn2_b64 vcc, vcc, exec
	s_branch .LBB8_126
.LBB8_131:                              ;   in Loop: Header=BB8_53 Depth=2
	v_lshrrev_b32_e32 v0, 11, v11
	v_sub_u32_e32 v10, v0, v21
	v_cmp_lt_i32_e32 vcc, 0, v10
	s_and_saveexec_b64 s[24:25], vcc
	s_cbranch_execz .LBB8_137
; %bb.132:                              ;   in Loop: Header=BB8_53 Depth=2
	ds_read_b64 v[44:45], v0 offset:584
	ds_read_b64 v[46:47], v53 offset:584
	v_accvgpr_read_b32 v59, a7
	v_accvgpr_read_b32 v57, a7
	v_cmp_lt_u32_e32 vcc, 1, v60
	s_mov_b64 s[54:55], 0
	v_accvgpr_read_b32 v58, a6
	v_accvgpr_read_b32 v56, a6
	s_branch .LBB8_134
.LBB8_133:                              ;   in Loop: Header=BB8_134 Depth=3
	s_or_b64 exec, exec, s[22:23]
	v_sub_u32_e32 v10, v10, v16
	v_cmp_gt_i32_e64 s[22:23], 1, v10
	v_lshl_add_u64 v[58:59], v[58:59], 0, v[26:27]
	s_or_b64 s[54:55], s[22:23], s[54:55]
	v_lshl_add_u64 v[56:57], v[56:57], 0, v[28:29]
	s_andn2_b64 exec, exec, s[54:55]
	s_cbranch_execz .LBB8_136
.LBB8_134:                              ;   Parent Loop BB8_4 Depth=1
                                        ;     Parent Loop BB8_53 Depth=2
                                        ; =>    This Inner Loop Header: Depth=3
	s_waitcnt lgkmcnt(0)
	v_lshl_add_u64 v[0:1], v[44:45], 0, v[56:57]
	global_load_dwordx4 v[4:7], v[0:1], off nt
	s_nop 0
	global_load_dwordx4 v[0:3], v[0:1], off offset:1024 nt
	s_waitcnt lgkmcnt(0)
	v_lshl_add_u64 v[24:25], v[46:47], 0, v[56:57]
	s_waitcnt vmcnt(0)
	global_store_dwordx4 v[24:25], v[4:7], off nt
	s_waitcnt vmcnt(1)
	global_store_dwordx4 v[24:25], v[0:3], off offset:1024 nt
	s_and_saveexec_b64 s[22:23], vcc
	s_cbranch_execz .LBB8_133
; %bb.135:                              ;   in Loop: Header=BB8_134 Depth=3
	ds_read_b64 v[24:25], v53 offset:592
	s_waitcnt lgkmcnt(0)
	v_lshl_add_u64 v[24:25], v[58:59], 0, v[24:25]
	global_store_dwordx4 v[24:25], v[4:7], off nt
	global_store_dwordx4 v[24:25], v[0:3], off offset:1024 nt
	s_branch .LBB8_133
.LBB8_136:                              ;   in Loop: Header=BB8_53 Depth=2
	s_or_b64 exec, exec, s[54:55]
.LBB8_137:                              ;   in Loop: Header=BB8_53 Depth=2
	s_or_b64 exec, exec, s[24:25]
	v_and_b32_e32 v0, 0x7ffff800, v11
	v_cmp_ne_u32_e32 vcc, v0, v11
	s_mov_b64 s[22:23], 0
	v_mov_b32_e32 v44, 0
                                        ; implicit-def: $vgpr45
                                        ; implicit-def: $vgpr4
	s_and_saveexec_b64 s[54:55], vcc
	s_cbranch_execz .LBB8_170
; %bb.138:                              ;   in Loop: Header=BB8_53 Depth=2
	v_lshlrev_b32_e32 v1, 6, v10
	v_sub_u32_e32 v1, v32, v1
	v_ashrrev_i32_e32 v3, 31, v1
	v_lshrrev_b32_e32 v3, 26, v3
	v_add_u32_e32 v3, v1, v3
	v_ashrrev_i32_e32 v4, 6, v3
	v_and_b32_e32 v3, 0xffffffc0, v3
	v_and_b32_e32 v2, 0x7ff, v11
	v_sub_u32_e32 v56, v1, v3
	v_and_b32_e32 v5, 0x400, v11
	v_lshlrev_b32_e32 v1, 4, v56
	v_sub_u32_e32 v58, v2, v5
	v_lshl_add_u32 v1, v4, 10, v1
	v_bfe_u32 v3, v11, 10, 1
	v_cmp_lt_i32_e32 vcc, 15, v58
	v_sub_u32_e32 v10, v2, v1
	s_nop 0
	v_addc_co_u32_e64 v2, s[22:23], 0, v3, vcc
	v_sub_u32_e32 v57, v2, v4
	v_cmp_lt_i32_e64 s[22:23], 15, v10
	s_and_saveexec_b64 s[56:57], s[22:23]
	s_cbranch_execz .LBB8_167
; %bb.139:                              ;   in Loop: Header=BB8_53 Depth=2
	ds_read_b64 v[6:7], v53 offset:584
	ds_read_b64 v[44:45], v0 offset:584
	v_add_u32_e32 v4, v1, v0
	v_ashrrev_i32_e32 v5, 31, v4
	v_cmp_lt_i32_e64 s[22:23], 1, v60
	s_mov_b64 s[58:59], 0
	v_mov_b64_e32 v[46:47], v[4:5]
	s_branch .LBB8_141
.LBB8_140:                              ;   in Loop: Header=BB8_141 Depth=3
	s_or_b64 exec, exec, s[24:25]
	v_sub_u32_e32 v10, v10, v30
	v_cmp_gt_i32_e64 s[24:25], 16, v10
	v_sub_u32_e32 v57, v57, v16
	v_lshl_add_u64 v[46:47], v[46:47], 0, v[30:31]
	s_or_b64 s[58:59], s[24:25], s[58:59]
	v_lshl_add_u64 v[4:5], v[4:5], 0, v[14:15]
	s_andn2_b64 exec, exec, s[58:59]
	s_cbranch_execz .LBB8_166
.LBB8_141:                              ;   Parent Loop BB8_4 Depth=1
                                        ;     Parent Loop BB8_53 Depth=2
                                        ; =>    This Inner Loop Header: Depth=3
	s_waitcnt lgkmcnt(0)
	v_lshl_add_u64 v[0:1], v[44:45], 0, v[4:5]
	global_load_dwordx4 v[0:3], v[0:1], off nt
	v_lshl_add_u64 v[24:25], v[6:7], 0, v[4:5]
	s_waitcnt vmcnt(0)
	global_store_dwordx4 v[24:25], v[0:3], off nt
	s_and_saveexec_b64 s[24:25], s[22:23]
	s_cbranch_execz .LBB8_140
; %bb.142:                              ;   in Loop: Header=BB8_141 Depth=3
	ds_read_b64 v[24:25], v53 offset:592
	s_waitcnt lgkmcnt(0)
	v_lshl_add_u64 v[24:25], v[46:47], 0, v[24:25]
	global_store_dwordx4 v[24:25], v[0:3], off nt
	s_branch .LBB8_140
.LBB8_143:                              ;   in Loop: Header=BB8_53 Depth=2
	s_or_b64 exec, exec, s[50:51]
	s_and_saveexec_b64 vcc, s[52:53]
	s_xor_b64 vcc, exec, vcc
	s_cbranch_execz .LBB8_145
; %bb.144:                              ;   in Loop: Header=BB8_53 Depth=2
	ds_write_b32 v0, v12
	s_trap 2
.LBB8_145:                              ;   in Loop: Header=BB8_53 Depth=2
	s_or_b64 exec, exec, s[48:49]
	;;#ASMSTART
	s_wakeup
	;;#ASMEND
.LBB8_146:                              ;   in Loop: Header=BB8_53 Depth=2
	s_or_b64 exec, exec, s[24:25]
	s_andn2_saveexec_b64 s[22:23], s[22:23]
	s_cbranch_execnz .LBB8_84
.LBB8_147:                              ;   in Loop: Header=BB8_53 Depth=2
	s_or_b64 exec, exec, s[22:23]
	s_and_saveexec_b64 s[22:23], s[12:13]
	s_xor_b64 s[22:23], exec, s[22:23]
	s_cbranch_execz .LBB8_85
.LBB8_148:                              ;   in Loop: Header=BB8_53 Depth=2
	s_and_saveexec_b64 s[24:25], s[14:15]
	s_cbranch_execz .LBB8_165
; %bb.149:                              ;   in Loop: Header=BB8_53 Depth=2
	s_mov_b64 s[50:51], exec
	v_mbcnt_lo_u32_b32 v0, s50, 0
	v_mbcnt_hi_u32_b32 v0, s51, v0
	v_cmp_eq_u32_e32 vcc, 0, v0
	s_waitcnt lgkmcnt(0)
	s_and_saveexec_b64 s[48:49], vcc
	s_cbranch_execz .LBB8_151
; %bb.150:                              ;   in Loop: Header=BB8_53 Depth=2
	s_bcnt1_i32_b64 vcc_lo, s[50:51]
	v_mov_b32_e32 v0, vcc_lo
	v_mov_b32_e32 v1, v8
	ds_add_u64 v0, v[0:1]
	s_trap 2
.LBB8_151:                              ;   in Loop: Header=BB8_53 Depth=2
	s_or_b64 exec, exec, s[48:49]
	s_trap 2
	ds_read_b64 v[0:1], v0
	v_lshl_add_u64 v[22:23], v[22:23], 0, 2
	s_waitcnt lgkmcnt(0)
	v_cmp_lt_u64_e32 vcc, v[0:1], v[22:23]
	s_and_saveexec_b64 s[48:49], vcc
	s_cbranch_execz .LBB8_164
; %bb.152:                              ;   in Loop: Header=BB8_53 Depth=2
	s_mov_b32 s60, 0
	s_mov_b64 s[50:51], 0
                                        ; implicit-def: $sgpr52_sgpr53
                                        ; implicit-def: $sgpr54_sgpr55
	s_branch .LBB8_154
.LBB8_153:                              ;   in Loop: Header=BB8_154 Depth=3
	s_or_b64 exec, exec, s[58:59]
	s_and_b64 vcc, exec, vcc
	s_or_b64 s[50:51], vcc, s[50:51]
	s_andn2_b64 vcc, s[52:53], exec
	s_and_b64 s[52:53], s[54:55], exec
	s_or_b64 s[52:53], vcc, s[52:53]
	s_andn2_b64 exec, exec, s[50:51]
	s_cbranch_execz .LBB8_162
.LBB8_154:                              ;   Parent Loop BB8_4 Depth=1
                                        ;     Parent Loop BB8_53 Depth=2
                                        ; =>    This Inner Loop Header: Depth=3
	s_add_i32 s60, s60, 1
	s_cmpk_lg_i32 s60, 0x2710
	s_cselect_b64 s[56:57], -1, 0
	s_and_b64 vcc, exec, s[56:57]
                                        ; implicit-def: $sgpr58_sgpr59
	s_cbranch_vccnz .LBB8_156
; %bb.155:                              ;   in Loop: Header=BB8_154 Depth=3
	s_trap 2
	ds_read_b64 v[0:1], v0
	s_andn2_b64 s[56:57], s[56:57], exec
	s_mov_b32 s60, 0
	s_mov_b64 s[58:59], -1
	s_waitcnt lgkmcnt(0)
	flat_load_dword v0, v[0:1] sc0 sc1
	s_waitcnt vmcnt(0) lgkmcnt(0)
	buffer_inv sc0 sc1
	v_cmp_eq_u32_e32 vcc, 0, v0
	s_and_b64 vcc, vcc, exec
	s_or_b64 s[56:57], s[56:57], vcc
.LBB8_156:                              ;   in Loop: Header=BB8_154 Depth=3
	s_andn2_b64 s[54:55], s[54:55], exec
	s_and_b64 s[58:59], s[58:59], exec
	s_mov_b64 vcc, -1
	s_or_b64 s[54:55], s[54:55], s[58:59]
	s_and_saveexec_b64 s[58:59], s[56:57]
	s_cbranch_execz .LBB8_153
; %bb.157:                              ;   in Loop: Header=BB8_154 Depth=3
	s_sleep 1
	s_trap 2
	ds_read_b64 v[0:1], v0
	s_andn2_b64 s[54:55], s[54:55], exec
	s_waitcnt lgkmcnt(0)
	v_cmp_ge_u64_e32 vcc, v[0:1], v[22:23]
	s_orn2_b64 vcc, vcc, exec
	s_branch .LBB8_153
.LBB8_158:                              ;   in Loop: Header=BB8_53 Depth=2
	s_or_b64 exec, exec, s[56:57]
	s_and_saveexec_b64 vcc, s[58:59]
	s_xor_b64 vcc, exec, vcc
	s_cbranch_execz .LBB8_160
; %bb.159:                              ;   in Loop: Header=BB8_53 Depth=2
	ds_write_b32 v0, v12
	s_trap 2
.LBB8_160:                              ;   in Loop: Header=BB8_53 Depth=2
	s_or_b64 exec, exec, s[54:55]
	;;#ASMSTART
	s_wakeup
	;;#ASMEND
.LBB8_161:                              ;   in Loop: Header=BB8_53 Depth=2
	s_or_b64 exec, exec, s[24:25]
	s_andn2_saveexec_b64 s[22:23], s[22:23]
	s_cbranch_execnz .LBB8_113
	s_branch .LBB8_114
.LBB8_162:                              ;   in Loop: Header=BB8_53 Depth=2
	s_or_b64 exec, exec, s[50:51]
	s_and_saveexec_b64 vcc, s[52:53]
	s_xor_b64 vcc, exec, vcc
	s_cbranch_execz .LBB8_164
; %bb.163:                              ;   in Loop: Header=BB8_53 Depth=2
	ds_write_b32 v0, v12
	s_trap 2
.LBB8_164:                              ;   in Loop: Header=BB8_53 Depth=2
	s_or_b64 exec, exec, s[48:49]
	;;#ASMSTART
	s_wakeup
	;;#ASMEND
.LBB8_165:                              ;   in Loop: Header=BB8_53 Depth=2
	s_or_b64 exec, exec, s[24:25]
	s_andn2_saveexec_b64 s[22:23], s[22:23]
	s_cbranch_execnz .LBB8_86
	s_branch .LBB8_87
.LBB8_166:                              ;   in Loop: Header=BB8_53 Depth=2
	s_or_b64 exec, exec, s[58:59]
.LBB8_167:                              ;   in Loop: Header=BB8_53 Depth=2
	s_or_b64 exec, exec, s[56:57]
	v_and_b32_e32 v1, 15, v11
	v_cndmask_b32_e32 v0, v58, v1, vcc
	v_cmp_ne_u32_e64 s[22:23], 0, v0
	s_mov_b64 s[24:25], 0
	v_mov_b32_e32 v44, 0
                                        ; implicit-def: $vgpr45
                                        ; implicit-def: $vgpr4
	s_and_saveexec_b64 s[56:57], s[22:23]
	s_cbranch_execz .LBB8_169
; %bb.168:                              ;   in Loop: Header=BB8_53 Depth=2
	v_sub_u32_e32 v1, v58, v1
	v_and_b32_e32 v2, 0x7ffffc00, v11
	v_cndmask_b32_e32 v1, 0, v1, vcc
	v_cmp_lt_i32_e32 vcc, 0, v57
	v_add_u32_e32 v44, v1, v2
	s_mov_b64 s[24:25], exec
	v_cndmask_b32_e32 v1, 0, v16, vcc
	v_sub_u32_e32 v1, v1, v57
	v_lshl_add_u32 v45, v1, 6, v56
	v_ashrrev_i32_e32 v1, 31, v45
	v_lshrrev_b32_e32 v1, 26, v1
	v_add_u32_e32 v1, v45, v1
	v_ashrrev_i32_e32 v4, 6, v1
.LBB8_169:                              ;   in Loop: Header=BB8_53 Depth=2
	s_or_b64 exec, exec, s[56:57]
	s_and_b64 s[22:23], s[24:25], exec
	v_mov_b32_e32 v11, v0
.LBB8_170:                              ;   in Loop: Header=BB8_53 Depth=2
	s_or_b64 exec, exec, s[54:55]
	s_and_saveexec_b64 s[24:25], s[22:23]
	s_cbranch_execz .LBB8_183
.LBB8_171:                              ;   in Loop: Header=BB8_53 Depth=2
	v_ashrrev_i32_e32 v0, 31, v11
	v_lshrrev_b32_e32 v0, 23, v0
	v_add_u32_e32 v0, v11, v0
	v_ashrrev_i32_e32 v56, 9, v0
	v_sub_u32_e32 v46, v56, v4
	v_ashrrev_i32_e32 v0, 31, v45
	v_cmp_lt_i32_e32 vcc, 0, v46
	v_lshrrev_b32_e32 v47, 26, v0
	s_and_saveexec_b64 s[54:55], vcc
	s_cbranch_execz .LBB8_177
; %bb.172:                              ;   in Loop: Header=BB8_53 Depth=2
	ds_read_b64 v[0:1], v0 offset:584
	ds_read_b64 v[2:3], v53 offset:584
	v_add_u32_e32 v5, v45, v47
	v_and_b32_e32 v5, 0xffffffc0, v5
	v_sub_u32_e32 v5, v45, v5
	v_lshlrev_b32_e32 v4, 9, v4
	v_add3_u32 v4, v5, v4, v44
	v_accvgpr_write_b32 a4, v32
	v_accvgpr_write_b32 a3, v21
	v_ashrrev_i32_e32 v5, 31, v4
	v_cmp_lt_i32_e32 vcc, 1, v60
	s_mov_b64 s[56:57], 0
	v_mov_b64_e32 v[6:7], 0
	s_branch .LBB8_174
.LBB8_173:                              ;   in Loop: Header=BB8_174 Depth=3
	s_or_b64 exec, exec, s[22:23]
	v_sub_u32_e32 v46, v46, v16
	v_cmp_gt_i32_e64 s[22:23], 1, v46
	v_lshl_add_u64 v[6:7], v[6:7], 0, v[34:35]
	v_lshl_add_u64 v[0:1], v[0:1], 0, v[36:37]
	s_or_b64 s[56:57], s[22:23], s[56:57]
	v_lshl_add_u64 v[2:3], v[2:3], 0, v[36:37]
	s_andn2_b64 exec, exec, s[56:57]
	s_cbranch_execz .LBB8_176
.LBB8_174:                              ;   Parent Loop BB8_4 Depth=1
                                        ;     Parent Loop BB8_53 Depth=2
                                        ; =>    This Inner Loop Header: Depth=3
	s_waitcnt lgkmcnt(0)
	v_lshl_add_u64 v[14:15], v[4:5], 0, v[0:1]
	flat_load_ubyte v10, v[14:15] nt
	flat_load_ubyte v57, v[14:15] offset:64 nt
	flat_load_ubyte v58, v[14:15] offset:128 nt
	;; [unrolled: 1-line block ×6, first 2 shown]
	s_nop 0
	flat_load_ubyte v14, v[14:15] offset:448 nt
	s_waitcnt lgkmcnt(0)
	v_lshl_add_u64 v[20:21], v[4:5], 0, v[2:3]
	s_waitcnt vmcnt(0)
	flat_store_byte v[20:21], v10 nt
	flat_store_byte v[20:21], v57 offset:64 nt
	flat_store_byte v[20:21], v58 offset:128 nt
	;; [unrolled: 1-line block ×7, first 2 shown]
	s_and_saveexec_b64 s[22:23], vcc
	s_cbranch_execz .LBB8_173
; %bb.175:                              ;   in Loop: Header=BB8_174 Depth=3
	ds_read_b64 v[20:21], v53 offset:592
	v_lshl_add_u64 v[32:33], v[4:5], 0, v[6:7]
	s_waitcnt lgkmcnt(0)
	v_lshl_add_u64 v[20:21], v[32:33], 0, v[20:21]
	flat_store_byte v[20:21], v10 nt
	flat_store_byte v[20:21], v57 offset:64 nt
	flat_store_byte v[20:21], v58 offset:128 nt
	;; [unrolled: 1-line block ×7, first 2 shown]
	s_branch .LBB8_173
.LBB8_176:                              ;   in Loop: Header=BB8_53 Depth=2
	s_or_b64 exec, exec, s[56:57]
	v_accvgpr_read_b32 v21, a26             ;  Reload Reuse
	v_mov_b32_e32 v33, -1
	v_accvgpr_read_b32 v20, a27             ;  Reload Reuse
	v_accvgpr_read_b32 v21, a3
	v_accvgpr_read_b32 v32, a4
.LBB8_177:                              ;   in Loop: Header=BB8_53 Depth=2
	s_or_b64 exec, exec, s[54:55]
	v_lshlrev_b32_e32 v0, 9, v56
	v_cmp_ne_u32_e32 vcc, v11, v0
	s_and_b64 exec, exec, vcc
	s_cbranch_execz .LBB8_183
; %bb.178:                              ;   in Loop: Header=BB8_53 Depth=2
	v_add_u32_e32 v1, v45, v47
	v_and_b32_e32 v1, 0xffffffc0, v1
	v_sub_u32_e32 v1, v45, v1
	v_lshlrev_b32_e32 v2, 6, v46
	v_sub_u32_e32 v1, v1, v2
	v_add_u32_e32 v0, v0, v1
	v_sub_u32_e32 v10, v11, v0
	v_cmp_lt_i32_e32 vcc, 0, v10
	s_and_b64 exec, exec, vcc
	s_cbranch_execz .LBB8_183
; %bb.179:                              ;   in Loop: Header=BB8_53 Depth=2
	v_add_u32_e32 v0, v0, v44
	ds_read_b64 v[2:3], v53 offset:584
	ds_read_b64 v[4:5], v0 offset:584
	v_ashrrev_i32_e32 v1, 31, v0
	v_cmp_lt_i32_e32 vcc, 1, v60
	s_mov_b64 s[54:55], 0
	v_mov_b64_e32 v[6:7], v[0:1]
	s_branch .LBB8_181
.LBB8_180:                              ;   in Loop: Header=BB8_181 Depth=3
	s_or_b64 exec, exec, s[22:23]
	v_sub_u32_e32 v10, v10, v18
	v_cmp_gt_i32_e64 s[22:23], 1, v10
	v_lshl_add_u64 v[6:7], v[6:7], 0, v[18:19]
	s_or_b64 s[54:55], s[22:23], s[54:55]
	v_lshl_add_u64 v[0:1], v[0:1], 0, v[38:39]
	s_andn2_b64 exec, exec, s[54:55]
	s_cbranch_execz .LBB8_183
.LBB8_181:                              ;   Parent Loop BB8_4 Depth=1
                                        ;     Parent Loop BB8_53 Depth=2
                                        ; =>    This Inner Loop Header: Depth=3
	s_waitcnt lgkmcnt(0)
	v_lshl_add_u64 v[14:15], v[4:5], 0, v[0:1]
	flat_load_ubyte v11, v[14:15] nt
	v_lshl_add_u64 v[14:15], v[2:3], 0, v[0:1]
	s_waitcnt vmcnt(0) lgkmcnt(0)
	flat_store_byte v[14:15], v11 nt
	s_and_saveexec_b64 s[22:23], vcc
	s_cbranch_execz .LBB8_180
; %bb.182:                              ;   in Loop: Header=BB8_181 Depth=3
	ds_read_b64 v[14:15], v53 offset:592
	s_waitcnt lgkmcnt(0)
	v_lshl_add_u64 v[14:15], v[6:7], 0, v[14:15]
	flat_store_byte v[14:15], v11 nt
	s_branch .LBB8_180
.LBB8_183:                              ;   in Loop: Header=BB8_53 Depth=2
	s_or_b64 exec, exec, s[24:25]
	v_cmp_ne_u32_e32 vcc, 0, v55
	v_and_b32_e32 v0, 16, v9
	s_and_b64 s[22:23], vcc, s[52:53]
	v_cmp_ne_u32_e32 vcc, 0, v0
	s_and_b64 s[22:23], s[22:23], vcc
	s_and_saveexec_b64 s[24:25], s[22:23]
	s_cbranch_execz .LBB8_187
; %bb.184:                              ;   in Loop: Header=BB8_53 Depth=2
	flat_load_dwordx2 v[0:1], v[50:51] offset:16
	s_waitcnt vmcnt(0) lgkmcnt(0)
	v_cmp_ne_u64_e32 vcc, 0, v[0:1]
	s_and_saveexec_b64 s[52:53], vcc
	s_cbranch_execz .LBB8_186
; %bb.185:                              ;   in Loop: Header=BB8_53 Depth=2
	ds_read_b32 v2, v0 offset:12
	v_and_b32_e32 v3, 7, v48
	v_mad_u64_u32 v[0:1], vcc, v3, 24, v[0:1]
	s_waitcnt lgkmcnt(0)
	v_add_u32_e32 v2, v2, v52
	v_ashrrev_i32_e32 v3, 31, v2
	flat_store_dwordx2 v[0:1], v[2:3] offset:8
.LBB8_186:                              ;   in Loop: Header=BB8_53 Depth=2
	s_or_b64 exec, exec, s[52:53]
	flat_load_dwordx2 v[0:1], v[50:51] offset:8
	v_mov_b64_e32 v[48:49], v[40:41]
	flat_store_dwordx2 v[50:51], v[40:41]
	s_waitcnt vmcnt(0) lgkmcnt(0)
	flat_store_dwordx2 v[0:1], v[40:41] offset:104 nt
.LBB8_187:                              ;   in Loop: Header=BB8_53 Depth=2
	s_or_b64 exec, exec, s[24:25]
	v_cmp_ne_u32_e32 vcc, 0, v54
	v_and_b32_e32 v0, 32, v9
	s_and_b64 s[24:25], s[50:51], vcc
	v_cmp_ne_u32_e32 vcc, 0, v0
	s_and_b64 s[24:25], s[24:25], vcc
	s_mov_b64 vcc, exec
	v_accvgpr_read_b32 v15, a9
	s_and_b64 s[50:51], vcc, s[24:25]
	v_accvgpr_read_b32 v14, a8
	s_mov_b64 exec, s[50:51]
	s_cbranch_execz .LBB8_189
; %bb.188:                              ;   in Loop: Header=BB8_53 Depth=2
	flat_load_dwordx2 v[0:1], v[50:51] offset:8
	v_lshl_add_u64 v[48:49], v[48:49], 0, 1
	flat_store_dwordx2 v[50:51], v[48:49]
	s_waitcnt vmcnt(0) lgkmcnt(0)
	flat_store_dwordx2 v[0:1], v[48:49] offset:104 nt
.LBB8_189:                              ;   in Loop: Header=BB8_53 Depth=2
	s_or_b64 exec, exec, vcc
	ds_read_b32 v0, v0
	s_waitcnt lgkmcnt(0)
	v_cmp_lt_i32_e32 vcc, -1, v0
	s_and_saveexec_b64 s[50:51], vcc
	s_xor_b64 s[50:51], exec, s[50:51]
	s_cbranch_execz .LBB8_204
; %bb.190:                              ;   in Loop: Header=BB8_53 Depth=2
	v_and_b32_e32 v0, 4, v9
	v_cmp_ne_u32_e32 vcc, 0, v0
	s_and_saveexec_b64 s[52:53], vcc
	s_cbranch_execz .LBB8_192
; %bb.191:                              ;   in Loop: Header=BB8_53 Depth=2
	flat_load_dword v4, v[50:51] offset:64
	ds_read2_b32 v[0:1], v0 offset0:2 offset1:4
	s_waitcnt lgkmcnt(0)
	v_add_u32_e32 v0, v0, v52
	v_ashrrev_i32_e32 v3, 31, v1
	v_mov_b32_e32 v2, v1
	v_ashrrev_i32_e32 v1, 31, v0
	v_lshl_add_u64 v[2:3], v[48:49], 0, v[2:3]
	s_waitcnt vmcnt(0)
	v_ashrrev_i32_e32 v5, 31, v4
	v_mad_u64_u32 v[0:1], vcc, v2, v4, v[0:1]
	v_mul_lo_u32 v2, v2, v5
	v_mul_lo_u32 v3, v3, v4
	v_add3_u32 v1, v3, v1, v2
	flat_atomic_smax_x2 v[50:51], v[0:1] offset:56
.LBB8_192:                              ;   in Loop: Header=BB8_53 Depth=2
	s_or_b64 exec, exec, s[52:53]
                                        ; implicit-def: $vgpr42_vgpr43
	s_andn2_saveexec_b64 s[50:51], s[50:51]
	s_cbranch_execnz .LBB8_205
.LBB8_193:                              ;   in Loop: Header=BB8_53 Depth=2
	s_or_b64 exec, exec, s[50:51]
	s_and_saveexec_b64 s[20:21], s[12:13]
	s_xor_b64 s[20:21], exec, s[20:21]
	s_cbranch_execz .LBB8_211
.LBB8_194:                              ;   in Loop: Header=BB8_53 Depth=2
	s_and_saveexec_b64 s[50:51], s[14:15]
	s_cbranch_execz .LBB8_220
; %bb.195:                              ;   in Loop: Header=BB8_53 Depth=2
	s_mov_b64 s[54:55], exec
	v_mbcnt_lo_u32_b32 v0, s54, 0
	v_mbcnt_hi_u32_b32 v0, s55, v0
	v_cmp_eq_u32_e32 vcc, 0, v0
	s_waitcnt lgkmcnt(0)
	s_and_saveexec_b64 s[52:53], vcc
	s_cbranch_execz .LBB8_197
; %bb.196:                              ;   in Loop: Header=BB8_53 Depth=2
	s_bcnt1_i32_b64 vcc_lo, s[54:55]
	v_mov_b32_e32 v0, vcc_lo
	v_mov_b32_e32 v1, v8
	ds_add_u64 v0, v[0:1]
	s_trap 2
.LBB8_197:                              ;   in Loop: Header=BB8_53 Depth=2
	s_or_b64 exec, exec, s[52:53]
	s_trap 2
	ds_read_b64 v[0:1], v0
	v_lshl_add_u64 v[22:23], v[22:23], 0, 2
	s_waitcnt lgkmcnt(0)
	v_cmp_lt_u64_e32 vcc, v[0:1], v[22:23]
	s_and_saveexec_b64 s[52:53], vcc
	s_cbranch_execz .LBB8_219
; %bb.198:                              ;   in Loop: Header=BB8_53 Depth=2
	s_mov_b32 s64, 0
	s_mov_b64 s[54:55], 0
                                        ; implicit-def: $sgpr56_sgpr57
                                        ; implicit-def: $sgpr58_sgpr59
	s_branch .LBB8_200
.LBB8_199:                              ;   in Loop: Header=BB8_200 Depth=3
	s_or_b64 exec, exec, s[62:63]
	s_and_b64 vcc, exec, vcc
	s_or_b64 s[54:55], vcc, s[54:55]
	s_andn2_b64 vcc, s[56:57], exec
	s_and_b64 s[56:57], s[58:59], exec
	s_or_b64 s[56:57], vcc, s[56:57]
	s_andn2_b64 exec, exec, s[54:55]
	s_cbranch_execz .LBB8_217
.LBB8_200:                              ;   Parent Loop BB8_4 Depth=1
                                        ;     Parent Loop BB8_53 Depth=2
                                        ; =>    This Inner Loop Header: Depth=3
	s_add_i32 s64, s64, 1
	s_cmpk_lg_i32 s64, 0x2710
	s_cselect_b64 s[60:61], -1, 0
	s_and_b64 vcc, exec, s[60:61]
                                        ; implicit-def: $sgpr62_sgpr63
	s_cbranch_vccnz .LBB8_202
; %bb.201:                              ;   in Loop: Header=BB8_200 Depth=3
	s_trap 2
	ds_read_b64 v[0:1], v0
	s_andn2_b64 s[60:61], s[60:61], exec
	s_mov_b32 s64, 0
	s_mov_b64 s[62:63], -1
	s_waitcnt vmcnt(0) lgkmcnt(0)
	flat_load_dword v0, v[0:1] sc0 sc1
	s_waitcnt vmcnt(0) lgkmcnt(0)
	buffer_inv sc0 sc1
	v_cmp_eq_u32_e32 vcc, 0, v0
	s_and_b64 vcc, vcc, exec
	s_or_b64 s[60:61], s[60:61], vcc
.LBB8_202:                              ;   in Loop: Header=BB8_200 Depth=3
	s_andn2_b64 s[58:59], s[58:59], exec
	s_and_b64 s[62:63], s[62:63], exec
	s_mov_b64 vcc, -1
	s_or_b64 s[58:59], s[58:59], s[62:63]
	s_and_saveexec_b64 s[62:63], s[60:61]
	s_cbranch_execz .LBB8_199
; %bb.203:                              ;   in Loop: Header=BB8_200 Depth=3
	s_sleep 1
	s_trap 2
	ds_read_b64 v[0:1], v0
	s_andn2_b64 s[58:59], s[58:59], exec
	s_waitcnt lgkmcnt(0)
	v_cmp_ge_u64_e32 vcc, v[0:1], v[22:23]
	s_orn2_b64 vcc, vcc, exec
	s_branch .LBB8_199
.LBB8_204:                              ;   in Loop: Header=BB8_53 Depth=2
	s_andn2_saveexec_b64 s[50:51], s[50:51]
	s_cbranch_execz .LBB8_193
.LBB8_205:                              ;   in Loop: Header=BB8_53 Depth=2
	s_and_saveexec_b64 s[52:53], s[20:21]
	s_cbranch_execz .LBB8_210
; %bb.206:                              ;   in Loop: Header=BB8_53 Depth=2
	s_mov_b64 s[54:55], exec
	s_mov_b64 s[20:21], s[26:27]
.LBB8_207:                              ;   Parent Loop BB8_4 Depth=1
                                        ;     Parent Loop BB8_53 Depth=2
                                        ; =>    This Inner Loop Header: Depth=3
	s_ff1_i32_b64 s56, s[54:55]
	v_readlane_b32 s57, v43, s56
	v_readlane_b32 s58, v42, s56
	s_nop 0
	v_mov_b32_e32 v1, s57
	v_mov_b32_e32 v0, s58
	v_cmp_gt_i64_e32 vcc, s[20:21], v[0:1]
	s_and_b64 vcc, vcc, exec
	s_cselect_b32 s21, s21, s57
	s_cselect_b32 s20, s20, s58
	s_lshl_b64 vcc, 1, s56
	s_andn2_b64 s[54:55], s[54:55], vcc
	s_cmp_lg_u64 s[54:55], 0
	s_cbranch_scc1 .LBB8_207
; %bb.208:                              ;   in Loop: Header=BB8_53 Depth=2
	v_mbcnt_lo_u32_b32 v0, exec_lo, 0
	v_mbcnt_hi_u32_b32 v0, exec_hi, v0
	v_cmp_eq_u32_e32 vcc, 0, v0
	s_and_saveexec_b64 s[54:55], vcc
	s_xor_b64 s[54:55], exec, s[54:55]
	s_cbranch_execz .LBB8_210
; %bb.209:                              ;   in Loop: Header=BB8_53 Depth=2
	v_mov_b64_e32 v[0:1], s[20:21]
	ds_max_i64 v0, v[0:1]
	s_trap 2
.LBB8_210:                              ;   in Loop: Header=BB8_53 Depth=2
	s_or_b64 exec, exec, s[52:53]
	s_or_b64 exec, exec, s[50:51]
	s_and_saveexec_b64 s[20:21], s[12:13]
	s_xor_b64 s[20:21], exec, s[20:21]
	s_cbranch_execnz .LBB8_194
.LBB8_211:                              ;   in Loop: Header=BB8_53 Depth=2
	s_andn2_saveexec_b64 s[20:21], s[20:21]
	s_cbranch_execz .LBB8_221
.LBB8_212:                              ;   in Loop: Header=BB8_53 Depth=2
	s_waitcnt lgkmcnt(0)
	s_barrier
	s_or_b64 exec, exec, s[20:21]
	s_and_saveexec_b64 s[20:21], s[22:23]
	s_cbranch_execnz .LBB8_222
.LBB8_213:                              ;   in Loop: Header=BB8_53 Depth=2
	s_or_b64 exec, exec, s[20:21]
	s_and_saveexec_b64 s[20:21], s[24:25]
	s_cbranch_execz .LBB8_215
.LBB8_214:                              ;   in Loop: Header=BB8_53 Depth=2
	flat_load_dwordx2 v[0:1], v[50:51] offset:32
	s_waitcnt vmcnt(0) lgkmcnt(0)
	flat_store_dwordx2 v[0:1], v[48:49] nt
.LBB8_215:                              ;   in Loop: Header=BB8_53 Depth=2
	s_or_b64 exec, exec, s[20:21]
	s_or_b64 exec, exec, s[48:49]
	s_and_saveexec_b64 s[20:21], s[18:19]
	s_cbranch_execz .LBB8_52
.LBB8_216:                              ;   in Loop: Header=BB8_53 Depth=2
	ds_write_b32 v0, v8 offset:36
	s_branch .LBB8_52
.LBB8_217:                              ;   in Loop: Header=BB8_53 Depth=2
	s_or_b64 exec, exec, s[54:55]
	s_and_saveexec_b64 vcc, s[56:57]
	s_xor_b64 vcc, exec, vcc
	s_cbranch_execz .LBB8_219
; %bb.218:                              ;   in Loop: Header=BB8_53 Depth=2
	ds_write_b32 v0, v12
	s_trap 2
.LBB8_219:                              ;   in Loop: Header=BB8_53 Depth=2
	s_or_b64 exec, exec, s[52:53]
	;;#ASMSTART
	s_wakeup
	;;#ASMEND
.LBB8_220:                              ;   in Loop: Header=BB8_53 Depth=2
	s_or_b64 exec, exec, s[50:51]
	s_andn2_saveexec_b64 s[20:21], s[20:21]
	s_cbranch_execnz .LBB8_212
.LBB8_221:                              ;   in Loop: Header=BB8_53 Depth=2
	s_or_b64 exec, exec, s[20:21]
	s_and_saveexec_b64 s[20:21], s[22:23]
	s_cbranch_execz .LBB8_213
.LBB8_222:                              ;   in Loop: Header=BB8_53 Depth=2
	flat_load_dwordx2 v[0:1], v[50:51] offset:40
	s_waitcnt vmcnt(0) lgkmcnt(0)
	flat_store_dwordx2 v[0:1], v[48:49] nt
	s_or_b64 exec, exec, s[20:21]
	s_and_saveexec_b64 s[20:21], s[24:25]
	s_cbranch_execnz .LBB8_214
	s_branch .LBB8_215
.LBB8_223:                              ;   in Loop: Header=BB8_4 Depth=1
	s_or_b64 exec, exec, s[46:47]
	v_and_b32_e32 v0, 0x800, v9
	v_cmp_eq_u32_e32 vcc, 0, v0
	s_and_b64 s[16:17], exec, vcc
	v_accvgpr_read_b32 v32, a2
	s_mov_b64 exec, s[16:17]
	s_cbranch_execz .LBB8_253
; %bb.224:                              ;   in Loop: Header=BB8_4 Depth=1
	v_and_b32_e32 v0, 48, v9
	v_cmp_ne_u32_e32 vcc, 0, v0
	s_and_saveexec_b64 s[16:17], vcc
	s_cbranch_execz .LBB8_226
; %bb.225:                              ;   in Loop: Header=BB8_4 Depth=1
	v_mov_b64_e32 v[0:1], 0x68
	flat_store_dwordx2 v[0:1], v[48:49]
.LBB8_226:                              ;   in Loop: Header=BB8_4 Depth=1
	s_or_b64 exec, exec, s[16:17]
	v_and_b32_e32 v0, 0x88, v9
	v_cmp_eq_u32_e32 vcc, s69, v0
	s_and_saveexec_b64 s[16:17], vcc
	s_cbranch_execz .LBB8_237
; %bb.227:                              ;   in Loop: Header=BB8_4 Depth=1
	v_add_u32_e32 v0, -1, v48
	v_and_b32_e32 v0, 7, v0
	v_mad_u64_u32 v[0:1], s[18:19], v0, 24, 8
	s_mov_b64 s[18:19], 0
	v_mov_b32_e32 v2, 0
                                        ; implicit-def: $sgpr20_sgpr21
	s_branch .LBB8_232
.LBB8_228:                              ;   in Loop: Header=BB8_232 Depth=2
	s_or_b64 exec, exec, s[50:51]
	v_mov_b32_e32 v3, 0
	s_orn2_b64 s[48:49], s[48:49], exec
.LBB8_229:                              ;   in Loop: Header=BB8_232 Depth=2
	s_or_b64 exec, exec, s[46:47]
	s_and_b64 s[46:47], s[48:49], exec
	v_mov_b32_e32 v2, v3
.LBB8_230:                              ;   in Loop: Header=BB8_232 Depth=2
	s_or_b64 exec, exec, s[24:25]
	s_xor_b64 s[24:25], s[46:47], -1
	s_andn2_b64 s[20:21], s[20:21], exec
	s_and_b64 s[24:25], s[24:25], exec
	s_or_b64 s[20:21], s[20:21], s[24:25]
.LBB8_231:                              ;   in Loop: Header=BB8_232 Depth=2
	s_or_b64 exec, exec, s[22:23]
	s_and_b64 s[22:23], exec, s[20:21]
	s_or_b64 s[18:19], s[22:23], s[18:19]
	s_andn2_b64 exec, exec, s[18:19]
	s_cbranch_execz .LBB8_237
.LBB8_232:                              ;   Parent Loop BB8_4 Depth=1
                                        ; =>  This Inner Loop Header: Depth=2
	flat_load_dwordx2 v[4:5], v[0:1] sc0 sc1
	s_waitcnt vmcnt(0)
	s_or_b64 s[20:21], s[20:21], exec
	s_waitcnt lgkmcnt(0)
	v_cmp_ne_u64_e32 vcc, -1, v[4:5]
	s_and_saveexec_b64 s[22:23], vcc
	s_cbranch_execz .LBB8_231
; %bb.233:                              ;   in Loop: Header=BB8_232 Depth=2
	v_and_b32_e32 v3, 64, v9
	v_cmp_eq_u32_e32 vcc, 0, v3
	s_mov_b64 s[46:47], 0
	s_and_saveexec_b64 s[24:25], vcc
	s_cbranch_execz .LBB8_230
; %bb.234:                              ;   in Loop: Header=BB8_232 Depth=2
	v_add_u32_e32 v3, 1, v2
	v_cmp_lt_i32_e32 vcc, s38, v2
	s_mov_b64 s[48:49], -1
	s_and_saveexec_b64 s[46:47], vcc
	s_cbranch_execz .LBB8_229
; %bb.235:                              ;   in Loop: Header=BB8_232 Depth=2
	s_trap 2
	ds_read_b64 v[2:3], v0
	s_waitcnt lgkmcnt(0)
	flat_load_dword v2, v[2:3] sc0 sc1
	s_waitcnt vmcnt(0) lgkmcnt(0)
	buffer_inv sc0 sc1
	v_cmp_ne_u32_e32 vcc, 0, v2
	s_and_saveexec_b64 s[50:51], vcc
	s_cbranch_execz .LBB8_228
; %bb.236:                              ;   in Loop: Header=BB8_232 Depth=2
	v_or_b32_e32 v9, 64, v9
	s_xor_b64 s[48:49], exec, -1
	ds_write_b32 v0, v2
	s_trap 2
	s_branch .LBB8_228
.LBB8_237:                              ;   in Loop: Header=BB8_4 Depth=1
	s_or_b64 exec, exec, s[16:17]
	v_cmp_ne_u32_e32 vcc, 1, v16
	s_and_b64 exec, exec, vcc
	s_cbranch_execz .LBB8_253
; %bb.238:                              ;   in Loop: Header=BB8_4 Depth=1
	s_and_saveexec_b64 s[16:17], s[12:13]
	s_xor_b64 s[12:13], exec, s[16:17]
	s_cbranch_execz .LBB8_251
; %bb.239:                              ;   in Loop: Header=BB8_4 Depth=1
	s_and_saveexec_b64 s[16:17], s[14:15]
	s_cbranch_execz .LBB8_250
; %bb.240:                              ;   in Loop: Header=BB8_4 Depth=1
	v_mov_b64_e32 v[0:1], 1
	s_waitcnt lgkmcnt(0)
	ds_add_u64 v0, v[0:1] offset:272
	ds_read_b64 v[0:1], v0 offset:272
	v_ashrrev_i32_e32 v17, 31, v16
	s_waitcnt lgkmcnt(0)
	v_cmp_lt_u64_e32 vcc, v[0:1], v[16:17]
	s_and_saveexec_b64 s[14:15], vcc
	s_cbranch_execz .LBB8_249
; %bb.241:                              ;   in Loop: Header=BB8_4 Depth=1
	s_mov_b32 s48, 0
	s_mov_b64 s[18:19], 0
                                        ; implicit-def: $sgpr20_sgpr21
                                        ; implicit-def: $sgpr22_sgpr23
	s_branch .LBB8_243
.LBB8_242:                              ;   in Loop: Header=BB8_243 Depth=2
	s_or_b64 exec, exec, s[46:47]
	s_and_b64 s[24:25], exec, vcc
	s_or_b64 s[18:19], s[24:25], s[18:19]
	s_andn2_b64 s[20:21], s[20:21], exec
	s_and_b64 s[24:25], s[22:23], exec
	s_or_b64 s[20:21], s[20:21], s[24:25]
	s_andn2_b64 exec, exec, s[18:19]
	s_cbranch_execz .LBB8_247
.LBB8_243:                              ;   Parent Loop BB8_4 Depth=1
                                        ; =>  This Inner Loop Header: Depth=2
	s_add_i32 s48, s48, 1
	s_cmpk_lg_i32 s48, 0x2710
	s_cselect_b64 s[24:25], -1, 0
	s_and_b64 vcc, exec, s[24:25]
                                        ; implicit-def: $sgpr46_sgpr47
	s_cbranch_vccnz .LBB8_245
; %bb.244:                              ;   in Loop: Header=BB8_243 Depth=2
	s_trap 2
	ds_read_b64 v[0:1], v0
	s_andn2_b64 s[24:25], s[24:25], exec
	s_mov_b32 s48, 0
	s_mov_b64 s[46:47], -1
	s_waitcnt vmcnt(0) lgkmcnt(0)
	flat_load_dword v0, v[0:1] sc0 sc1
	s_waitcnt vmcnt(0) lgkmcnt(0)
	buffer_inv sc0 sc1
	v_cmp_eq_u32_e32 vcc, 0, v0
	s_and_b64 vcc, vcc, exec
	s_or_b64 s[24:25], s[24:25], vcc
.LBB8_245:                              ;   in Loop: Header=BB8_243 Depth=2
	s_andn2_b64 s[22:23], s[22:23], exec
	s_and_b64 s[46:47], s[46:47], exec
	s_mov_b64 vcc, -1
	s_or_b64 s[22:23], s[22:23], s[46:47]
	s_and_saveexec_b64 s[46:47], s[24:25]
	s_cbranch_execz .LBB8_242
; %bb.246:                              ;   in Loop: Header=BB8_243 Depth=2
	s_sleep 1
	ds_read_b64 v[0:1], v0 offset:272
	s_andn2_b64 s[22:23], s[22:23], exec
	s_waitcnt lgkmcnt(0)
	v_cmp_ge_u64_e32 vcc, v[0:1], v[16:17]
	s_orn2_b64 vcc, vcc, exec
	s_branch .LBB8_242
.LBB8_247:                              ;   in Loop: Header=BB8_4 Depth=1
	s_or_b64 exec, exec, s[18:19]
	s_and_saveexec_b64 s[18:19], s[20:21]
	s_xor_b64 s[18:19], exec, s[18:19]
	s_cbranch_execz .LBB8_249
; %bb.248:                              ;   in Loop: Header=BB8_4 Depth=1
	ds_write_b32 v0, v12
	s_trap 2
.LBB8_249:                              ;   in Loop: Header=BB8_4 Depth=1
	s_or_b64 exec, exec, s[14:15]
	;;#ASMSTART
	s_wakeup
	;;#ASMEND
.LBB8_250:                              ;   in Loop: Header=BB8_4 Depth=1
	s_or_b64 exec, exec, s[16:17]
.LBB8_251:                              ;   in Loop: Header=BB8_4 Depth=1
	s_andn2_saveexec_b64 s[12:13], s[12:13]
	s_cbranch_execz .LBB8_253
; %bb.252:                              ;   in Loop: Header=BB8_4 Depth=1
	s_waitcnt lgkmcnt(0)
	s_barrier
.LBB8_253:                              ;   in Loop: Header=BB8_4 Depth=1
	s_or_b64 exec, exec, s[44:45]
                                        ; implicit-def: $vgpr2_vgpr3
                                        ; implicit-def: $vgpr16_vgpr17
                                        ; implicit-def: $vgpr6_vgpr7
                                        ; implicit-def: $vgpr18_vgpr19
                                        ; implicit-def: $vgpr4_vgpr5
.LBB8_254:                              ;   in Loop: Header=BB8_4 Depth=1
	s_andn2_saveexec_b64 s[12:13], s[42:43]
	s_cbranch_execz .LBB8_3
; %bb.255:                              ;   in Loop: Header=BB8_4 Depth=1
	v_sub_u32_e64 v1, s71, 1 clamp
	v_lshl_add_u64 v[10:11], v[16:17], 0, v[6:7]
	v_readfirstlane_b32 s12, v1
	s_flbit_i32_b32 s12, s12
	s_sub_i32 s12, 32, s12
	s_lshl_b32 s12, 1, s12
	s_cmp_gt_u32 s71, 1
	v_lshl_add_u64 v[6:7], v[4:5], 0, v[2:3]
	s_cselect_b32 s19, s12, 1
	v_and_b32_e32 v0, 0x3ffffe00, v18
	scratch_store_dwordx4 off, v[4:7], s32
	scratch_store_dwordx2 off, v[10:11], s32 offset:16
	scratch_store_dword off, v0, s32 offset:24
	v_mov_b32_e32 v4, s72
	v_mov_b32_e32 v5, s71
	;; [unrolled: 1-line block ×3, first 2 shown]
	scratch_store_dwordx3 off, v[4:6], s32 offset:32
	scratch_store_dword off, v6, s32 offset:68
	s_lshr_b32 s12, s71, 31
	v_accvgpr_read_b32 v5, a24              ;  Reload Reuse
	v_accvgpr_read_b32 v4, a25              ;  Reload Reuse
	s_add_i32 s71, s71, s12
	s_mov_b32 s18, 1
	v_mov_b32_e32 v6, v4
	v_mov_b32_e32 v7, v12
	v_accvgpr_write_b32 a24, v5             ;  Reload Reuse
	v_accvgpr_write_b32 a25, v4             ;  Reload Reuse
	v_mov_b32_e32 v1, v8
	s_ashr_i32 s17, s71, 1
	scratch_store_dwordx2 off, v[6:7], s32 offset:52
	s_branch .LBB8_257
.LBB8_256:                              ;   in Loop: Header=BB8_257 Depth=2
	s_andn2_b64 vcc, exec, s[14:15]
	s_cbranch_vccz .LBB8_261
.LBB8_257:                              ;   Parent Loop BB8_4 Depth=1
                                        ; =>  This Inner Loop Header: Depth=2
	s_mov_b32 s20, s18
	s_ashr_i32 s12, s18, 31
	v_mul_hi_u32 v4, v2, s20
	v_mul_lo_u32 v5, v2, s12
	v_add_u32_e32 v4, v4, v5
	v_mul_lo_u32 v5, v3, s20
	v_add_u32_e32 v5, v4, v5
	v_mul_lo_u32 v4, v2, s20
	v_cmp_lt_u64_e32 vcc, v[0:1], v[4:5]
	s_mov_b32 s16, s19
	v_mov_b64_e32 v[6:7], 0
	s_cbranch_vccnz .LBB8_259
; %bb.258:                              ;   in Loop: Header=BB8_257 Depth=2
	v_cvt_f32_u32_e32 v5, v4
	v_sub_u32_e32 v6, 0, v4
	v_rcp_iflag_f32_e32 v5, v5
	s_nop 0
	v_mul_f32_e32 v5, 0x4f7ffffe, v5
	v_cvt_u32_f32_e32 v5, v5
	v_mul_lo_u32 v6, v6, v5
	v_mul_hi_u32 v6, v5, v6
	v_add_u32_e32 v5, v5, v6
	v_mul_hi_u32 v5, v0, v5
	v_mul_lo_u32 v7, v5, v4
	v_sub_u32_e32 v7, v0, v7
	v_add_u32_e32 v6, 1, v5
	v_sub_u32_e32 v9, v7, v4
	v_cmp_ge_u32_e32 vcc, v7, v4
	s_nop 1
	v_cndmask_b32_e32 v7, v7, v9, vcc
	v_cndmask_b32_e32 v5, v5, v6, vcc
	v_add_u32_e32 v6, 1, v5
	v_cmp_ge_u32_e32 vcc, v7, v4
	v_mov_b32_e32 v7, v8
	s_nop 0
	v_cndmask_b32_e32 v6, v5, v6, vcc
.LBB8_259:                              ;   in Loop: Header=BB8_257 Depth=2
	s_cmp_lt_i32 s20, s17
	s_cselect_b64 s[12:13], -1, 0
	s_cmp_ge_i32 s20, s17
	v_cmp_gt_u64_e32 vcc, 2, v[6:7]
	s_cselect_b64 s[18:19], -1, 0
	s_or_b64 s[18:19], s[18:19], vcc
	s_mov_b64 s[14:15], -1
	s_and_b64 vcc, exec, s[18:19]
                                        ; implicit-def: $sgpr18
                                        ; implicit-def: $sgpr19
	s_cbranch_vccnz .LBB8_256
; %bb.260:                              ;   in Loop: Header=BB8_257 Depth=2
	s_lshr_b32 s14, s16, 31
	s_lshl_b32 s18, s20, 1
	s_add_i32 s14, s16, s14
	v_mov_b32_e32 v4, s18
	s_ashr_i32 s19, s14, 1
	scratch_store_dword off, v4, s32 offset:56
	v_mov_b32_e32 v4, s19
	s_mov_b64 s[14:15], 0
	scratch_store_dword off, v4, s32 offset:68
	s_branch .LBB8_256
.LBB8_261:                              ;   in Loop: Header=BB8_4 Depth=1
	v_mov_b32_e32 v4, s20
	s_cmp_gt_i32 s20, 1
	s_mov_b32 s21, 2
	scratch_store_dword off, v4, s32 offset:44
	s_cbranch_scc1 .LBB8_263
; %bb.262:                              ;   in Loop: Header=BB8_4 Depth=1
	v_mov_b32_e32 v4, s20
	s_mov_b32 s21, s20
	scratch_store_dword off, v4, s32 offset:52
.LBB8_263:                              ;   in Loop: Header=BB8_4 Depth=1
	s_andn2_b64 vcc, exec, s[12:13]
	s_cbranch_vccnz .LBB8_268
; %bb.264:                              ;   in Loop: Header=BB8_4 Depth=1
	s_lshr_b32 s13, s16, 31
	s_lshl_b32 s12, s20, 1
	s_add_i32 s13, s16, s13
	v_mov_b32_e32 v4, s12
	s_ashr_i32 s13, s13, 1
	scratch_store_dword off, v4, s32 offset:56
	v_mov_b32_e32 v4, s13
	s_cmp_ge_i32 s12, s17
	scratch_store_dword off, v4, s32 offset:68
	s_cbranch_scc1 .LBB8_267
; %bb.265:                              ;   in Loop: Header=BB8_4 Depth=1
	s_ashr_i32 s14, s16, 31
	s_lshr_b32 s13, s14, 30
	s_lshl_b32 s12, s20, 2
	s_add_i32 s13, s16, s13
	v_mov_b32_e32 v4, s12
	s_ashr_i32 s13, s13, 2
	scratch_store_dword off, v4, s32 offset:56
	v_mov_b32_e32 v4, s13
	s_cmp_ge_i32 s12, s17
	scratch_store_dword off, v4, s32 offset:68
	s_cbranch_scc1 .LBB8_267
; %bb.266:                              ;   in Loop: Header=BB8_4 Depth=1
	s_lshr_b32 s13, s14, 29
	s_lshl_b32 s12, s20, 3
	s_add_i32 s13, s16, s13
	v_mov_b32_e32 v4, s12
	s_ashr_i32 s13, s13, 3
	scratch_store_dword off, v4, s32 offset:56
	v_mov_b32_e32 v4, s13
	scratch_store_dword off, v4, s32 offset:68
.LBB8_267:                              ;   in Loop: Header=BB8_4 Depth=1
	s_mov_b32 s20, s12
	s_mov_b32 s16, s13
.LBB8_268:                              ;   in Loop: Header=BB8_4 Depth=1
	v_sub_u32_e64 v4, s16, 1 clamp
	s_nop 0
	v_readfirstlane_b32 s12, v4
	s_flbit_i32_b32 s12, s12
	s_sub_i32 s14, 32, s12
	s_cmp_lt_u32 s16, 2
	s_cselect_b64 s[12:13], -1, 0
	s_and_b64 vcc, s[12:13], exec
	v_cmp_lt_i64_e64 s[12:13], v[0:1], v[2:3]
	s_cselect_b32 s23, 0, s14
	s_mov_b32 s16, 0
	v_cndmask_b32_e64 v0, v2, v0, s[12:13]
	s_lshr_b32 s12, s20, 31
	s_add_i32 s12, s20, s12
	s_ashr_i32 s22, s12, 1
	s_add_i32 s12, s20, -2
	s_cmp_lt_u32 s12, -3
	s_cselect_b64 s[12:13], -1, 0
	s_and_b64 s[14:15], s[12:13], exec
	s_cselect_b32 s14, 2, 1
	scratch_store_dword off, v0, s32 offset:28
	v_mov_b32_e32 v0, s22
	v_mov_b32_e32 v1, s14
	;; [unrolled: 1-line block ×4, first 2 shown]
	scratch_store_dwordx4 off, v[0:3], s32 offset:72
	s_cbranch_vccnz .LBB8_284
; %bb.269:                              ;   in Loop: Header=BB8_4 Depth=1
	s_cmp_gt_u32 s23, 1
	s_mov_b64 s[14:15], -1
	s_cbranch_scc0 .LBB8_273
; %bb.270:                              ;   in Loop: Header=BB8_4 Depth=1
	s_and_b32 s16, s23, 62
	s_mov_b32 s14, s23
	s_mov_b32 s15, 1
	;; [unrolled: 1-line block ×5, first 2 shown]
.LBB8_271:                              ;   Parent Loop BB8_4 Depth=1
                                        ; =>  This Inner Loop Header: Depth=2
	v_mov_b32_e32 v13, v12
	s_sub_i32 s24, s14, s15
	s_sub_i32 s25, s23, s17
	s_add_i32 vcc_lo, s19, 0xffffff80
	s_add_i32 s17, s17, 2
	s_add_i32 s15, s15, 2
	s_add_i32 s18, s18, -2
	scratch_store_dwordx2 off, v[12:13], s19
	s_add_i32 s19, s19, 8
	v_mov_b32_e32 v0, s25
	v_mov_b32_e32 v1, s24
	s_cmp_lg_u32 s18, 0
	scratch_store_dwordx2 off, v[0:1], vcc_lo
	s_cbranch_scc1 .LBB8_271
; %bb.272:                              ;   in Loop: Header=BB8_4 Depth=1
	s_cmp_lg_u32 s23, s16
	s_cselect_b64 s[14:15], -1, 0
.LBB8_273:                              ;   in Loop: Header=BB8_4 Depth=1
	s_and_b64 vcc, exec, s[14:15]
	s_cbranch_vccz .LBB8_276
; %bb.274:                              ;   in Loop: Header=BB8_4 Depth=1
	s_lshl_b32 s14, s16, 2
	s_add_i32 s14, s68, s14
	s_sub_i32 s15, s23, s16
.LBB8_275:                              ;   Parent Loop BB8_4 Depth=1
                                        ; =>  This Inner Loop Header: Depth=2
	s_add_i32 s16, s14, 0xffffff80
	v_mov_b32_e32 v0, s15
	scratch_store_dword off, v12, s14
	s_add_i32 s14, s14, 4
	s_add_i32 s15, s15, -1
	s_cmp_eq_u32 s15, 0
	scratch_store_dword off, v0, s16
	s_cbranch_scc0 .LBB8_275
.LBB8_276:                              ;   in Loop: Header=BB8_4 Depth=1
	s_mov_b32 s24, 0
	v_mov_b32_e32 v3, 0
	s_mov_b32 s25, s68
	s_branch .LBB8_280
.LBB8_277:                              ;   in Loop: Header=BB8_280 Depth=2
	s_or_b64 exec, exec, s[18:19]
	v_add_u32_e32 v1, 1, v1
	scratch_store_dword off, v1, s25
.LBB8_278:                              ;   in Loop: Header=BB8_280 Depth=2
	s_or_b64 exec, exec, s[16:17]
	v_mov_b32_e32 v3, v0
.LBB8_279:                              ;   in Loop: Header=BB8_280 Depth=2
	s_or_b64 exec, exec, s[14:15]
	s_add_i32 s24, s24, 1
	s_add_i32 s25, s25, 4
	s_cmp_lg_u32 s23, s24
	s_cbranch_scc0 .LBB8_284
.LBB8_280:                              ;   Parent Loop BB8_4 Depth=1
                                        ; =>  This Inner Loop Header: Depth=2
	s_add_i32 s42, s25, 0xffffff80
	scratch_load_dword v0, off, s42
	s_waitcnt vmcnt(0)
	v_add_u32_e32 v0, -1, v0
	v_cmp_eq_u32_e32 vcc, 0, v0
	scratch_store_dword off, v0, s42
	s_and_saveexec_b64 s[14:15], vcc
	s_cbranch_execz .LBB8_279
; %bb.281:                              ;   in Loop: Header=BB8_280 Depth=2
	s_lshl_b32 s43, 1, s24
	v_xor_b32_e32 v0, s43, v3
	v_mov_b32_e32 v1, s43
	scratch_store_dword off, v0, s32 offset:84
	scratch_store_dword off, v1, s42
	v_and_b32_e32 v1, s43, v3
	v_cmp_ne_u32_e32 vcc, 0, v1
	s_and_saveexec_b64 s[16:17], vcc
	s_cbranch_execz .LBB8_278
; %bb.282:                              ;   in Loop: Header=BB8_280 Depth=2
	scratch_load_dword v1, off, s25
	v_mov_b32_e32 v2, s23
	s_waitcnt vmcnt(0)
	v_ffbl_b32_e32 v4, v1
	v_cmp_eq_u32_e32 vcc, 0, v1
	s_nop 1
	v_cndmask_b32_e32 v2, v4, v2, vcc
	v_add3_u32 v2, s43, -1, v2
	v_cmp_eq_u32_e32 vcc, 0, v2
	scratch_store_dword off, v2, s42
	s_and_saveexec_b64 s[18:19], vcc
	s_cbranch_execz .LBB8_277
; %bb.283:                              ;   in Loop: Header=BB8_280 Depth=2
	v_mov_b32_e32 v0, s43
	scratch_store_dword off, v3, s32 offset:84
	scratch_store_dword off, v0, s42
	v_mov_b32_e32 v0, v3
	s_branch .LBB8_277
.LBB8_284:                              ;   in Loop: Header=BB8_4 Depth=1
	s_nop 0
	v_mov_b32_e32 v0, v3
	v_mov_b32_e32 v1, v8
	s_andn2_b64 vcc, exec, s[12:13]
	scratch_store_dwordx2 off, v[0:1], s32 offset:60
	s_cbranch_vccnz .LBB8_286
; %bb.285:                              ;   in Loop: Header=BB8_4 Depth=1
	s_lshl_b32 s12, s22, 1
	s_ashr_i32 s13, s22, 31
	s_add_i32 s12, s12, s13
	s_xor_b32 s12, s12, s13
	v_cvt_f32_u32_e32 v0, s12
	s_ashr_i32 s14, s20, 31
	s_xor_b32 s13, s14, s13
	s_sub_i32 s14, 0, s12
	v_rcp_iflag_f32_e32 v0, v0
	s_abs_i32 s15, s20
	v_mul_f32_e32 v0, 0x4f7ffffe, v0
	v_cvt_u32_f32_e32 v0, v0
	s_nop 0
	v_readfirstlane_b32 s16, v0
	s_mul_i32 s14, s14, s16
	s_mul_hi_u32 s14, s16, s14
	s_add_i32 s16, s16, s14
	s_mul_hi_u32 s14, s15, s16
	s_mul_i32 s16, s14, s12
	s_sub_i32 s15, s15, s16
	s_add_i32 s17, s14, 1
	s_sub_i32 s16, s15, s12
	s_cmp_ge_u32 s15, s12
	s_cselect_b32 s14, s17, s14
	s_cselect_b32 s15, s16, s15
	s_add_i32 s16, s14, 1
	s_cmp_ge_u32 s15, s12
	s_cselect_b32 s12, s16, s14
	s_xor_b32 s12, s12, s13
	s_sub_i32 s20, s12, s13
.LBB8_286:                              ;   in Loop: Header=BB8_4 Depth=1
	v_mov_b32_e32 v0, s20
	scratch_store_dword off, v0, s32 offset:48
	v_mov_b32_e32 v0, s21
	s_mov_b32 s54, 0
	s_mov_b64 s[22:23], 0
	ds_write_b32 v0, v0
	s_trap 2
	s_branch .LBB8_289
.LBB8_287:                              ;   in Loop: Header=BB8_289 Depth=2
	s_or_b64 exec, exec, s[12:13]
	s_andn2_b64 s[18:19], s[18:19], exec
.LBB8_288:                              ;   in Loop: Header=BB8_289 Depth=2
	s_or_b64 exec, exec, s[16:17]
	s_add_i32 s54, s54, 1
	s_and_b64 s[12:13], exec, s[18:19]
	v_cndmask_b32_e64 v0, 1, 3, s[14:15]
	s_or_b64 s[22:23], s[12:13], s[22:23]
	ds_write_b32 v0, v0 offset:36
	s_andn2_b64 exec, exec, s[22:23]
	s_cbranch_execz .LBB8_2
.LBB8_289:                              ;   Parent Loop BB8_4 Depth=1
                                        ; =>  This Loop Header: Depth=2
                                        ;       Child Loop BB8_290 Depth 3
                                        ;       Child Loop BB8_352 Depth 3
	;; [unrolled: 1-line block ×5, first 2 shown]
	s_trap 2
.LBB8_290:                              ;   Parent Loop BB8_4 Depth=1
                                        ;     Parent Loop BB8_289 Depth=2
                                        ; =>    This Inner Loop Header: Depth=3
	ds_read_b32 v0, v0 offset:36
	s_waitcnt lgkmcnt(0)
	v_cmp_ne_u32_e32 vcc, 0, v0
	s_cbranch_vccnz .LBB8_290
; %bb.291:                              ;   in Loop: Header=BB8_289 Depth=2
	scratch_load_dword v13, off, s32 offset:76
	scratch_load_dword v18, off, s32 offset:48
	;; [unrolled: 1-line block ×3, first 2 shown]
	scratch_load_dwordx2 v[4:5], off, s32
	scratch_load_dword v15, off, s32 offset:64
	s_mov_b64 s[14:15], -1
	s_waitcnt vmcnt(0)
	ds_write2_b32 v0, v19, v8 offset0:7 offset1:8
	ds_write_b64 v0, v[4:5] offset:40
	v_cmp_lt_i32_e32 vcc, v15, v18
	s_and_saveexec_b64 s[24:25], vcc
	s_cbranch_execz .LBB8_327
; %bb.292:                              ;   in Loop: Header=BB8_289 Depth=2
	v_cmp_lt_i32_e32 vcc, 0, v13
                                        ; implicit-def: $sgpr12_sgpr13
	s_and_saveexec_b64 s[14:15], vcc
	s_xor_b64 s[42:43], exec, s[14:15]
	s_cbranch_execz .LBB8_320
; %bb.293:                              ;   in Loop: Header=BB8_289 Depth=2
	v_cmp_lt_i32_e32 vcc, 1, v13
                                        ; implicit-def: $sgpr44_sgpr45
	s_and_saveexec_b64 s[12:13], vcc
	s_xor_b64 s[16:17], exec, s[12:13]
	s_cbranch_execz .LBB8_305
; %bb.294:                              ;   in Loop: Header=BB8_289 Depth=2
	v_cmp_eq_u32_e32 vcc, 2, v13
	s_mov_b64 s[12:13], 0
	s_and_saveexec_b64 s[18:19], vcc
	s_cbranch_execz .LBB8_304
; %bb.295:                              ;   in Loop: Header=BB8_289 Depth=2
	scratch_load_dword v2, off, s32 offset:44
	scratch_load_dwordx2 v[0:1], off, s32 offset:68
	v_sub_u32_e32 v9, 0, v15
	v_max_i32_e32 v16, v15, v9
	v_lshlrev_b32_e32 v6, 1, v15
	v_or_b32_e32 v11, 1, v6
	v_ashrrev_i32_e32 v10, 31, v15
                                        ; implicit-def: $sgpr12_sgpr13
	s_waitcnt vmcnt(1)
	v_sub_u32_e32 v3, 0, v2
	v_max_i32_e32 v3, v2, v3
	v_cvt_f32_u32_e32 v7, v3
	s_waitcnt vmcnt(0)
	v_mul_lo_u32 v9, v0, v1
	v_rcp_iflag_f32_e32 v14, v7
	v_ashrrev_i32_e32 v7, 31, v2
	v_xor_b32_e32 v10, v10, v7
	v_mul_f32_e32 v0, 0x4f7ffffe, v14
	v_cvt_u32_f32_e32 v1, v0
	v_mul_lo_u32 v0, v9, v11
	v_sub_u32_e32 v11, 0, v3
	v_mul_lo_u32 v11, v11, v1
	v_mul_hi_u32 v11, v1, v11
	v_add_u32_e32 v11, v1, v11
	v_mul_hi_u32 v1, v16, v11
	v_mul_lo_u32 v14, v1, v3
	v_sub_u32_e32 v14, v16, v14
	v_add_u32_e32 v17, 1, v1
	v_cmp_ge_u32_e32 vcc, v14, v3
	v_sub_u32_e32 v16, v14, v3
	s_nop 0
	v_cndmask_b32_e32 v1, v1, v17, vcc
	v_cndmask_b32_e32 v14, v14, v16, vcc
	v_add_u32_e32 v16, 1, v1
	v_cmp_ge_u32_e32 vcc, v14, v3
	v_add_u32_e32 v14, -1, v2
	s_nop 0
	v_cndmask_b32_e32 v1, v1, v16, vcc
	v_xor_b32_e32 v1, v1, v10
	v_sub_u32_e32 v1, v1, v10
	v_mul_lo_u32 v10, v1, v2
	v_sub_u32_e32 v10, v15, v10
	v_cmp_ne_u32_e32 vcc, v10, v14
                                        ; implicit-def: $vgpr16
	s_and_saveexec_b64 s[14:15], vcc
	s_xor_b64 s[14:15], exec, s[14:15]
	s_cbranch_execz .LBB8_297
; %bb.296:                              ;   in Loop: Header=BB8_289 Depth=2
	scratch_load_dword v16, off, s32 offset:36
	v_lshl_add_u32 v14, v9, 1, v0
	s_waitcnt vmcnt(0)
	v_cmp_ge_i32_e32 vcc, v14, v16
	s_and_b64 s[12:13], vcc, exec
.LBB8_297:                              ;   in Loop: Header=BB8_289 Depth=2
	s_andn2_saveexec_b64 s[14:15], s[14:15]
	s_cbranch_execz .LBB8_299
; %bb.298:                              ;   in Loop: Header=BB8_289 Depth=2
	scratch_load_dword v16, off, s32 offset:36
	s_or_b64 s[12:13], s[12:13], exec
.LBB8_299:                              ;   in Loop: Header=BB8_289 Depth=2
	s_or_b64 exec, exec, s[14:15]
	scratch_load_dword v14, off, s32 offset:40
	scratch_load_dword v17, off, s32 offset:32
	scratch_load_dwordx2 v[20:21], off, s32 offset:16
	s_waitcnt vmcnt(3)
	v_sub_u32_e32 v22, 0, v16
	v_max_i32_e32 v22, v16, v22
	v_cvt_f32_u32_e32 v23, v22
	v_cndmask_b32_e64 v24, 0, 1, s[12:13]
	v_mul_lo_u32 v10, v10, v19
	ds_write2_b32 v0, v8, v24 offset0:5 offset1:6
	ds_write2_b32 v0, v10, v1 offset0:3 offset1:4
	v_rcp_iflag_f32_e32 v23, v23
	v_sub_u32_e32 v1, 0, v22
	v_ffbl_b32_e32 v25, v0
	v_cmp_eq_u32_e64 s[12:13], 0, v9
	v_mul_f32_e32 v23, 0x4f7ffffe, v23
	v_cvt_u32_f32_e32 v23, v23
	v_cmp_ge_i32_e32 vcc, v0, v16
                                        ; implicit-def: $sgpr20_sgpr21
	v_mul_lo_u32 v1, v1, v23
	v_mul_hi_u32 v1, v23, v1
	v_add_u32_e32 v10, v23, v1
	s_waitcnt vmcnt(2)
	v_cndmask_b32_e64 v1, v25, v14, s[12:13]
	v_lshl_add_u32 v0, -1, v1, v0
	s_waitcnt vmcnt(1)
	v_add3_u32 v14, v0, v16, v17
	v_sub_u32_e32 v17, 0, v14
	v_ashrrev_i32_e32 v16, 31, v14
	v_max_i32_e32 v14, v14, v17
	v_mul_hi_u32 v10, v14, v10
	v_mul_lo_u32 v10, v10, v22
	v_sub_u32_e32 v10, v14, v10
	v_sub_u32_e32 v14, v10, v22
	v_cmp_ge_u32_e64 s[14:15], v10, v22
	v_cmp_ne_u32_e64 s[12:13], 0, v0
	v_ffbl_b32_e32 v0, v0
	v_cndmask_b32_e64 v10, v10, v14, s[14:15]
	v_sub_u32_e32 v14, v10, v22
	v_cmp_ge_u32_e64 s[14:15], v10, v22
	s_nop 1
	v_cndmask_b32_e64 v10, v10, v14, s[14:15]
	v_xor_b32_e32 v10, v10, v16
	v_sub_u32_e32 v10, v10, v16
	v_ashrrev_i32_e32 v14, 31, v10
	s_waitcnt vmcnt(0)
	v_mul_lo_u32 v21, v21, v10
	v_mad_u64_u32 v[16:17], s[14:15], v20, v10, v[4:5]
	v_mul_lo_u32 v10, v20, v14
	v_add3_u32 v17, v21, v17, v10
	ds_write2_b64 v0, v[0:1], v[16:17] offset1:6
	s_and_saveexec_b64 s[14:15], s[12:13]
	s_xor_b64 s[14:15], exec, s[14:15]
	s_cbranch_execz .LBB8_301
; %bb.300:                              ;   in Loop: Header=BB8_289 Depth=2
	v_mul_lo_u32 v1, v9, v6
	v_add_u32_e32 v0, 1, v0
	v_ashrrev_i32_e32 v0, v0, v1
	v_sub_u32_e32 v6, 0, v0
	v_ashrrev_i32_e32 v1, 31, v0
	v_max_i32_e32 v6, v0, v6
	v_xor_b32_e32 v1, v1, v7
	v_mul_hi_u32 v7, v6, v11
	v_mul_lo_u32 v9, v7, v3
	v_sub_u32_e32 v6, v6, v9
	v_add_u32_e32 v9, 1, v7
	v_cmp_ge_u32_e64 s[12:13], v6, v3
	s_and_b64 s[20:21], vcc, exec
	s_nop 0
	v_cndmask_b32_e64 v7, v7, v9, s[12:13]
	v_sub_u32_e32 v9, v6, v3
	v_cndmask_b32_e64 v6, v6, v9, s[12:13]
	v_add_u32_e32 v9, 1, v7
	v_cmp_ge_u32_e64 s[12:13], v6, v3
	s_nop 1
	v_cndmask_b32_e64 v3, v7, v9, s[12:13]
	v_xor_b32_e32 v3, v3, v1
	v_sub_u32_e32 v1, v3, v1
	v_mul_lo_u32 v2, v1, v2
	v_sub_u32_e32 v0, v0, v2
	v_mul_lo_u32 v0, v0, v19
	ds_write2_b32 v0, v0, v1 offset0:2 offset1:4
.LBB8_301:                              ;   in Loop: Header=BB8_289 Depth=2
	s_andn2_saveexec_b64 s[12:13], s[14:15]
	s_cbranch_execz .LBB8_303
; %bb.302:                              ;   in Loop: Header=BB8_289 Depth=2
	s_andn2_b64 s[14:15], s[20:21], exec
	s_and_b64 s[20:21], vcc, exec
	s_or_b64 s[20:21], s[14:15], s[20:21]
	ds_write_b32 v0, v33 offset:8
.LBB8_303:                              ;   in Loop: Header=BB8_289 Depth=2
	s_or_b64 exec, exec, s[12:13]
	s_and_b64 s[12:13], s[20:21], exec
.LBB8_304:                              ;   in Loop: Header=BB8_289 Depth=2
	s_or_b64 exec, exec, s[18:19]
	s_and_b64 s[44:45], s[12:13], exec
                                        ; implicit-def: $vgpr19
.LBB8_305:                              ;   in Loop: Header=BB8_289 Depth=2
	s_andn2_saveexec_b64 s[46:47], s[16:17]
	s_cbranch_execz .LBB8_319
; %bb.306:                              ;   in Loop: Header=BB8_289 Depth=2
	scratch_load_dword v6, off, s32 offset:68
	scratch_load_dwordx4 v[0:3], off, s32 offset:32
	scratch_load_dword v11, off, s32 offset:60
	scratch_load_dwordx2 v[16:17], off, s32 offset:16
	v_ashrrev_i32_e32 v7, 31, v15
	v_sub_u32_e32 v9, 0, v15
	v_max_i32_e32 v10, v15, v9
	s_waitcnt vmcnt(3)
	v_mul_lo_u32 v22, v6, v15
	s_waitcnt vmcnt(2)
	v_sub_u32_e32 v14, 0, v1
	v_ashrrev_i32_e32 v23, 31, v3
	v_max_i32_e32 v14, v1, v14
	v_xor_b32_e32 v25, v7, v23
	v_add_u32_e32 v7, v3, v23
	v_cvt_f32_u32_e32 v26, v14
	v_xor_b32_e32 v24, v7, v23
	v_cvt_f32_u32_e32 v28, v24
	s_waitcnt vmcnt(1)
	v_add_u32_e32 v9, v22, v11
	v_rcp_iflag_f32_e32 v26, v26
	v_ffbl_b32_e32 v20, v9
	v_rcp_iflag_f32_e32 v28, v28
	v_cmp_eq_u32_e32 vcc, 0, v9
	v_mul_f32_e32 v26, 0x4f7ffffe, v26
	v_cvt_u32_f32_e32 v26, v26
	v_cndmask_b32_e32 v7, v20, v2, vcc
	v_lshlrev_b32_e64 v2, v7, -1
	v_mul_f32_e32 v28, 0x4f7ffffe, v28
	v_add_u32_e32 v20, v2, v9
	v_cvt_u32_f32_e32 v28, v28
	v_add3_u32 v0, v0, v1, v20
	v_sub_u32_e32 v27, 0, v14
	v_sub_u32_e32 v31, 0, v0
	;; [unrolled: 1-line block ×3, first 2 shown]
	v_ashrrev_i32_e32 v30, 31, v0
	v_max_i32_e32 v31, v0, v31
	v_mul_lo_u32 v0, v27, v26
	v_mul_hi_u32 v0, v26, v0
	v_mul_lo_u32 v27, v29, v28
	v_add_u32_e32 v0, v26, v0
	v_mul_hi_u32 v26, v28, v27
	v_mul_hi_u32 v27, v31, v0
	v_add_u32_e32 v0, v28, v26
	v_mul_lo_u32 v26, v27, v14
	v_mul_hi_u32 v27, v10, v0
	v_sub_u32_e32 v26, v31, v26
	v_mul_lo_u32 v28, v27, v24
	v_sub_u32_e32 v31, v26, v14
	v_sub_u32_e32 v10, v10, v28
	v_cmp_ge_u32_e32 vcc, v26, v14
	v_add_u32_e32 v29, 1, v27
	v_sub_u32_e32 v28, v10, v24
	v_cndmask_b32_e32 v26, v26, v31, vcc
	v_cmp_ge_u32_e32 vcc, v10, v24
	v_add_u32_e32 v21, -1, v3
	v_add_u32_e32 v6, v9, v6
	v_cndmask_b32_e32 v27, v27, v29, vcc
	v_sub_u32_e32 v29, v26, v14
	v_cndmask_b32_e32 v10, v10, v28, vcc
	v_cmp_ge_u32_e32 vcc, v26, v14
	v_add_u32_e32 v28, 1, v27
	v_cmp_ge_i32_e64 s[14:15], v6, v1
	v_cndmask_b32_e32 v14, v26, v29, vcc
	v_cmp_ge_u32_e32 vcc, v10, v24
	v_xor_b32_e32 v14, v14, v30
	v_sub_u32_e32 v14, v14, v30
	v_cndmask_b32_e32 v10, v27, v28, vcc
	v_xor_b32_e32 v10, v10, v25
	v_sub_u32_e32 v10, v10, v25
	v_ashrrev_i32_e32 v25, 31, v14
	s_waitcnt vmcnt(0)
	v_mul_lo_u32 v17, v17, v14
	v_mad_u64_u32 v[26:27], s[20:21], v16, v14, v[4:5]
	v_mul_lo_u32 v14, v10, v3
	v_sub_u32_e32 v14, v15, v14
	v_cmp_eq_u32_e32 vcc, 0, v7
	v_cmp_eq_u32_e64 s[20:21], v14, v21
	v_cmp_gt_i32_e64 s[16:17], v6, v1
	v_cndmask_b32_e64 v28, v10, 0, vcc
	v_mul_lo_u32 v10, v16, v25
	s_or_b64 s[14:15], s[20:21], s[14:15]
	v_add3_u32 v27, v17, v27, v10
	v_cndmask_b32_e64 v10, 0, 1, s[14:15]
	s_or_b64 s[14:15], s[20:21], s[16:17]
	v_mul_lo_u32 v16, v14, v19
	s_and_b64 s[14:15], vcc, s[14:15]
	v_cmp_ne_u32_e64 s[12:13], 0, v7
	v_cmp_ne_u32_e64 s[18:19], 0, v20
	v_ffbl_b32_e32 v6, v20
	v_mov_b32_e32 v17, v16
	v_cndmask_b32_e64 v29, 0, 1, s[14:15]
	ds_write_b64 v0, v[26:27] offset:48
	ds_write2_b64 v0, v[6:7], v[16:17] offset1:1
	ds_write_b32 v0, v10 offset:24
	ds_write_b64 v0, v[28:29] offset:16
	s_and_saveexec_b64 s[14:15], s[18:19]
	s_xor_b64 s[16:17], exec, s[14:15]
	s_cbranch_execz .LBB8_314
; %bb.307:                              ;   in Loop: Header=BB8_289 Depth=2
	v_sub_u32_e32 v7, 0, v11
	v_cmp_eq_u32_e64 s[14:15], v2, v7
	s_and_saveexec_b64 s[18:19], s[14:15]
	s_cbranch_execz .LBB8_313
; %bb.308:                              ;   in Loop: Header=BB8_289 Depth=2
	v_add_u32_e32 v2, 1, v6
	v_ashrrev_i32_e32 v7, v2, v22
	v_sub_u32_e32 v10, 0, v7
	v_max_i32_e32 v10, v7, v10
	v_mul_hi_u32 v0, v10, v0
	v_mul_lo_u32 v11, v0, v24
	v_sub_u32_e32 v10, v10, v11
	v_add_u32_e32 v11, 1, v0
	v_cmp_ge_u32_e64 s[14:15], v10, v24
	v_ashrrev_i32_e32 v2, 31, v7
	v_xor_b32_e32 v2, v2, v23
	v_cndmask_b32_e64 v0, v0, v11, s[14:15]
	v_sub_u32_e32 v11, v10, v24
	v_cndmask_b32_e64 v10, v10, v11, s[14:15]
	v_add_u32_e32 v11, 1, v0
	v_cmp_ge_u32_e64 s[14:15], v10, v24
	s_nop 1
	v_cndmask_b32_e64 v0, v0, v11, s[14:15]
	v_xor_b32_e32 v0, v0, v2
	v_sub_u32_e32 v2, v0, v2
	v_mul_lo_u32 v0, v2, v3
	v_sub_u32_e32 v0, v7, v0
	v_mul_lo_u32 v3, v0, v19
	ds_write_b32 v0, v3 offset:8
                                        ; implicit-def: $sgpr14
	s_and_saveexec_b64 s[20:21], s[12:13]
	s_xor_b64 s[12:13], exec, s[20:21]
; %bb.309:                              ;   in Loop: Header=BB8_289 Depth=2
	s_mov_b32 s14, 0
                                        ; implicit-def: $vgpr0
                                        ; implicit-def: $vgpr21
                                        ; implicit-def: $vgpr7
                                        ; implicit-def: $vgpr6
; %bb.310:                              ;   in Loop: Header=BB8_289 Depth=2
	s_or_saveexec_b64 s[20:21], s[12:13]
	v_mov_b32_e32 v3, s14
	s_xor_b64 exec, exec, s[20:21]
; %bb.311:                              ;   in Loop: Header=BB8_289 Depth=2
	v_cmp_eq_u32_e64 s[12:13], v0, v21
	v_lshlrev_b32_e32 v0, 1, v7
	v_add_lshl_u32 v0, v0, 3, v6
	v_cmp_ge_i32_e64 s[14:15], v0, v1
	s_or_b64 s[12:13], s[12:13], s[14:15]
	v_cndmask_b32_e64 v3, 0, 1, s[12:13]
	v_mov_b32_e32 v2, 0
; %bb.312:                              ;   in Loop: Header=BB8_289 Depth=2
	s_or_b64 exec, exec, s[20:21]
	ds_write_b64 v0, v[2:3] offset:16
.LBB8_313:                              ;   in Loop: Header=BB8_289 Depth=2
	s_or_b64 exec, exec, s[18:19]
.LBB8_314:                              ;   in Loop: Header=BB8_289 Depth=2
	s_andn2_saveexec_b64 s[12:13], s[16:17]
	s_cbranch_execz .LBB8_316
; %bb.315:                              ;   in Loop: Header=BB8_289 Depth=2
	ds_write2_b32 v0, v33, v8 offset0:2 offset1:5
.LBB8_316:                              ;   in Loop: Header=BB8_289 Depth=2
	s_or_b64 exec, exec, s[12:13]
	v_cmp_ge_i32_e64 s[14:15], v9, v1
	v_cmp_lt_i32_e64 s[12:13], v20, v1
	s_and_b64 s[12:13], s[14:15], s[12:13]
	s_and_b64 s[16:17], vcc, s[12:13]
	s_and_saveexec_b64 s[12:13], s[16:17]
	s_cbranch_execz .LBB8_318
; %bb.317:                              ;   in Loop: Header=BB8_289 Depth=2
	s_andn2_b64 s[14:15], s[14:15], exec
	ds_write2_b32 v0, v33, v33 offset0:1 offset1:3
	ds_write_b32 v0, v8 offset:24
.LBB8_318:                              ;   in Loop: Header=BB8_289 Depth=2
	s_or_b64 exec, exec, s[12:13]
	s_andn2_b64 s[12:13], s[44:45], exec
	s_and_b64 s[14:15], s[14:15], exec
	s_or_b64 s[44:45], s[12:13], s[14:15]
.LBB8_319:                              ;   in Loop: Header=BB8_289 Depth=2
	s_or_b64 exec, exec, s[46:47]
	s_and_b64 s[12:13], s[44:45], exec
                                        ; implicit-def: $vgpr19
.LBB8_320:                              ;   in Loop: Header=BB8_289 Depth=2
	s_andn2_saveexec_b64 s[14:15], s[42:43]
	s_cbranch_execz .LBB8_326
; %bb.321:                              ;   in Loop: Header=BB8_289 Depth=2
	v_cmp_eq_u32_e32 vcc, 0, v13
	s_mov_b64 s[18:19], 0
	s_and_saveexec_b64 s[16:17], vcc
	s_cbranch_execz .LBB8_325
; %bb.322:                              ;   in Loop: Header=BB8_289 Depth=2
	scratch_load_dword v11, off, s32 offset:68
	scratch_load_dword v6, off, s32 offset:60
	scratch_load_dwordx2 v[0:1], off, s32 offset:32
	scratch_load_dword v10, off, s32 offset:44
	scratch_load_dwordx2 v[2:3], off, s32 offset:16
	v_sub_u32_e32 v7, 0, v15
	v_max_i32_e32 v16, v15, v7
	v_mov_b32_e32 v9, v33
	v_ashrrev_i32_e32 v14, 31, v15
	s_waitcnt vmcnt(2)
	ds_write2_b32 v0, v33, v8 offset0:3 offset1:4
	ds_write_b64 v0, v[8:9]
	v_mad_u64_u32 v[6:7], s[18:19], v11, v15, v[6:7]
	v_sub_u32_e32 v7, 0, v1
	s_waitcnt vmcnt(1)
	v_sub_u32_e32 v17, 0, v10
	v_max_i32_e32 v7, v1, v7
	v_add_u32_e32 v20, -1, v10
	v_max_i32_e32 v10, v10, v17
	v_cvt_f32_u32_e32 v17, v7
	v_cvt_f32_u32_e32 v21, v10
	v_add_u32_e32 v0, v0, v6
	v_sub_u32_e32 v23, 0, v0
	v_rcp_iflag_f32_e32 v17, v17
	v_rcp_iflag_f32_e32 v21, v21
	v_sub_u32_e32 v24, 0, v7
	v_ashrrev_i32_e32 v22, 31, v0
	v_mul_f32_e32 v17, 0x4f7ffffe, v17
	v_mul_f32_e32 v21, 0x4f7ffffe, v21
	v_cvt_u32_f32_e32 v17, v17
	v_cvt_u32_f32_e32 v21, v21
	v_sub_u32_e32 v25, 0, v10
	v_max_i32_e32 v0, v0, v23
	v_mul_lo_u32 v23, v24, v17
	v_mul_lo_u32 v24, v25, v21
	v_mul_hi_u32 v23, v17, v23
	v_mul_hi_u32 v24, v21, v24
	v_add_u32_e32 v17, v17, v23
	v_add_u32_e32 v21, v21, v24
	v_mul_hi_u32 v17, v0, v17
	v_mul_hi_u32 v21, v16, v21
	v_mul_lo_u32 v17, v17, v7
	v_mul_lo_u32 v21, v21, v10
	v_sub_u32_e32 v0, v0, v17
	v_sub_u32_e32 v16, v16, v21
	;; [unrolled: 1-line block ×3, first 2 shown]
	v_cmp_ge_u32_e32 vcc, v0, v7
	v_sub_u32_e32 v21, v16, v10
	v_mov_b32_e32 v9, v8
	v_cndmask_b32_e32 v0, v0, v17, vcc
	v_cmp_ge_u32_e32 vcc, v16, v10
	v_sub_u32_e32 v17, v0, v7
	s_nop 0
	v_cndmask_b32_e32 v16, v16, v21, vcc
	v_cmp_ge_u32_e32 vcc, v0, v7
	v_sub_u32_e32 v21, v16, v10
	s_nop 0
	v_cndmask_b32_e32 v0, v0, v17, vcc
	v_cmp_ge_u32_e32 vcc, v16, v10
	v_xor_b32_e32 v0, v0, v22
	v_sub_u32_e32 v0, v0, v22
	v_cndmask_b32_e32 v7, v16, v21, vcc
	v_xor_b32_e32 v7, v7, v14
	v_ashrrev_i32_e32 v10, 31, v0
	v_sub_u32_e32 v7, v7, v14
	s_waitcnt vmcnt(0)
	v_mul_lo_u32 v3, v3, v0
	v_mad_u64_u32 v[16:17], s[18:19], v2, v0, v[4:5]
	v_mul_lo_u32 v2, v2, v10
	v_mul_lo_u32 v0, v7, v19
	v_add3_u32 v17, v3, v17, v2
	v_cmp_ne_u32_e32 vcc, v7, v20
	ds_write_b32 v0, v0 offset:8
	ds_write2_b64 v0, v[8:9], v[16:17] offset0:5 offset1:6
	v_mov_b32_e32 v0, 1
	s_and_saveexec_b64 s[18:19], vcc
; %bb.323:                              ;   in Loop: Header=BB8_289 Depth=2
	v_add_u32_e32 v0, v6, v11
	v_cmp_ge_i32_e32 vcc, v0, v1
	s_nop 1
	v_cndmask_b32_e64 v0, 0, 1, vcc
; %bb.324:                              ;   in Loop: Header=BB8_289 Depth=2
	s_or_b64 exec, exec, s[18:19]
	v_cmp_ge_i32_e32 vcc, v6, v1
	s_and_b64 s[18:19], vcc, exec
	ds_write2_b32 v0, v0, v8 offset0:5 offset1:6
.LBB8_325:                              ;   in Loop: Header=BB8_289 Depth=2
	s_or_b64 exec, exec, s[16:17]
	s_andn2_b64 s[12:13], s[12:13], exec
	s_and_b64 s[16:17], s[18:19], exec
	s_or_b64 s[12:13], s[12:13], s[16:17]
.LBB8_326:                              ;   in Loop: Header=BB8_289 Depth=2
	s_or_b64 exec, exec, s[14:15]
	s_orn2_b64 s[14:15], s[12:13], exec
.LBB8_327:                              ;   in Loop: Header=BB8_289 Depth=2
	s_or_b64 exec, exec, s[24:25]
	scratch_load_dword v0, off, s32 offset:52
	v_add_u32_e32 v1, 1, v15
	scratch_store_dword off, v1, s32 offset:64
                                        ; implicit-def: $sgpr18_sgpr19
	s_waitcnt vmcnt(1)
	v_max_i32_e32 v2, v18, v0
	v_cmp_le_i32_e32 vcc, v2, v1
	s_and_saveexec_b64 s[12:13], vcc
	s_xor_b64 s[16:17], exec, s[12:13]
	s_cbranch_execz .LBB8_384
; %bb.328:                              ;   in Loop: Header=BB8_289 Depth=2
	v_cmp_lt_i32_e32 vcc, 1, v13
                                        ; implicit-def: $vgpr2
	s_and_saveexec_b64 s[12:13], vcc
	s_xor_b64 s[12:13], exec, s[12:13]
	s_cbranch_execz .LBB8_332
; %bb.329:                              ;   in Loop: Header=BB8_289 Depth=2
	v_cmp_eq_u32_e32 vcc, 2, v13
	v_mov_b32_e32 v2, 1
	s_and_saveexec_b64 s[18:19], vcc
	s_cbranch_execz .LBB8_331
; %bb.330:                              ;   in Loop: Header=BB8_289 Depth=2
	scratch_load_dword v0, off, s32 offset:72
	s_waitcnt vmcnt(0)
	v_lshrrev_b32_e32 v1, 31, v0
	v_add_u32_e32 v2, 1, v0
	v_add_u32_e32 v0, v0, v1
	v_cmp_gt_u32_e32 vcc, 3, v2
	v_ashrrev_i32_e32 v0, 1, v0
	scratch_store_dword off, v0, s32 offset:72
	v_cndmask_b32_e64 v2, 2, 1, vcc
.LBB8_331:                              ;   in Loop: Header=BB8_289 Depth=2
	s_or_b64 exec, exec, s[18:19]
.LBB8_332:                              ;   in Loop: Header=BB8_289 Depth=2
	s_andn2_saveexec_b64 s[12:13], s[12:13]
	s_cbranch_execz .LBB8_336
; %bb.333:                              ;   in Loop: Header=BB8_289 Depth=2
	v_cmp_eq_u32_e32 vcc, 1, v13
	v_mov_b32_e32 v2, 1
	s_and_saveexec_b64 s[18:19], vcc
	s_cbranch_execz .LBB8_335
; %bb.334:                              ;   in Loop: Header=BB8_289 Depth=2
	scratch_load_dword v0, off, s32 offset:60
	s_waitcnt vmcnt(0)
	v_and_b32_e32 v0, 0x80000001, v0
	v_cmp_ne_u32_e32 vcc, 1, v0
	s_nop 1
	v_cndmask_b32_e64 v2, 0, 1, vcc
.LBB8_335:                              ;   in Loop: Header=BB8_289 Depth=2
	s_or_b64 exec, exec, s[18:19]
.LBB8_336:                              ;   in Loop: Header=BB8_289 Depth=2
	s_or_b64 exec, exec, s[12:13]
	v_cmp_eq_u32_e32 vcc, 0, v13
	v_cmp_ne_u32_e64 s[20:21], 0, v13
	s_mov_b64 s[12:13], -1
	scratch_store_dword off, v2, s32 offset:76
	s_and_saveexec_b64 s[18:19], s[20:21]
	s_cbranch_execz .LBB8_346
; %bb.337:                              ;   in Loop: Header=BB8_289 Depth=2
	v_cmp_eq_u32_e64 s[12:13], 1, v13
	s_mov_b64 s[42:43], 0
	s_and_saveexec_b64 s[24:25], s[12:13]
	s_cbranch_execz .LBB8_339
; %bb.338:                              ;   in Loop: Header=BB8_289 Depth=2
	scratch_load_dword v0, off, s32 offset:60
	s_waitcnt vmcnt(0)
	v_and_b32_e32 v0, 1, v0
	v_cmp_eq_u32_e64 s[12:13], 0, v0
	s_and_b64 s[42:43], s[12:13], exec
.LBB8_339:                              ;   in Loop: Header=BB8_289 Depth=2
	s_or_b64 exec, exec, s[24:25]
	s_orn2_b64 s[12:13], s[42:43], exec
	s_or_b64 exec, exec, s[18:19]
	s_and_saveexec_b64 s[18:19], s[12:13]
	s_cbranch_execnz .LBB8_347
.LBB8_340:                              ;   in Loop: Header=BB8_289 Depth=2
	s_or_b64 exec, exec, s[18:19]
	s_mov_b64 s[12:13], 0
	s_and_saveexec_b64 s[18:19], vcc
	s_cbranch_execz .LBB8_342
.LBB8_341:                              ;   in Loop: Header=BB8_289 Depth=2
	scratch_load_dword v0, off, s32 offset:68
	scratch_load_dword v1, off, s32 offset:60
	s_andn2_b64 s[20:21], s[20:21], exec
	s_mov_b64 s[12:13], exec
	s_waitcnt vmcnt(1)
	v_lshrrev_b32_e32 v3, 31, v0
	v_add_u32_e32 v0, v0, v3
	v_ashrrev_i32_e32 v0, 1, v0
	s_waitcnt vmcnt(0)
	v_cmp_ne_u32_e32 vcc, v1, v0
	s_and_b64 s[24:25], vcc, exec
	s_or_b64 s[20:21], s[20:21], s[24:25]
.LBB8_342:                              ;   in Loop: Header=BB8_289 Depth=2
	s_or_b64 exec, exec, s[18:19]
                                        ; implicit-def: $sgpr18_sgpr19
	s_and_saveexec_b64 s[24:25], s[20:21]
	s_xor_b64 s[20:21], exec, s[24:25]
	s_cbranch_execz .LBB8_356
; %bb.343:                              ;   in Loop: Header=BB8_289 Depth=2
	scratch_load_dword v0, off, s32 offset:56
	v_cmp_lt_u32_e32 vcc, 1, v2
	scratch_store_dword off, v8, s32 offset:64
	s_waitcnt vmcnt(1)
	scratch_store_dword off, v0, s32 offset:48
	s_and_saveexec_b64 s[18:19], vcc
	s_cbranch_execz .LBB8_345
; %bb.344:                              ;   in Loop: Header=BB8_289 Depth=2
	scratch_load_dword v1, off, s32 offset:72
	v_sub_u32_e32 v6, 0, v0
	v_max_i32_e32 v6, v0, v6
	s_waitcnt vmcnt(0)
	v_lshlrev_b32_e32 v1, 1, v1
	v_sub_u32_e32 v2, 0, v1
	v_max_i32_e32 v2, v1, v2
	v_cvt_f32_u32_e32 v3, v2
	v_xor_b32_e32 v0, v0, v1
	v_sub_u32_e32 v1, 0, v2
	v_ashrrev_i32_e32 v0, 31, v0
	v_rcp_iflag_f32_e32 v3, v3
	s_nop 0
	v_mul_f32_e32 v3, 0x4f7ffffe, v3
	v_cvt_u32_f32_e32 v3, v3
	v_mul_lo_u32 v1, v1, v3
	v_mul_hi_u32 v1, v3, v1
	v_add_u32_e32 v1, v3, v1
	v_mul_hi_u32 v1, v6, v1
	v_mul_lo_u32 v3, v1, v2
	v_sub_u32_e32 v3, v6, v3
	v_add_u32_e32 v7, 1, v1
	v_cmp_ge_u32_e32 vcc, v3, v2
	v_sub_u32_e32 v6, v3, v2
	s_nop 0
	v_cndmask_b32_e32 v1, v1, v7, vcc
	v_cndmask_b32_e32 v3, v3, v6, vcc
	v_add_u32_e32 v6, 1, v1
	v_cmp_ge_u32_e32 vcc, v3, v2
	s_nop 1
	v_cndmask_b32_e32 v1, v1, v6, vcc
	v_xor_b32_e32 v1, v1, v0
	v_sub_u32_e32 v0, v1, v0
	scratch_store_dword off, v0, s32 offset:48
.LBB8_345:                              ;   in Loop: Header=BB8_289 Depth=2
	s_or_b64 exec, exec, s[18:19]
	s_mov_b64 s[18:19], 0
	s_andn2_b64 s[12:13], s[12:13], exec
	s_or_b64 exec, exec, s[20:21]
	s_and_saveexec_b64 s[20:21], s[12:13]
	s_cbranch_execz .LBB8_383
	s_branch .LBB8_357
.LBB8_346:                              ;   in Loop: Header=BB8_289 Depth=2
	s_or_b64 exec, exec, s[18:19]
	s_and_saveexec_b64 s[18:19], s[12:13]
	s_cbranch_execz .LBB8_340
.LBB8_347:                              ;   in Loop: Header=BB8_289 Depth=2
	scratch_load_dwordx2 v[0:1], off, s32 offset:80
	s_waitcnt vmcnt(0)
	v_cmp_lt_i32_e64 s[12:13], 0, v0
	s_and_saveexec_b64 s[24:25], s[12:13]
	s_cbranch_execz .LBB8_377
; %bb.348:                              ;   in Loop: Header=BB8_289 Depth=2
	s_mov_b32 s50, 0
	s_mov_b64 s[42:43], 0
	s_mov_b32 s51, s68
	s_branch .LBB8_352
.LBB8_349:                              ;   in Loop: Header=BB8_352 Depth=3
	s_or_b64 exec, exec, s[48:49]
	v_add_u32_e32 v1, 1, v6
	scratch_store_dword off, v1, s51
.LBB8_350:                              ;   in Loop: Header=BB8_352 Depth=3
	s_or_b64 exec, exec, s[46:47]
	v_mov_b32_e32 v1, v3
.LBB8_351:                              ;   in Loop: Header=BB8_352 Depth=3
	s_or_b64 exec, exec, s[44:45]
	s_add_i32 s50, s50, 1
	s_add_i32 s51, s51, 4
	v_cmp_eq_u32_e64 s[12:13], s50, v0
	s_or_b64 s[42:43], s[12:13], s[42:43]
	s_andn2_b64 exec, exec, s[42:43]
	s_cbranch_execz .LBB8_376
.LBB8_352:                              ;   Parent Loop BB8_4 Depth=1
                                        ;     Parent Loop BB8_289 Depth=2
                                        ; =>    This Inner Loop Header: Depth=3
	s_add_i32 s52, s51, 0xffffff80
	scratch_load_dword v3, off, s52
	s_waitcnt vmcnt(0)
	v_add_u32_e32 v3, -1, v3
	v_cmp_eq_u32_e64 s[12:13], 0, v3
	scratch_store_dword off, v3, s52
	s_and_saveexec_b64 s[44:45], s[12:13]
	s_cbranch_execz .LBB8_351
; %bb.353:                              ;   in Loop: Header=BB8_352 Depth=3
	s_lshl_b32 s53, 1, s50
	v_xor_b32_e32 v3, s53, v1
	v_mov_b32_e32 v6, s53
	scratch_store_dword off, v3, s32 offset:84
	scratch_store_dword off, v6, s52
	v_and_b32_e32 v6, s53, v1
	v_cmp_ne_u32_e64 s[12:13], 0, v6
	s_and_saveexec_b64 s[46:47], s[12:13]
	s_cbranch_execz .LBB8_350
; %bb.354:                              ;   in Loop: Header=BB8_352 Depth=3
	scratch_load_dword v6, off, s51
	s_waitcnt vmcnt(0)
	v_ffbl_b32_e32 v7, v6
	v_cmp_eq_u32_e64 s[12:13], 0, v6
	s_nop 1
	v_cndmask_b32_e64 v7, v7, v0, s[12:13]
	v_add3_u32 v7, s53, -1, v7
	v_cmp_eq_u32_e64 s[12:13], 0, v7
	scratch_store_dword off, v7, s52
	s_and_saveexec_b64 s[48:49], s[12:13]
	s_cbranch_execz .LBB8_349
; %bb.355:                              ;   in Loop: Header=BB8_352 Depth=3
	v_mov_b32_e32 v3, s53
	scratch_store_dword off, v1, s32 offset:84
	scratch_store_dword off, v3, s52
	v_mov_b32_e32 v3, v1
	s_branch .LBB8_349
.LBB8_356:                              ;   in Loop: Header=BB8_289 Depth=2
	s_or_b64 exec, exec, s[20:21]
	s_and_saveexec_b64 s[20:21], s[12:13]
	s_cbranch_execz .LBB8_383
.LBB8_357:                              ;   in Loop: Header=BB8_289 Depth=2
	scratch_load_dword v0, off, s32 offset:24
	scratch_load_dwordx2 v[6:7], off, s32 offset:8
                                        ; implicit-def: $sgpr24_sgpr25
	s_waitcnt vmcnt(1)
	v_ashrrev_i32_e32 v1, 31, v0
	v_lshl_add_u64 v[4:5], v[4:5], 0, v[0:1]
	s_waitcnt vmcnt(0)
	v_cmp_le_u64_e32 vcc, v[6:7], v[4:5]
	scratch_store_dwordx2 off, v[4:5], s32
	s_and_saveexec_b64 s[12:13], vcc
	s_xor_b64 s[12:13], exec, s[12:13]
	s_cbranch_execz .LBB8_359
; %bb.358:                              ;   in Loop: Header=BB8_289 Depth=2
	v_accvgpr_read_b32 v1, a24              ;  Reload Reuse
	v_accvgpr_read_b32 v0, a25              ;  Reload Reuse
	s_mov_b64 s[24:25], -1
	ds_write_b32 v0, v0 offset:32
                                        ; implicit-def: $vgpr6_vgpr7
                                        ; implicit-def: $vgpr4_vgpr5
                                        ; implicit-def: $vgpr0_vgpr1
.LBB8_359:                              ;   in Loop: Header=BB8_289 Depth=2
	s_andn2_saveexec_b64 s[42:43], s[12:13]
	s_cbranch_execz .LBB8_382
; %bb.360:                              ;   in Loop: Header=BB8_289 Depth=2
	scratch_load_dword v3, off, s32 offset:56
	scratch_load_dword v2, off, s32 offset:80
	v_sub_co_u32_e32 v4, vcc, v6, v4
	scratch_store_dword off, v8, s32 offset:84
	s_nop 0
	v_subb_co_u32_e32 v5, vcc, v7, v5, vcc
	v_cmp_lt_i64_e32 vcc, v[0:1], v[4:5]
	s_waitcnt vmcnt(2)
	v_add_u32_e32 v1, -2, v3
	v_cndmask_b32_e32 v0, v4, v0, vcc
	scratch_store_dword off, v0, s32 offset:28
	v_lshrrev_b32_e32 v0, 31, v3
	v_add_u32_e32 v0, v3, v0
	v_cmp_gt_u32_e32 vcc, -3, v1
	s_waitcnt vmcnt(2)
	v_cmp_lt_i32_e64 s[12:13], 0, v2
	v_ashrrev_i32_e32 v0, 1, v0
	v_cndmask_b32_e64 v1, 1, 2, vcc
	v_mov_b32_e32 v4, 0
	scratch_store_dwordx2 off, v[0:1], s32 offset:72
	s_and_saveexec_b64 s[44:45], s[12:13]
	s_cbranch_execz .LBB8_379
; %bb.361:                              ;   in Loop: Header=BB8_289 Depth=2
	v_cmp_ne_u32_e64 s[12:13], 1, v2
	s_mov_b64 s[48:49], -1
	v_mov_b32_e32 v4, 0
	s_and_saveexec_b64 s[46:47], s[12:13]
	s_cbranch_execz .LBB8_365
; %bb.362:                              ;   in Loop: Header=BB8_289 Depth=2
	v_and_b32_e32 v4, 0x7ffffffe, v2
	v_mov_b32_e32 v1, v2
	s_mov_b32 s50, 1
	s_mov_b32 s51, 0
	s_mov_b64 s[48:49], 0
	v_mov_b32_e32 v5, v4
	s_mov_b32 s52, s68
.LBB8_363:                              ;   Parent Loop BB8_4 Depth=1
                                        ;     Parent Loop BB8_289 Depth=2
                                        ; =>    This Inner Loop Header: Depth=3
	v_mov_b32_e32 v13, v12
	v_add_u32_e32 v5, -2, v5
	v_subrev_u32_e32 v7, s50, v1
	v_subrev_u32_e32 v6, s51, v2
	s_add_i32 s53, s52, 0xffffff80
	s_add_i32 s51, s51, 2
	;; [unrolled: 1-line block ×3, first 2 shown]
	scratch_store_dwordx2 off, v[12:13], s52
	s_add_i32 s52, s52, 8
	v_cmp_eq_u32_e64 s[12:13], 0, v5
	s_or_b64 s[48:49], s[12:13], s[48:49]
	scratch_store_dwordx2 off, v[6:7], s53
	s_andn2_b64 exec, exec, s[48:49]
	s_cbranch_execnz .LBB8_363
; %bb.364:                              ;   in Loop: Header=BB8_289 Depth=2
	s_or_b64 exec, exec, s[48:49]
	v_cmp_ne_u32_e64 s[12:13], v2, v4
	s_orn2_b64 s[48:49], s[12:13], exec
.LBB8_365:                              ;   in Loop: Header=BB8_289 Depth=2
	s_or_b64 exec, exec, s[46:47]
	s_and_saveexec_b64 s[46:47], s[48:49]
	s_cbranch_execz .LBB8_368
; %bb.366:                              ;   in Loop: Header=BB8_289 Depth=2
	v_lshl_add_u32 v1, v4, 2, s68
	v_sub_u32_e32 v4, v2, v4
	s_mov_b64 s[48:49], 0
.LBB8_367:                              ;   Parent Loop BB8_4 Depth=1
                                        ;     Parent Loop BB8_289 Depth=2
                                        ; =>    This Inner Loop Header: Depth=3
	v_add_u32_e32 v5, 0xffffff80, v1
	scratch_store_dword v1, v12, off
	scratch_store_dword v5, v4, off
	v_add_u32_e32 v4, -1, v4
	v_cmp_eq_u32_e64 s[12:13], 0, v4
	s_or_b64 s[48:49], s[12:13], s[48:49]
	v_add_u32_e32 v1, 4, v1
	s_andn2_b64 exec, exec, s[48:49]
	s_cbranch_execnz .LBB8_367
.LBB8_368:                              ;   in Loop: Header=BB8_289 Depth=2
	s_or_b64 exec, exec, s[46:47]
	s_mov_b32 s55, 0
	s_mov_b64 s[46:47], 0
	v_mov_b32_e32 v4, 0
	s_mov_b32 s56, s68
	s_branch .LBB8_372
.LBB8_369:                              ;   in Loop: Header=BB8_372 Depth=3
	s_or_b64 exec, exec, s[52:53]
	v_add_u32_e32 v4, 1, v5
	scratch_store_dword off, v4, s56
.LBB8_370:                              ;   in Loop: Header=BB8_372 Depth=3
	s_or_b64 exec, exec, s[50:51]
	v_mov_b32_e32 v4, v1
.LBB8_371:                              ;   in Loop: Header=BB8_372 Depth=3
	s_or_b64 exec, exec, s[48:49]
	s_add_i32 s55, s55, 1
	s_add_i32 s56, s56, 4
	v_cmp_eq_u32_e64 s[12:13], s55, v2
	s_or_b64 s[46:47], s[12:13], s[46:47]
	s_andn2_b64 exec, exec, s[46:47]
	s_cbranch_execz .LBB8_378
.LBB8_372:                              ;   Parent Loop BB8_4 Depth=1
                                        ;     Parent Loop BB8_289 Depth=2
                                        ; =>    This Inner Loop Header: Depth=3
	s_add_i32 s57, s56, 0xffffff80
	scratch_load_dword v1, off, s57
	s_waitcnt vmcnt(0)
	v_add_u32_e32 v1, -1, v1
	v_cmp_eq_u32_e64 s[12:13], 0, v1
	scratch_store_dword off, v1, s57
	s_and_saveexec_b64 s[48:49], s[12:13]
	s_cbranch_execz .LBB8_371
; %bb.373:                              ;   in Loop: Header=BB8_372 Depth=3
	s_lshl_b32 s58, 1, s55
	v_xor_b32_e32 v1, s58, v4
	v_mov_b32_e32 v5, s58
	scratch_store_dword off, v1, s32 offset:84
	scratch_store_dword off, v5, s57
	v_and_b32_e32 v5, s58, v4
	v_cmp_ne_u32_e64 s[12:13], 0, v5
	s_and_saveexec_b64 s[50:51], s[12:13]
	s_cbranch_execz .LBB8_370
; %bb.374:                              ;   in Loop: Header=BB8_372 Depth=3
	scratch_load_dword v5, off, s56
	s_waitcnt vmcnt(0)
	v_ffbl_b32_e32 v6, v5
	v_cmp_eq_u32_e64 s[12:13], 0, v5
	s_nop 1
	v_cndmask_b32_e64 v6, v6, v2, s[12:13]
	v_add3_u32 v6, s58, -1, v6
	v_cmp_eq_u32_e64 s[12:13], 0, v6
	scratch_store_dword off, v6, s57
	s_and_saveexec_b64 s[52:53], s[12:13]
	s_cbranch_execz .LBB8_369
; %bb.375:                              ;   in Loop: Header=BB8_372 Depth=3
	v_mov_b32_e32 v1, s58
	scratch_store_dword off, v4, s32 offset:84
	scratch_store_dword off, v1, s57
	v_mov_b32_e32 v1, v4
	s_branch .LBB8_369
.LBB8_376:                              ;   in Loop: Header=BB8_289 Depth=2
	s_or_b64 exec, exec, s[42:43]
.LBB8_377:                              ;   in Loop: Header=BB8_289 Depth=2
	s_or_b64 exec, exec, s[24:25]
	scratch_store_dword off, v1, s32 offset:60
	s_or_b64 exec, exec, s[18:19]
	s_mov_b64 s[12:13], 0
	s_and_saveexec_b64 s[18:19], vcc
	s_cbranch_execz .LBB8_342
	s_branch .LBB8_341
.LBB8_378:                              ;   in Loop: Header=BB8_289 Depth=2
	s_or_b64 exec, exec, s[46:47]
.LBB8_379:                              ;   in Loop: Header=BB8_289 Depth=2
	s_or_b64 exec, exec, s[44:45]
	v_mov_b32_e32 v5, v8
	scratch_store_dwordx2 off, v[4:5], s32 offset:60
	s_and_saveexec_b64 s[12:13], vcc
	s_cbranch_execz .LBB8_381
; %bb.380:                              ;   in Loop: Header=BB8_289 Depth=2
	v_ashrrev_i32_e32 v1, 31, v0
	v_lshl_add_u32 v0, v0, 1, v1
	v_xor_b32_e32 v0, v0, v1
	v_cvt_f32_u32_e32 v2, v0
	v_ashrrev_i32_e32 v4, 31, v3
	v_xor_b32_e32 v1, v4, v1
	v_sub_u32_e32 v4, 0, v0
	v_rcp_iflag_f32_e32 v2, v2
	v_sub_u32_e32 v5, 0, v3
	v_max_i32_e32 v3, v3, v5
	v_mul_f32_e32 v2, 0x4f7ffffe, v2
	v_cvt_u32_f32_e32 v2, v2
	v_mul_lo_u32 v4, v4, v2
	v_mul_hi_u32 v4, v2, v4
	v_add_u32_e32 v2, v2, v4
	v_mul_hi_u32 v2, v3, v2
	v_mul_lo_u32 v4, v2, v0
	v_sub_u32_e32 v3, v3, v4
	v_add_u32_e32 v5, 1, v2
	v_cmp_ge_u32_e32 vcc, v3, v0
	v_sub_u32_e32 v4, v3, v0
	s_nop 0
	v_cndmask_b32_e32 v2, v2, v5, vcc
	v_cndmask_b32_e32 v3, v3, v4, vcc
	v_add_u32_e32 v4, 1, v2
	v_cmp_ge_u32_e32 vcc, v3, v0
	s_nop 1
	v_cndmask_b32_e32 v0, v2, v4, vcc
	v_xor_b32_e32 v0, v0, v1
	v_sub_u32_e32 v3, v0, v1
.LBB8_381:                              ;   in Loop: Header=BB8_289 Depth=2
	s_or_b64 exec, exec, s[12:13]
	s_andn2_b64 s[24:25], s[24:25], exec
	scratch_store_dword off, v3, s32 offset:48
.LBB8_382:                              ;   in Loop: Header=BB8_289 Depth=2
	s_or_b64 exec, exec, s[42:43]
	s_andn2_b64 s[12:13], s[18:19], exec
	s_and_b64 s[18:19], s[24:25], exec
	s_or_b64 s[18:19], s[12:13], s[18:19]
.LBB8_383:                              ;   in Loop: Header=BB8_289 Depth=2
	s_or_b64 exec, exec, s[20:21]
	s_and_b64 s[18:19], s[18:19], exec
                                        ; implicit-def: $vgpr13
                                        ; implicit-def: $vgpr4_vgpr5
                                        ; implicit-def: $vgpr18
                                        ; implicit-def: $vgpr0
                                        ; implicit-def: $vgpr15
.LBB8_384:                              ;   in Loop: Header=BB8_289 Depth=2
	s_andn2_saveexec_b64 s[16:17], s[16:17]
	s_cbranch_execz .LBB8_288
; %bb.385:                              ;   in Loop: Header=BB8_289 Depth=2
	scratch_load_dword v1, off, s32 offset:60
	v_cmp_eq_u32_e32 vcc, 0, v13
	s_waitcnt vmcnt(0)
	v_cmp_eq_u32_e64 s[12:13], 1, v1
	s_and_b64 s[20:21], vcc, s[12:13]
	s_and_saveexec_b64 s[12:13], s[20:21]
	s_cbranch_execz .LBB8_287
; %bb.386:                              ;   in Loop: Header=BB8_289 Depth=2
	scratch_load_dword v2, off, s32 offset:24
	scratch_load_dwordx2 v[6:7], off, s32 offset:8
	s_waitcnt vmcnt(1)
	v_ashrrev_i32_e32 v3, 31, v2
	v_lshl_add_u64 v[2:3], v[4:5], 0, v[2:3]
	s_waitcnt vmcnt(0)
	v_cmp_ge_u64_e32 vcc, v[2:3], v[6:7]
	s_and_b64 exec, exec, vcc
	s_cbranch_execz .LBB8_287
; %bb.387:                              ;   in Loop: Header=BB8_289 Depth=2
	v_sub_u32_e32 v1, 0, v0
	v_max_i32_e32 v0, v0, v1
	v_cvt_f32_u32_e32 v1, v0
	v_sub_u32_e32 v5, 0, v0
	v_add_u32_e32 v2, -1, v18
	v_sub_u32_e32 v3, 1, v18
	v_rcp_iflag_f32_e32 v1, v1
	v_max_i32_e32 v3, v2, v3
	v_ashrrev_i32_e32 v4, 31, v2
	v_mul_f32_e32 v1, 0x4f7ffffe, v1
	v_cvt_u32_f32_e32 v1, v1
	v_mul_lo_u32 v5, v5, v1
	v_mul_hi_u32 v5, v1, v5
	v_add_u32_e32 v1, v1, v5
	v_mul_hi_u32 v1, v3, v1
	v_mul_lo_u32 v1, v1, v0
	v_sub_u32_e32 v1, v3, v1
	v_sub_u32_e32 v3, v1, v0
	v_cmp_ge_u32_e32 vcc, v1, v0
	s_nop 1
	v_cndmask_b32_e32 v1, v1, v3, vcc
	v_sub_u32_e32 v3, v1, v0
	v_cmp_ge_u32_e32 vcc, v1, v0
	s_nop 1
	v_cndmask_b32_e32 v0, v1, v3, vcc
	v_xor_b32_e32 v0, v0, v4
	v_sub_u32_e32 v0, v4, v0
	v_add_u32_e32 v0, v2, v0
	v_cmp_ge_i32_e32 vcc, v15, v0
	s_and_b64 exec, exec, vcc
	s_cbranch_execz .LBB8_287
; %bb.388:                              ;   in Loop: Header=BB8_289 Depth=2
	ds_write_b32 v0, v12 offset:32
	s_branch .LBB8_287
.LBB8_389:
	v_readlane_b32 s30, v63, 39
	v_readlane_b32 s31, v63, 40
	;; [unrolled: 1-line block ×41, first 2 shown]
	v_accvgpr_read_b32 v62, a23             ;  Reload Reuse
	v_accvgpr_read_b32 v61, a22             ;  Reload Reuse
	;; [unrolled: 1-line block ×14, first 2 shown]
	v_accvgpr_read_b32 v40, a5              ;  Reload Reuse
	s_or_saveexec_b64 s[0:1], -1
	scratch_load_dword v63, off, s32 offset:344 ; 4-byte Folded Reload
	s_mov_b64 exec, s[0:1]
	s_waitcnt vmcnt(0)
	s_setpc_b64 s[30:31]
.Lfunc_end8:
	.size	_Z45ncclDevFunc_AllGather_PAT_SIMPLE_Sum_i8_0_0_1v, .Lfunc_end8-_Z45ncclDevFunc_AllGather_PAT_SIMPLE_Sum_i8_0_0_1v
                                        ; -- End function
	.section	.AMDGPU.csdata,"",@progbits
; Function info:
; codeLenInByte = 15260
; NumSgprs: 79
; NumVgprs: 64
; NumAgprs: 28
; TotalNumVgprs: 92
; ScratchSize: 352
; MemoryBound: 0
	.text
	.p2align	2                               ; -- Begin function _ZN12_GLOBAL__N_17runRingIa7FuncSumIaE7ProtoLLLi0ELi2ELi0ELb0EEEviiP15ncclDevWorkColl
	.type	_ZN12_GLOBAL__N_17runRingIa7FuncSumIaE7ProtoLLLi0ELi2ELi0ELb0EEEviiP15ncclDevWorkColl,@function
_ZN12_GLOBAL__N_17runRingIa7FuncSumIaE7ProtoLLLi0ELi2ELi0ELb0EEEviiP15ncclDevWorkColl: ; @_ZN12_GLOBAL__N_17runRingIa7FuncSumIaE7ProtoLLLi0ELi2ELi0ELb0EEEviiP15ncclDevWorkColl
; %bb.0:
	s_waitcnt vmcnt(0) expcnt(0) lgkmcnt(0)
	s_or_saveexec_b64 s[0:1], -1
	scratch_store_dword off, v63, s32 offset:88 ; 4-byte Folded Spill
	s_mov_b64 exec, s[0:1]
	scratch_store_dword off, v40, s32 offset:84 ; 4-byte Folded Spill
	scratch_store_dword off, v41, s32 offset:80 ; 4-byte Folded Spill
	scratch_store_dword off, v42, s32 offset:76 ; 4-byte Folded Spill
	scratch_store_dword off, v43, s32 offset:72 ; 4-byte Folded Spill
	scratch_store_dword off, v44, s32 offset:68 ; 4-byte Folded Spill
	scratch_store_dword off, v45, s32 offset:64 ; 4-byte Folded Spill
	scratch_store_dword off, v46, s32 offset:60 ; 4-byte Folded Spill
	scratch_store_dword off, v47, s32 offset:56 ; 4-byte Folded Spill
	scratch_store_dword off, v56, s32 offset:52 ; 4-byte Folded Spill
	scratch_store_dword off, v57, s32 offset:48 ; 4-byte Folded Spill
	scratch_store_dword off, v58, s32 offset:44 ; 4-byte Folded Spill
	scratch_store_dword off, v59, s32 offset:40 ; 4-byte Folded Spill
	scratch_store_dword off, v60, s32 offset:36 ; 4-byte Folded Spill
	scratch_store_dword off, v61, s32 offset:32 ; 4-byte Folded Spill
	scratch_store_dword off, v62, s32 offset:28 ; 4-byte Folded Spill
	scratch_store_dword off, a32, s32 offset:24 ; 4-byte Folded Spill
	scratch_store_dword off, a33, s32 offset:20 ; 4-byte Folded Spill
	scratch_store_dword off, a34, s32 offset:16 ; 4-byte Folded Spill
	scratch_store_dword off, a35, s32 offset:12 ; 4-byte Folded Spill
	scratch_store_dword off, a36, s32 offset:8 ; 4-byte Folded Spill
	scratch_store_dword off, a37, s32 offset:4 ; 4-byte Folded Spill
	scratch_store_dword off, a38, s32       ; 4-byte Folded Spill
	v_writelane_b32 v63, s34, 0
	v_writelane_b32 v63, s35, 1
	;; [unrolled: 1-line block ×22, first 2 shown]
	s_nop 1
	v_writelane_b32 v63, s31, 22
	s_trap 2
	flat_load_dword v9, v[2:3]
	flat_load_dwordx4 v[22:25], v[2:3] offset:72
	flat_load_dwordx2 v[4:5], v[2:3] offset:88
	v_mov_b32_e32 v16, v1
	ds_read_b32 v1, v0
	ds_read_b64 v[18:19], v0
                                        ; implicit-def: $vgpr12_vgpr13
                                        ; implicit-def: $agpr4_agpr5
	s_waitcnt lgkmcnt(0)
	v_readfirstlane_b32 s50, v1
	s_waitcnt vmcnt(0)
	v_not_b32_sdwa v8, v9 dst_sel:DWORD dst_unused:UNUSED_PAD src0_sel:BYTE_0
	v_add_u32_sdwa v6, v9, v8 dst_sel:DWORD dst_unused:UNUSED_PAD src0_sel:BYTE_1 src1_sel:DWORD
	v_ashrrev_i32_e32 v10, 31, v6
	v_mul_lo_u32 v11, v25, v6
	v_mad_u64_u32 v[6:7], s[0:1], v24, v6, 0
	v_mul_lo_u32 v10, v24, v10
	v_add3_u32 v7, v7, v10, v11
	v_cmp_ne_u32_sdwa s[0:1], v9, v1 src0_sel:BYTE_0 src1_sel:DWORD
	s_and_saveexec_b64 s[2:3], s[0:1]
	s_xor_b64 s[0:1], exec, s[2:3]
	s_cbranch_execz .LBB9_6
; %bb.1:
	v_cmp_ne_u32_sdwa s[2:3], v9, v1 src0_sel:BYTE_1 src1_sel:DWORD
                                        ; implicit-def: $vgpr12_vgpr13
                                        ; implicit-def: $agpr4_agpr5
	s_and_saveexec_b64 s[4:5], s[2:3]
	s_xor_b64 s[2:3], exec, s[4:5]
	s_cbranch_execz .LBB9_3
; %bb.2:
	flat_load_dwordx2 v[10:11], v[2:3] offset:96
	v_add_u32_e32 v1, v1, v8
	v_ashrrev_i32_e32 v8, 31, v1
	v_mul_lo_u32 v8, v24, v8
	v_mul_lo_u32 v9, v25, v1
	v_mad_u64_u32 v[12:13], s[4:5], v24, v1, v[22:23]
	v_add3_u32 v13, v9, v13, v8
	v_accvgpr_write_b32 a4, v12
	v_accvgpr_write_b32 a5, v13
	s_waitcnt vmcnt(0) lgkmcnt(0)
	v_lshrrev_b64 v[12:13], 21, v[10:11]
.LBB9_3:
	s_andn2_saveexec_b64 s[2:3], s[2:3]
	s_cbranch_execz .LBB9_5
; %bb.4:
	flat_load_dword v1, v[2:3] offset:100
	v_lshl_add_u64 v[8:9], v[6:7], 0, v[22:23]
	v_accvgpr_write_b32 a4, v8
	v_accvgpr_write_b32 a5, v9
	v_mov_b64_e32 v[24:25], v[4:5]
	s_waitcnt vmcnt(0) lgkmcnt(0)
	v_lshrrev_b32_e32 v12, 10, v1
.LBB9_5:
	s_or_b64 exec, exec, s[2:3]
.LBB9_6:
	s_andn2_saveexec_b64 s[0:1], s[0:1]
	s_cbranch_execz .LBB9_8
; %bb.7:
	flat_load_dwordx2 v[12:13], v[2:3] offset:96
	v_mov_b64_e32 v[8:9], 0
	v_accvgpr_write_b32 a4, v8
	v_accvgpr_write_b32 a5, v9
	v_mov_b64_e32 v[24:25], v[22:23]
.LBB9_8:
	s_or_b64 exec, exec, s[0:1]
	flat_load_dwordx4 v[26:29], v[2:3] offset:16
	v_lshl_add_u64 v[4:5], v[4:5], 0, v[22:23]
	v_lshl_add_u64 v[22:23], v[4:5], 0, v[6:7]
	v_cmp_ge_i32_e32 vcc, v0, v16
	s_and_saveexec_b64 s[0:1], vcc
	s_xor_b64 s[0:1], exec, s[0:1]
	s_cbranch_execz .LBB9_41
; %bb.9:
	flat_load_dword v1, v[18:19]
	s_waitcnt vmcnt(0) lgkmcnt(0)
	v_ashrrev_i32_e32 v3, 31, v1
	v_mul_lo_u32 v2, v23, v1
	v_mul_lo_u32 v3, v22, v3
	v_mad_u64_u32 v[4:5], s[2:3], v22, v1, v[26:27]
	v_add3_u32 v5, v2, v5, v3
	v_cmp_ne_u64_e32 vcc, v[28:29], v[4:5]
	s_and_saveexec_b64 s[2:3], vcc
	s_cbranch_execz .LBB9_40
; %bb.10:
	v_mad_u64_u32 v[4:5], s[4:5], v22, v1, 0
	v_sub_u32_e32 v1, v0, v16
	v_accvgpr_read_b32 v7, a5
	v_ashrrev_i32_e32 v0, 31, v1
	v_accvgpr_read_b32 v6, a4
	v_lshrrev_b32_e32 v0, 26, v0
	v_add3_u32 v5, v5, v3, v2
	v_lshl_add_u64 v[2:3], v[28:29], 0, v[6:7]
	v_lshl_add_u64 v[6:7], v[26:27], 0, v[6:7]
	v_add_u32_e32 v0, v1, v0
	v_lshl_add_u64 v[4:5], v[6:7], 0, v[4:5]
	v_and_b32_e32 v6, 0xffffffc0, v0
	v_sub_u32_e32 v18, v1, v6
	v_cmp_gt_i32_e32 vcc, 1, v18
	v_mov_b32_e32 v1, 0
	s_and_saveexec_b64 s[4:5], vcc
; %bb.11:
	v_or_b32_e32 v1, v2, v4
	v_and_b32_e32 v1, 15, v1
	v_cmp_ne_u32_e32 vcc, 0, v1
	s_nop 1
	v_cndmask_b32_e64 v1, 0, 1, vcc
; %bb.12:
	s_or_b64 exec, exec, s[4:5]
	v_ashrrev_i32_e32 v19, 6, v0
	;;#ASMSTART
	;;#ASMEND
	s_nop 0
	v_cmp_ne_u32_e32 vcc, 0, v1
	s_cbranch_vccz .LBB9_14
; %bb.13:
	s_mov_b64 s[14:15], -1
	s_mov_b64 s[6:7], 0
	v_mov_b64_e32 v[6:7], 0
	s_mov_b64 s[4:5], 0
                                        ; implicit-def: $vgpr8_vgpr9
                                        ; implicit-def: $vgpr0_vgpr1
	v_mov_b32_e32 v15, v18
	v_mov_b32_e32 v17, v19
	s_and_saveexec_b64 s[10:11], s[14:15]
	s_cbranch_execnz .LBB9_25
	s_branch .LBB9_34
.LBB9_14:
	v_ashrrev_i32_e32 v0, 31, v25
	v_lshrrev_b32_e32 v0, 20, v0
	v_mov_b32_e32 v1, 0
	v_lshl_add_u64 v[0:1], v[24:25], 0, v[0:1]
	v_ashrrev_i64 v[10:11], 12, v[0:1]
	v_ashrrev_i32_e32 v0, 31, v19
	v_sub_co_u32_e32 v14, vcc, v10, v19
	s_mov_b64 s[14:15], 0
	s_nop 0
	v_subb_co_u32_e32 v15, vcc, v11, v0, vcc
	v_cmp_gt_i64_e32 vcc, 1, v[14:15]
	s_mov_b64 s[4:5], -1
	v_mov_b64_e32 v[6:7], 0
	s_mov_b64 s[6:7], 0
                                        ; implicit-def: $vgpr8_vgpr9
                                        ; implicit-def: $vgpr0_vgpr1
                                        ; implicit-def: $vgpr15
                                        ; implicit-def: $vgpr17
	s_and_saveexec_b64 s[10:11], vcc
	s_cbranch_execz .LBB9_24
; %bb.15:
	v_lshlrev_b64 v[0:1], 12, v[10:11]
	v_cmp_ne_u64_e32 vcc, v[24:25], v[0:1]
	v_mov_b64_e32 v[6:7], 0
                                        ; implicit-def: $vgpr8_vgpr9
                                        ; implicit-def: $vgpr15
                                        ; implicit-def: $vgpr17
	s_and_saveexec_b64 s[4:5], vcc
	s_cbranch_execz .LBB9_23
; %bb.16:
	v_sub_co_u32_e32 v6, vcc, v24, v0
	v_mov_b32_e32 v9, 0
	s_nop 0
	v_subb_co_u32_e32 v7, vcc, v25, v1, vcc
	v_ashrrev_i32_e32 v8, 31, v7
	v_lshrrev_b32_e32 v8, 22, v8
	v_lshl_add_u64 v[10:11], v[6:7], 0, v[8:9]
	v_ashrrev_i64 v[16:17], 10, v[10:11]
	v_and_b32_e32 v10, 0xfffffc00, v10
	v_lshl_add_u64 v[12:13], v[10:11], 0, v[0:1]
	v_sub_co_u32_e32 v10, vcc, v6, v10
	s_nop 1
	v_subb_co_u32_e32 v11, vcc, v7, v11, vcc
	v_cmp_lt_i64_e32 vcc, 15, v[10:11]
	s_and_saveexec_b64 s[6:7], vcc
; %bb.17:
	v_and_b32_e32 v8, 15, v24
	v_sub_co_u32_e32 v10, vcc, v10, v8
	v_lshl_add_u64 v[16:17], v[16:17], 0, 1
	s_nop 0
	v_subbrev_co_u32_e32 v11, vcc, 0, v11, vcc
	v_lshl_add_u64 v[12:13], v[10:11], 0, v[12:13]
	v_mov_b64_e32 v[10:11], v[8:9]
; %bb.18:
	s_or_b64 exec, exec, s[6:7]
	v_lshlrev_b32_e32 v8, 6, v14
	v_sub_u32_e32 v8, v18, v8
	v_ashrrev_i32_e32 v9, 31, v8
	v_lshrrev_b32_e32 v9, 26, v9
	v_add_u32_e32 v9, v8, v9
	v_ashrrev_i32_e32 v14, 6, v9
	v_and_b32_e32 v9, 0xffffffc0, v9
	v_sub_u32_e32 v20, v8, v9
	v_lshlrev_b32_e32 v8, 4, v20
	v_lshl_add_u32 v8, v14, 10, v8
	v_ashrrev_i32_e32 v9, 31, v8
	v_sub_co_u32_e32 v6, vcc, v6, v8
	s_mov_b64 s[16:17], -1
	s_nop 0
	v_subb_co_u32_e32 v7, vcc, v7, v9, vcc
	v_cmp_gt_i64_e32 vcc, 16, v[6:7]
	v_mov_b64_e32 v[6:7], 0
                                        ; implicit-def: $vgpr24_vgpr25
                                        ; implicit-def: $vgpr15
                                        ; implicit-def: $vgpr17
	s_and_saveexec_b64 s[6:7], vcc
	s_cbranch_execz .LBB9_22
; %bb.19:
	v_cmp_ne_u64_e32 vcc, 0, v[10:11]
	v_mov_b64_e32 v[6:7], 0
                                        ; implicit-def: $vgpr15
                                        ; implicit-def: $vgpr17
	s_and_saveexec_b64 s[16:17], vcc
; %bb.20:
	v_sub_u32_e32 v6, v14, v16
	v_lshl_add_u32 v6, v6, 6, v20
	v_ashrrev_i32_e32 v7, 31, v6
	v_lshrrev_b32_e32 v7, 26, v7
	v_add_u32_e32 v7, v6, v7
	v_and_b32_e32 v14, 0xffffffc0, v7
	s_mov_b64 s[14:15], exec
	v_sub_u32_e32 v15, v6, v14
	v_ashrrev_i32_e32 v17, 6, v7
	v_mov_b64_e32 v[6:7], v[12:13]
; %bb.21:
	s_or_b64 exec, exec, s[16:17]
	s_xor_b64 s[16:17], exec, -1
	s_and_b64 s[14:15], s[14:15], exec
	v_mov_b64_e32 v[24:25], v[10:11]
.LBB9_22:
	s_or_b64 exec, exec, s[6:7]
	s_and_b64 s[6:7], s[16:17], exec
	s_and_b64 s[14:15], s[14:15], exec
.LBB9_23:
	s_or_b64 exec, exec, s[4:5]
	s_xor_b64 s[4:5], exec, -1
	s_and_b64 s[6:7], s[6:7], exec
	s_and_b64 s[14:15], s[14:15], exec
.LBB9_24:
	s_or_b64 exec, exec, s[10:11]
	s_and_saveexec_b64 s[10:11], s[14:15]
	s_cbranch_execz .LBB9_34
.LBB9_25:
	v_ashrrev_i32_e32 v10, 31, v25
	v_lshrrev_b32_e32 v10, 22, v10
	v_mov_b32_e32 v11, 0
	v_lshl_add_u64 v[10:11], v[24:25], 0, v[10:11]
	v_ashrrev_i64 v[12:13], 10, v[10:11]
	v_ashrrev_i32_e32 v11, 31, v17
	v_sub_co_u32_e32 v10, vcc, v12, v17
	s_nop 1
	v_subb_co_u32_e32 v11, vcc, v13, v11, vcc
	v_cmp_gt_i64_e32 vcc, 1, v[10:11]
	s_and_saveexec_b64 s[14:15], vcc
	s_xor_b64 s[14:15], exec, s[14:15]
	s_cbranch_execz .LBB9_31
; %bb.26:
	v_lshlrev_b64 v[12:13], 10, v[12:13]
	v_cmp_ne_u64_e32 vcc, v[24:25], v[12:13]
	s_and_saveexec_b64 s[16:17], vcc
	s_cbranch_execz .LBB9_30
; %bb.27:
	v_lshlrev_b32_e32 v10, 6, v10
	v_sub_co_u32_e32 v16, vcc, v24, v12
	v_sub_u32_e32 v10, v15, v10
	s_nop 0
	v_subb_co_u32_e32 v17, vcc, v25, v13, vcc
	v_ashrrev_i32_e32 v11, 31, v10
	v_cmp_gt_i64_e32 vcc, v[16:17], v[10:11]
	s_and_b64 exec, exec, vcc
	s_cbranch_execz .LBB9_30
; %bb.28:
	v_lshl_add_u64 v[6:7], v[12:13], 0, v[6:7]
	v_lshl_add_u64 v[6:7], v[6:7], 0, v[10:11]
	;; [unrolled: 1-line block ×3, first 2 shown]
	flat_load_ubyte v10, v[10:11]
	v_lshl_add_u64 v[6:7], v[6:7], 0, v[4:5]
	s_and_b64 vcc, exec, -1
	s_waitcnt vmcnt(0) lgkmcnt(0)
	flat_store_byte v[6:7], v10 nt
.LBB9_29:                               ; =>This Inner Loop Header: Depth=1
	s_mov_b64 vcc, vcc
	s_cbranch_vccnz .LBB9_29
.LBB9_30:
	s_or_b64 exec, exec, s[16:17]
                                        ; implicit-def: $vgpr17
                                        ; implicit-def: $vgpr15
                                        ; implicit-def: $vgpr6_vgpr7
.LBB9_31:
	s_andn2_saveexec_b64 s[14:15], s[14:15]
	s_cbranch_execz .LBB9_34
; %bb.32:
	v_lshl_add_u32 v10, v17, 10, v15
	v_ashrrev_i32_e32 v11, 31, v10
	v_lshl_add_u64 v[10:11], v[6:7], 0, v[10:11]
	v_lshl_add_u64 v[6:7], v[10:11], 0, v[4:5]
	;; [unrolled: 1-line block ×3, first 2 shown]
	s_and_b64 vcc, exec, 0
.LBB9_33:                               ; =>This Inner Loop Header: Depth=1
	flat_load_ubyte v12, v[10:11] nt
	flat_load_ubyte v13, v[10:11] offset:64 nt
	flat_load_ubyte v14, v[10:11] offset:128 nt
	;; [unrolled: 1-line block ×15, first 2 shown]
	s_waitcnt vmcnt(0) lgkmcnt(0)
	flat_store_byte v[6:7], v12 nt
	flat_store_byte v[6:7], v13 offset:64 nt
	flat_store_byte v[6:7], v14 offset:128 nt
	;; [unrolled: 1-line block ×15, first 2 shown]
	s_mov_b64 vcc, vcc
	s_cbranch_vccz .LBB9_33
.LBB9_34:
	s_or_b64 exec, exec, s[10:11]
	s_and_saveexec_b64 s[10:11], s[6:7]
	s_cbranch_execz .LBB9_37
; %bb.35:
	v_lshl_add_u64 v[6:7], v[0:1], 0, v[8:9]
	v_lshl_add_u64 v[0:1], v[6:7], 0, v[4:5]
	v_lshl_add_u64 v[6:7], v[6:7], 0, v[2:3]
	s_and_b64 vcc, exec, 0
.LBB9_36:                               ; =>This Inner Loop Header: Depth=1
	global_load_dwordx4 v[8:11], v[6:7], off nt
	s_waitcnt vmcnt(0)
	global_store_dwordx4 v[0:1], v[8:11], off nt
	s_mov_b64 vcc, vcc
	s_cbranch_vccz .LBB9_36
.LBB9_37:
	s_or_b64 exec, exec, s[10:11]
	s_and_saveexec_b64 s[6:7], s[4:5]
	s_xor_b64 s[6:7], exec, s[6:7]
	s_cbranch_execz .LBB9_40
; %bb.38:
	v_lshlrev_b32_e32 v0, 4, v18
	v_lshl_add_u32 v6, v19, 12, v0
	v_ashrrev_i32_e32 v7, 31, v6
	v_lshl_add_u64 v[0:1], v[4:5], 0, v[6:7]
	v_lshl_add_u64 v[2:3], v[2:3], 0, v[6:7]
	s_and_b64 vcc, exec, 0
.LBB9_39:                               ; =>This Inner Loop Header: Depth=1
	global_load_dwordx4 v[4:7], v[2:3], off nt
	global_load_dwordx4 v[8:11], v[2:3], off offset:1024 nt
	global_load_dwordx4 v[12:15], v[2:3], off offset:2048 nt
	;; [unrolled: 1-line block ×3, first 2 shown]
	s_waitcnt vmcnt(0)
	global_store_dwordx4 v[0:1], v[4:7], off nt
	global_store_dwordx4 v[0:1], v[8:11], off offset:1024 nt
	global_store_dwordx4 v[0:1], v[12:15], off offset:2048 nt
	;; [unrolled: 1-line block ×3, first 2 shown]
	s_mov_b64 vcc, vcc
	s_cbranch_vccz .LBB9_39
.LBB9_40:
	s_or_b64 exec, exec, s[2:3]
                                        ; implicit-def: $vgpr24_vgpr25
                                        ; implicit-def: $agpr4_agpr5
                                        ; implicit-def: $vgpr12_vgpr13
                                        ; implicit-def: $vgpr22_vgpr23
                                        ; implicit-def: $vgpr0
                                        ; implicit-def: $vgpr16
                                        ; implicit-def: $vgpr18_vgpr19
                                        ; implicit-def: $vgpr31
                                        ; implicit-def: $vgpr28_vgpr29
                                        ; implicit-def: $vgpr2_vgpr3
.LBB9_41:
	s_andn2_saveexec_b64 s[16:17], s[0:1]
	s_cbranch_execz .LBB9_349
; %bb.42:
	flat_load_ushort v5, v[2:3] offset:8
	flat_load_dword v4, v[2:3] offset:4
	s_load_dword s0, s[8:9], 0x0
	v_mov_b32_e32 v7, 0
	v_ashrrev_i32_e32 v1, 31, v0
	v_lshrrev_b32_e32 v8, 26, v1
	s_mov_b32 s2, 0
	s_waitcnt lgkmcnt(0)
	s_cmp_lt_u32 s12, s0
	s_cselect_b32 s0, 12, 18
	s_add_u32 s0, s8, s0
	s_addc_u32 s1, s9, 0
	global_load_ushort v10, v7, s[0:1]
	s_trap 2
	ds_read_b32 v6, v0
	v_mov_b64_e32 v[14:15], 0
	s_waitcnt lgkmcnt(0)
	v_cmp_gt_i32_e32 vcc, 0, v6
	s_and_b64 vcc, exec, vcc
	s_waitcnt vmcnt(0)
	v_lshrrev_b64 v[2:3], 31, v[4:5]
	v_and_b32_e32 v5, 3, v2
	v_add_u32_e32 v2, v0, v8
	v_and_b32_e32 v2, 0xffffffc0, v2
	v_sub_u32_e32 v4, v0, v2
	v_cmp_eq_u32_e64 s[0:1], 0, v4
	s_cbranch_vccnz .LBB9_44
; %bb.43:
	s_trap 2
	ds_read_b64 v[2:3], v0
	v_lshlrev_b64 v[8:9], 3, v[6:7]
	v_and_b32_e32 v7, 0xffff, v5
	s_movk_i32 s2, 0xa8
	s_waitcnt lgkmcnt(0)
	v_lshl_add_u64 v[2:3], v[2:3], 0, v[8:9]
	flat_load_dwordx2 v[2:3], v[2:3]
	s_waitcnt vmcnt(0) lgkmcnt(0)
	v_mad_u64_u32 v[2:3], s[2:3], v7, s2, v[2:3]
	flat_load_dwordx2 a[14:15], v[2:3] offset:504
	flat_load_dwordx2 v[32:33], v[2:3] offset:608
	s_mov_b64 s[2:3], 0x1f8
	v_lshl_add_u64 v[2:3], v[2:3], 0, s[2:3]
	v_cndmask_b32_e64 v21, 0, v3, s[0:1]
	v_cndmask_b32_e64 v20, 0, v2, s[0:1]
	s_mov_b32 s2, 1
	s_branch .LBB9_45
.LBB9_44:
	v_mov_b64_e32 v[20:21], v[14:15]
                                        ; implicit-def: $vgpr32_vgpr33
                                        ; implicit-def: $agpr14_agpr15
.LBB9_45:
	s_trap 2
	ds_read_b32 v2, v0
	s_waitcnt lgkmcnt(0)
	v_cmp_gt_i32_e32 vcc, 0, v2
	s_cbranch_vccnz .LBB9_47
; %bb.46:
	s_trap 2
	ds_read_b64 v[8:9], v0
	v_mov_b32_e32 v3, 0
	v_lshlrev_b64 v[2:3], 3, v[2:3]
	v_and_b32_e32 v5, 0xffff, v5
	s_movk_i32 s0, 0xa8
	s_waitcnt lgkmcnt(0)
	v_lshl_add_u64 v[2:3], v[8:9], 0, v[2:3]
	flat_load_dwordx2 v[2:3], v[2:3]
	v_cmp_eq_u32_e32 vcc, 0, v4
	s_waitcnt vmcnt(0) lgkmcnt(0)
	v_mad_u64_u32 v[2:3], s[0:1], v5, s0, v[2:3]
	flat_load_dwordx2 v[34:35], v[2:3]
	flat_load_dwordx2 v[58:59], v[2:3] offset:104
	v_cndmask_b32_e32 v15, 0, v3, vcc
	v_cndmask_b32_e32 v14, 0, v2, vcc
	s_branch .LBB9_48
.LBB9_47:
                                        ; implicit-def: $vgpr58_vgpr59
                                        ; implicit-def: $vgpr34_vgpr35
.LBB9_48:
	v_subrev_u32_e32 v2, 64, v16
	v_cmp_le_i32_e32 vcc, v2, v0
	v_cmp_gt_i32_e64 s[0:1], s2, v4
	v_mov_b64_e32 v[2:3], 0
	s_and_b64 s[18:19], vcc, s[0:1]
	v_mov_b64_e32 v[38:39], v[2:3]
                                        ; implicit-def: $vgpr36_vgpr37
	s_and_saveexec_b64 s[0:1], s[18:19]
	s_cbranch_execz .LBB9_50
; %bb.49:
	flat_load_dwordx2 v[38:39], v[20:21] offset:56
	flat_load_dwordx2 v[36:37], v[20:21] offset:104
.LBB9_50:
	s_or_b64 exec, exec, s[0:1]
	v_cmp_gt_i32_e64 s[0:1], s2, v0
	v_mov_b64_e32 v[48:49], v[2:3]
                                        ; implicit-def: $vgpr52_vgpr53
	s_and_saveexec_b64 s[2:3], s[0:1]
	s_cbranch_execz .LBB9_52
; %bb.51:
	flat_load_dwordx2 v[48:49], v[14:15] offset:56
	s_waitcnt vmcnt(0) lgkmcnt(0)
	flat_load_dwordx2 v[52:53], v[48:49] sc0 sc1
	s_waitcnt vmcnt(0)
	flat_load_dwordx4 v[2:5], v[14:15] offset:96
.LBB9_52:
	s_or_b64 exec, exec, s[2:3]
	v_cmp_ne_u64_e32 vcc, 0, v[24:25]
	v_mov_b64_e32 v[50:51], 0
	s_and_saveexec_b64 s[20:21], vcc
	s_cbranch_execz .LBB9_325
; %bb.53:
	v_ashrrev_i32_e32 v7, 31, v6
	v_lshrrev_b32_e32 v7, 29, v7
	v_add_u32_e32 v6, v6, v7
	v_mov_b32_e32 v41, 0
	v_ashrrev_i32_e32 v62, 7, v6
	v_lshlrev_b32_e32 v6, 4, v12
	v_mov_b32_e32 v9, v41
	v_and_b32_e32 v8, 0x1fffff0, v6
	v_cvt_f64_u32_e32 v[6:7], 0
	v_accvgpr_write_b32 a17, v9
	v_ldexp_f64 v[6:7], v[6:7], 32
	v_accvgpr_write_b32 a16, v8
	v_cvt_f64_u32_e32 v[8:9], v8
	v_add_f64 v[6:7], v[6:7], v[8:9]
	v_accvgpr_write_b32 a19, v7
	v_accvgpr_write_b32 a18, v6
	v_and_b32_e32 v6, 63, v31
	v_ashrrev_i32_e32 v17, 31, v16
	v_cmp_eq_u32_e64 s[8:9], 0, v6
	v_lshrrev_b32_e32 v6, 26, v17
	v_add_u32_e32 v6, v16, v6
	v_accvgpr_write_b32 a12, v20
	v_ashrrev_i32_e32 v6, 6, v6
	v_accvgpr_write_b32 a13, v21
	v_ashrrev_i32_e32 v7, 31, v6
	v_lshlrev_b32_e32 v20, 3, v0
	v_accvgpr_write_b32 a21, v7
	v_ashrrev_i32_e32 v21, 31, v20
	v_accvgpr_write_b32 a20, v6
	v_lshl_add_u64 v[6:7], v[26:27], 0, v[20:21]
	v_accvgpr_write_b32 a25, v7
	v_accvgpr_write_b32 a24, v6
	v_lshl_add_u64 v[6:7], v[28:29], 0, v[20:21]
	v_accvgpr_read_b32 v9, a5
	v_accvgpr_read_b32 v8, a4
	v_accvgpr_write_b32 a27, v7
	v_accvgpr_write_b32 a26, v6
	v_lshl_add_u64 v[6:7], v[6:7], 0, v[8:9]
	v_accvgpr_write_b32 a29, v7
	v_accvgpr_write_b32 a28, v6
	v_lshlrev_b32_e32 v6, 3, v6
	v_accvgpr_write_b32 a1, v10
	v_cmp_ne_u32_sdwa s[24:25], v10, v16 src0_sel:WORD_0 src1_sel:DWORD
	v_accvgpr_write_b32 a30, v6
	v_and_b32_e32 v6, 0x1fffff, v12
	s_waitcnt vmcnt(0) lgkmcnt(0)
	v_lshl_add_u64 v[10:11], v[0:1], 4, v[34:35]
	v_accvgpr_write_b32 a10, v14
	s_mov_b32 s26, 0
	v_lshlrev_b32_e32 v56, 3, v16
	s_cmp_lt_i32 s50, 3
	v_accvgpr_write_b32 a6, v26
	v_lshlrev_b32_e32 v6, 7, v6
	v_accvgpr_write_b32 a33, v11
	v_mov_b64_e32 v[42:43], 0
	v_accvgpr_mov_b32 a35, a5
	v_accvgpr_write_b32 a23, v21
	v_accvgpr_write_b32 a11, v15
	s_mov_b64 s[22:23], 0
	v_cmp_ne_u64_e64 s[2:3], 0, v[48:49]
	v_cmp_ne_u64_e64 s[4:5], 0, v[2:3]
	v_cmp_ne_u32_e64 s[6:7], 64, v16
	v_accvgpr_write_b32 a0, v31
	s_mov_b32 s27, 1
	v_ashrrev_i32_e32 v57, 31, v56
	s_cselect_b64 s[28:29], -1, 0
	v_cmp_ne_u64_e64 s[10:11], 0, v[38:39]
	s_add_i32 s51, s50, -2
	v_accvgpr_write_b32 a7, v27
	v_accvgpr_write_b32 a8, v28
	;; [unrolled: 1-line block ×4, first 2 shown]
	v_mov_b64_e32 v[6:7], v[24:25]
	v_lshlrev_b32_e32 v27, 6, v16
	v_accvgpr_write_b32 a32, v10
	v_lshlrev_b64 v[24:25], 4, v[16:17]
	s_movk_i32 s52, 0x2710
	s_mov_b64 s[30:31], 0x7ffffff8
	v_accvgpr_mov_b32 a34, a4
	v_mov_b32_e32 v17, 0
	v_mov_b64_e32 v[50:51], v[42:43]
	v_accvgpr_write_b32 a22, v20
	s_branch .LBB9_55
.LBB9_54:                               ;   in Loop: Header=BB9_55 Depth=1
	s_or_b64 exec, exec, s[12:13]
	v_accvgpr_read_b32 v8, a16
	v_accvgpr_read_b32 v6, a34
	;; [unrolled: 1-line block ×4, first 2 shown]
	v_lshl_add_u64 v[6:7], v[6:7], 0, v[8:9]
	v_accvgpr_write_b32 a35, v7
	v_accvgpr_write_b32 a34, v6
	v_accvgpr_read_b32 v1, a30
	v_accvgpr_read_b32 v6, a31
	;; [unrolled: 1-line block ×3, first 2 shown]
	v_add_u32_e32 v1, v1, v6
	v_accvgpr_read_b32 v7, a3
	v_accvgpr_read_b32 v11, a29
	v_lshl_add_u64 v[42:43], v[42:43], 0, v[8:9]
	v_accvgpr_read_b32 v6, a2
	v_lshl_add_u64 v[10:11], v[10:11], 0, v[8:9]
	v_cmp_ge_u64_e32 vcc, v[42:43], v[6:7]
	v_accvgpr_write_b32 a29, v11
	v_lshl_add_u64 v[32:33], v[32:33], 0, 1
	v_accvgpr_write_b32 a30, v1
	s_or_b64 s[22:23], vcc, s[22:23]
	v_accvgpr_write_b32 a28, v10
	s_andn2_b64 exec, exec, s[22:23]
	s_cbranch_execz .LBB9_324
.LBB9_55:                               ; =>This Loop Header: Depth=1
                                        ;     Child Loop BB9_63 Depth 2
                                        ;     Child Loop BB9_80 Depth 2
	;; [unrolled: 1-line block ×9, first 2 shown]
                                        ;       Child Loop BB9_190 Depth 3
                                        ;       Child Loop BB9_206 Depth 3
	;; [unrolled: 1-line block ×3, first 2 shown]
                                        ;         Child Loop BB9_223 Depth 4
                                        ;       Child Loop BB9_257 Depth 3
                                        ;       Child Loop BB9_181 Depth 3
                                        ;     Child Loop BB9_274 Depth 2
                                        ;       Child Loop BB9_278 Depth 3
                                        ;     Child Loop BB9_312 Depth 2
	flat_load_dword v8, v[18:19]
	v_sub_co_u32_e32 v1, vcc, v6, v42
	v_accvgpr_read_b32 v11, a5
	v_accvgpr_write_b32 a2, v6
	v_subb_co_u32_e32 v9, vcc, v7, v43, vcc
	v_accvgpr_read_b32 v10, a4
	v_accvgpr_write_b32 a3, v7
	v_accvgpr_read_b32 v6, a18
	v_lshl_add_u64 v[54:55], v[42:43], 0, v[10:11]
	v_cvt_f64_u32_e32 v[10:11], v9
	v_accvgpr_read_b32 v7, a19
	v_cvt_f64_u32_e32 v[12:13], v1
	v_ldexp_f64 v[10:11], v[10:11], 32
	v_max_f64 v[6:7], v[6:7], v[6:7]
	v_add_f64 v[10:11], v[10:11], v[12:13]
	v_min_f64 v[6:7], v[6:7], v[10:11]
	v_cvt_i32_f64_e32 v1, v[6:7]
	v_max_i32_e32 v1, 0, v1
	v_add_u32_e32 v6, 7, v1
	v_ashrrev_i32_e32 v7, 31, v6
	v_lshrrev_b32_e32 v7, 29, v7
	v_accvgpr_read_b32 v31, a9
	v_add_u32_e32 v9, v6, v7
	v_accvgpr_read_b32 v30, a8
	v_accvgpr_read_b32 v29, a7
	v_accvgpr_read_b32 v28, a6
	v_lshl_add_u64 v[14:15], v[30:31], 0, v[54:55]
	v_accvgpr_write_b32 a36, v54
	v_accvgpr_write_b32 a37, v55
	s_waitcnt vmcnt(0) lgkmcnt(0)
	v_ashrrev_i32_e32 v11, 31, v8
	v_mul_lo_u32 v10, v23, v8
	v_mad_u64_u32 v[6:7], s[12:13], v22, v8, v[54:55]
	v_mul_lo_u32 v11, v22, v11
	v_add3_u32 v7, v10, v7, v11
	v_lshl_add_u64 v[6:7], v[28:29], 0, v[6:7]
	v_cmp_ne_u64_e32 vcc, v[14:15], v[6:7]
	v_ashrrev_i32_e32 v6, 3, v9
	v_accvgpr_write_b32 a38, v6
	s_and_saveexec_b64 s[12:13], vcc
	s_xor_b64 s[14:15], exec, s[12:13]
	s_cbranch_execz .LBB9_121
; %bb.56:                               ;   in Loop: Header=BB9_55 Depth=1
	s_and_saveexec_b64 s[12:13], s[2:3]
	s_cbranch_execz .LBB9_72
; %bb.57:                               ;   in Loop: Header=BB9_55 Depth=1
	v_lshl_add_u64 v[6:7], v[4:5], 0, 1
	v_lshl_add_u64 v[12:13], v[52:53], 0, 8
	v_cmp_lt_u64_e32 vcc, v[12:13], v[6:7]
	s_and_saveexec_b64 s[34:35], vcc
	s_cbranch_execz .LBB9_69
; %bb.58:                               ;   in Loop: Header=BB9_55 Depth=1
	s_sleep 1
	flat_load_dwordx2 v[52:53], v[48:49] sc1
	v_cmp_eq_u32_e32 vcc, 0, v17
	s_and_saveexec_b64 s[36:37], vcc
	s_cbranch_execz .LBB9_68
; %bb.59:                               ;   in Loop: Header=BB9_55 Depth=1
	v_cndmask_b32_e64 v5, 0, 1, vcc
	s_mov_b64 s[38:39], 0
                                        ; implicit-def: $sgpr40_sgpr41
	s_branch .LBB9_63
.LBB9_60:                               ;   in Loop: Header=BB9_63 Depth=2
	s_or_b64 exec, exec, s[48:49]
	s_orn2_b64 s[46:47], s[46:47], exec
.LBB9_61:                               ;   in Loop: Header=BB9_63 Depth=2
	s_or_b64 exec, exec, s[44:45]
	s_xor_b64 vcc, s[46:47], -1
	s_andn2_b64 s[40:41], s[40:41], exec
	s_and_b64 vcc, vcc, exec
	s_or_b64 s[40:41], s[40:41], vcc
.LBB9_62:                               ;   in Loop: Header=BB9_63 Depth=2
	s_or_b64 exec, exec, s[42:43]
	s_and_b64 vcc, exec, s[40:41]
	s_or_b64 s[38:39], vcc, s[38:39]
	s_andn2_b64 exec, exec, s[38:39]
	s_cbranch_execz .LBB9_67
.LBB9_63:                               ;   Parent Loop BB9_55 Depth=1
                                        ; =>  This Inner Loop Header: Depth=2
	s_waitcnt vmcnt(0) lgkmcnt(0)
	v_lshl_add_u64 v[12:13], v[52:53], 0, 8
	v_cmp_lt_u64_e32 vcc, v[12:13], v[6:7]
	v_mov_b32_e32 v17, 0
	s_or_b64 s[40:41], s[40:41], exec
	s_and_saveexec_b64 s[42:43], vcc
	s_cbranch_execz .LBB9_62
; %bb.64:                               ;   in Loop: Header=BB9_63 Depth=2
	s_sleep 1
	flat_load_dwordx2 v[52:53], v[48:49] sc1
	v_add_u32_e32 v5, 1, v5
	v_cmp_eq_u32_e32 vcc, s52, v5
	s_mov_b64 s[46:47], -1
	v_mov_b32_e32 v17, 0
	s_and_saveexec_b64 s[44:45], vcc
	s_cbranch_execz .LBB9_61
; %bb.65:                               ;   in Loop: Header=BB9_63 Depth=2
	s_trap 2
	ds_read_b64 v[12:13], v0
	v_mov_b32_e32 v5, 0
	v_mov_b32_e32 v17, 0
	s_waitcnt vmcnt(0) lgkmcnt(0)
	flat_load_dword v9, v[12:13] sc0 sc1
	s_waitcnt vmcnt(0) lgkmcnt(0)
	buffer_inv sc0 sc1
	v_cmp_ne_u32_e32 vcc, 0, v9
	s_and_saveexec_b64 s[48:49], vcc
	s_cbranch_execz .LBB9_60
; %bb.66:                               ;   in Loop: Header=BB9_63 Depth=2
	v_mov_b32_e32 v17, 1
	s_xor_b64 s[46:47], exec, -1
	ds_write_b32 v0, v9
	s_trap 2
	s_branch .LBB9_60
.LBB9_67:                               ;   in Loop: Header=BB9_55 Depth=1
	s_or_b64 exec, exec, s[38:39]
.LBB9_68:                               ;   in Loop: Header=BB9_55 Depth=1
	s_or_b64 exec, exec, s[36:37]
.LBB9_69:                               ;   in Loop: Header=BB9_55 Depth=1
	s_or_b64 exec, exec, s[34:35]
	s_and_saveexec_b64 s[34:35], s[4:5]
	s_cbranch_execz .LBB9_71
; %bb.70:                               ;   in Loop: Header=BB9_55 Depth=1
	v_and_b32_e32 v40, 0x7ffffff8, v4
	v_cmp_eq_u64_e32 vcc, s[30:31], v[40:41]
	v_accvgpr_read_b32 v5, a38
	v_and_b32_e32 v4, 7, v4
	v_cndmask_b32_e32 v5, v5, v62, vcc
	v_lshlrev_b32_e32 v12, 4, v5
	v_ashrrev_i32_e32 v13, 31, v12
	v_mad_u64_u32 v[4:5], vcc, v4, 24, v[2:3]
	flat_store_dwordx2 v[4:5], v[12:13] offset:8 sc0 sc1
	s_waitcnt vmcnt(0)
.LBB9_71:                               ;   in Loop: Header=BB9_55 Depth=1
	s_or_b64 exec, exec, s[34:35]
	v_mov_b64_e32 v[4:5], v[6:7]
.LBB9_72:                               ;   in Loop: Header=BB9_55 Depth=1
	s_or_b64 exec, exec, s[12:13]
	v_mad_u64_u32 v[8:9], s[12:13], v22, v8, 0
	v_add3_u32 v9, v9, v11, v10
	s_and_saveexec_b64 s[12:13], s[6:7]
	s_cbranch_execz .LBB9_91
; %bb.73:                               ;   in Loop: Header=BB9_55 Depth=1
	s_and_saveexec_b64 vcc, s[24:25]
	s_xor_b64 s[34:35], exec, vcc
	s_cbranch_execz .LBB9_88
; %bb.74:                               ;   in Loop: Header=BB9_55 Depth=1
	s_and_saveexec_b64 s[36:37], s[8:9]
	s_cbranch_execz .LBB9_87
; %bb.75:                               ;   in Loop: Header=BB9_55 Depth=1
	s_mov_b64 s[40:41], exec
	v_mbcnt_lo_u32_b32 v6, s40, 0
	v_mbcnt_hi_u32_b32 v6, s41, v6
	v_cmp_eq_u32_e32 vcc, 0, v6
	s_waitcnt lgkmcnt(0)
	s_and_saveexec_b64 s[38:39], vcc
	s_cbranch_execz .LBB9_77
; %bb.76:                               ;   in Loop: Header=BB9_55 Depth=1
	s_bcnt1_i32_b64 vcc_lo, s[40:41]
	v_mov_b32_e32 v40, vcc_lo
	ds_add_u64 v0, v[40:41]
	s_trap 2
.LBB9_77:                               ;   in Loop: Header=BB9_55 Depth=1
	s_or_b64 exec, exec, s[38:39]
	s_trap 2
	ds_read_b64 v[6:7], v0
	v_accvgpr_read_b32 v10, a20
	v_accvgpr_read_b32 v11, a21
	v_lshl_add_u64 v[50:51], v[50:51], 0, v[10:11]
	s_waitcnt lgkmcnt(0)
	v_cmp_lt_u64_e32 vcc, v[6:7], v[50:51]
	s_and_saveexec_b64 s[38:39], vcc
	s_cbranch_execz .LBB9_86
; %bb.78:                               ;   in Loop: Header=BB9_55 Depth=1
	s_mov_b32 s53, 0
	s_mov_b64 s[40:41], 0
                                        ; implicit-def: $sgpr42_sgpr43
                                        ; implicit-def: $sgpr44_sgpr45
	s_branch .LBB9_80
.LBB9_79:                               ;   in Loop: Header=BB9_80 Depth=2
	s_or_b64 exec, exec, s[48:49]
	s_and_b64 vcc, exec, vcc
	s_or_b64 s[40:41], vcc, s[40:41]
	s_andn2_b64 vcc, s[42:43], exec
	s_and_b64 s[42:43], s[44:45], exec
	s_or_b64 s[42:43], vcc, s[42:43]
	s_andn2_b64 exec, exec, s[40:41]
	s_cbranch_execz .LBB9_84
.LBB9_80:                               ;   Parent Loop BB9_55 Depth=1
                                        ; =>  This Inner Loop Header: Depth=2
	s_add_i32 s53, s53, 1
	s_cmpk_lg_i32 s53, 0x2710
	s_cselect_b64 s[46:47], -1, 0
	s_and_b64 vcc, exec, s[46:47]
                                        ; implicit-def: $sgpr48_sgpr49
	s_cbranch_vccnz .LBB9_82
; %bb.81:                               ;   in Loop: Header=BB9_80 Depth=2
	s_trap 2
	ds_read_b64 v[6:7], v0
	s_andn2_b64 s[46:47], s[46:47], exec
	s_mov_b32 s53, 0
	s_mov_b64 s[48:49], -1
	s_waitcnt vmcnt(0) lgkmcnt(0)
	flat_load_dword v6, v[6:7] sc0 sc1
	s_waitcnt vmcnt(0) lgkmcnt(0)
	buffer_inv sc0 sc1
	v_cmp_eq_u32_e32 vcc, 0, v6
	s_and_b64 vcc, vcc, exec
	s_or_b64 s[46:47], s[46:47], vcc
.LBB9_82:                               ;   in Loop: Header=BB9_80 Depth=2
	s_andn2_b64 s[44:45], s[44:45], exec
	s_and_b64 s[48:49], s[48:49], exec
	s_mov_b64 vcc, -1
	s_or_b64 s[44:45], s[44:45], s[48:49]
	s_and_saveexec_b64 s[48:49], s[46:47]
	s_cbranch_execz .LBB9_79
; %bb.83:                               ;   in Loop: Header=BB9_80 Depth=2
	s_sleep 1
	s_trap 2
	ds_read_b64 v[6:7], v0
	s_andn2_b64 s[44:45], s[44:45], exec
	s_waitcnt lgkmcnt(0)
	v_cmp_ge_u64_e32 vcc, v[6:7], v[50:51]
	s_orn2_b64 vcc, vcc, exec
	s_branch .LBB9_79
.LBB9_84:                               ;   in Loop: Header=BB9_55 Depth=1
	s_or_b64 exec, exec, s[40:41]
	s_and_saveexec_b64 vcc, s[42:43]
	s_xor_b64 vcc, exec, vcc
	s_cbranch_execz .LBB9_86
; %bb.85:                               ;   in Loop: Header=BB9_55 Depth=1
	v_mov_b32_e32 v6, 1
	ds_write_b32 v0, v6
	s_trap 2
.LBB9_86:                               ;   in Loop: Header=BB9_55 Depth=1
	s_or_b64 exec, exec, s[38:39]
	;;#ASMSTART
	s_wakeup
	;;#ASMEND
.LBB9_87:                               ;   in Loop: Header=BB9_55 Depth=1
	s_or_b64 exec, exec, s[36:37]
.LBB9_88:                               ;   in Loop: Header=BB9_55 Depth=1
	s_andn2_saveexec_b64 vcc, s[34:35]
	s_cbranch_execz .LBB9_90
; %bb.89:                               ;   in Loop: Header=BB9_55 Depth=1
	s_waitcnt lgkmcnt(0)
	s_barrier
.LBB9_90:                               ;   in Loop: Header=BB9_55 Depth=1
	s_or_b64 exec, exec, vcc
.LBB9_91:                               ;   in Loop: Header=BB9_55 Depth=1
	s_or_b64 exec, exec, s[12:13]
	v_sub_u32_e32 v7, v1, v20
	v_cmp_lt_i32_e32 vcc, 0, v7
	v_mov_b32_e32 v6, v0
	s_and_saveexec_b64 s[34:35], vcc
	s_cbranch_execz .LBB9_117
; %bb.92:                               ;   in Loop: Header=BB9_55 Depth=1
	v_accvgpr_read_b32 v14, a24
	v_and_b32_e32 v6, 7, v58
	v_accvgpr_read_b32 v15, a25
	v_mul_lo_u32 v12, v6, v62
	v_lshl_add_u64 v[8:9], v[14:15], 0, v[8:9]
	v_accvgpr_read_b32 v14, a32
	v_ashrrev_i32_e32 v13, 31, v12
	v_accvgpr_read_b32 v15, a33
	v_mov_b32_e32 v10, v41
	v_mov_b32_e32 v11, v58
	v_lshl_add_u64 v[12:13], v[12:13], 4, v[14:15]
	v_accvgpr_read_b32 v14, a34
	v_lshl_add_u64 v[10:11], v[10:11], 0, s[26:27]
	s_mov_b64 s[36:37], 0
	v_accvgpr_read_b32 v20, a30
	v_accvgpr_read_b32 v15, a35
	v_mov_b32_e32 v6, v0
	s_branch .LBB9_94
.LBB9_93:                               ;   in Loop: Header=BB9_94 Depth=2
	v_sub_u32_e32 v7, v7, v56
	v_cmp_gt_i32_e32 vcc, 1, v7
	v_add_u32_e32 v6, v6, v16
	v_lshl_add_u64 v[14:15], v[14:15], 0, v[56:57]
	v_add_u32_e32 v20, v20, v27
	s_or_b64 s[36:37], vcc, s[36:37]
	v_lshl_add_u64 v[12:13], v[12:13], 0, v[24:25]
	s_andn2_b64 exec, exec, s[36:37]
	s_cbranch_execz .LBB9_116
.LBB9_94:                               ;   Parent Loop BB9_55 Depth=1
                                        ; =>  This Inner Loop Header: Depth=2
	v_accvgpr_read_b32 v29, a27
	v_accvgpr_read_b32 v28, a26
	v_lshl_add_u64 v[54:55], v[28:29], 0, v[14:15]
	v_and_b32_e32 v30, -4, v54
	v_mov_b32_e32 v31, v55
	global_load_dword v21, v[30:31], off nt
	v_min_u32_e32 v40, 8, v7
	v_and_b32_e32 v54, 3, v54
	v_mov_b32_e32 v55, 0
	v_lshl_add_u64 v[44:45], v[54:55], 0, v[40:41]
	v_cmp_lt_u64_e32 vcc, 4, v[44:45]
	v_mov_b32_e32 v26, 0
	s_and_saveexec_b64 s[12:13], vcc
	s_cbranch_execz .LBB9_96
; %bb.95:                               ;   in Loop: Header=BB9_94 Depth=2
	global_load_dword v26, v[30:31], off offset:4 nt
.LBB9_96:                               ;   in Loop: Header=BB9_94 Depth=2
	s_or_b64 exec, exec, s[12:13]
	v_cmp_lt_u64_e32 vcc, 8, v[44:45]
	s_and_saveexec_b64 s[12:13], vcc
	s_cbranch_execz .LBB9_98
; %bb.97:                               ;   in Loop: Header=BB9_94 Depth=2
	global_load_dword v55, v[30:31], off offset:8 nt
.LBB9_98:                               ;   in Loop: Header=BB9_94 Depth=2
	s_or_b64 exec, exec, s[12:13]
	s_waitcnt vmcnt(0)
	v_alignbit_b32 v54, v26, v21, v20
	v_alignbit_b32 v55, v55, v26, v20
	v_cmp_lt_u32_e32 vcc, 7, v7
	v_or_b32_e32 v44, v10, v54
	v_or_b32_e32 v46, v10, v55
	v_mov_b32_e32 v45, v11
	v_mov_b32_e32 v47, v11
	v_cndmask_b32_e64 v21, 0, 1, vcc
	global_store_dwordx4 v[12:13], v[44:47], off
	;;#ASMSTART
	;;#ASMEND
	v_lshl_add_u64 v[30:31], v[8:9], 0, v[14:15]
	v_cmp_ne_u32_e64 s[12:13], 0, v21
	s_cmp_lg_u64 s[12:13], exec
	s_mov_b64 s[12:13], -1
	s_cbranch_scc0 .LBB9_108
; %bb.99:                               ;   in Loop: Header=BB9_94 Depth=2
	v_cmp_ne_u32_e64 s[12:13], 1, v7
	flat_store_byte v[30:31], v54
	s_and_saveexec_b64 s[38:39], s[12:13]
	s_cbranch_execnz .LBB9_110
; %bb.100:                              ;   in Loop: Header=BB9_94 Depth=2
	s_or_b64 exec, exec, s[38:39]
	v_cmp_lt_u32_e64 s[12:13], 2, v7
	s_and_saveexec_b64 s[38:39], s[12:13]
	s_cbranch_execnz .LBB9_111
.LBB9_101:                              ;   in Loop: Header=BB9_94 Depth=2
	s_or_b64 exec, exec, s[38:39]
	v_cmp_lt_u32_e64 s[12:13], 3, v7
	s_and_saveexec_b64 s[38:39], s[12:13]
	s_cbranch_execnz .LBB9_112
.LBB9_102:                              ;   in Loop: Header=BB9_94 Depth=2
	s_or_b64 exec, exec, s[38:39]
	v_cmp_lt_u32_e64 s[12:13], 4, v7
	s_and_saveexec_b64 s[38:39], s[12:13]
	s_cbranch_execnz .LBB9_113
.LBB9_103:                              ;   in Loop: Header=BB9_94 Depth=2
	s_or_b64 exec, exec, s[38:39]
	v_cmp_lt_u32_e64 s[12:13], 5, v7
	s_and_saveexec_b64 s[38:39], s[12:13]
	s_cbranch_execnz .LBB9_114
.LBB9_104:                              ;   in Loop: Header=BB9_94 Depth=2
	s_or_b64 exec, exec, s[38:39]
	v_cmp_lt_u32_e64 s[12:13], 6, v7
	s_and_saveexec_b64 s[38:39], s[12:13]
	s_cbranch_execnz .LBB9_115
.LBB9_105:                              ;   in Loop: Header=BB9_94 Depth=2
	s_or_b64 exec, exec, s[38:39]
	s_and_saveexec_b64 s[12:13], vcc
	s_cbranch_execz .LBB9_107
.LBB9_106:                              ;   in Loop: Header=BB9_94 Depth=2
	v_lshrrev_b32_e32 v21, 24, v55
	flat_store_byte v[30:31], v21 offset:7
.LBB9_107:                              ;   in Loop: Header=BB9_94 Depth=2
	s_or_b64 exec, exec, s[12:13]
	s_mov_b64 s[12:13], 0
.LBB9_108:                              ;   in Loop: Header=BB9_94 Depth=2
	s_and_b64 vcc, exec, s[12:13]
	s_cbranch_vccz .LBB9_93
; %bb.109:                              ;   in Loop: Header=BB9_94 Depth=2
	global_store_dwordx2 v[30:31], v[54:55], off
	s_branch .LBB9_93
.LBB9_110:                              ;   in Loop: Header=BB9_94 Depth=2
	v_lshrrev_b32_e32 v21, 8, v54
	flat_store_byte v[30:31], v21 offset:1
	s_or_b64 exec, exec, s[38:39]
	v_cmp_lt_u32_e64 s[12:13], 2, v7
	s_and_saveexec_b64 s[38:39], s[12:13]
	s_cbranch_execz .LBB9_101
.LBB9_111:                              ;   in Loop: Header=BB9_94 Depth=2
	flat_store_byte_d16_hi v[30:31], v54 offset:2
	s_or_b64 exec, exec, s[38:39]
	v_cmp_lt_u32_e64 s[12:13], 3, v7
	s_and_saveexec_b64 s[38:39], s[12:13]
	s_cbranch_execz .LBB9_102
.LBB9_112:                              ;   in Loop: Header=BB9_94 Depth=2
	v_lshrrev_b32_e32 v21, 24, v54
	flat_store_byte v[30:31], v21 offset:3
	s_or_b64 exec, exec, s[38:39]
	v_cmp_lt_u32_e64 s[12:13], 4, v7
	s_and_saveexec_b64 s[38:39], s[12:13]
	s_cbranch_execz .LBB9_103
.LBB9_113:                              ;   in Loop: Header=BB9_94 Depth=2
	flat_store_byte v[30:31], v55 offset:4
	s_or_b64 exec, exec, s[38:39]
	v_cmp_lt_u32_e64 s[12:13], 5, v7
	s_and_saveexec_b64 s[38:39], s[12:13]
	s_cbranch_execz .LBB9_104
.LBB9_114:                              ;   in Loop: Header=BB9_94 Depth=2
	v_lshrrev_b32_e32 v21, 8, v55
	flat_store_byte v[30:31], v21 offset:5
	s_or_b64 exec, exec, s[38:39]
	v_cmp_lt_u32_e64 s[12:13], 6, v7
	s_and_saveexec_b64 s[38:39], s[12:13]
	s_cbranch_execz .LBB9_105
.LBB9_115:                              ;   in Loop: Header=BB9_94 Depth=2
	flat_store_byte_d16_hi v[30:31], v55 offset:6
	s_or_b64 exec, exec, s[38:39]
	s_and_saveexec_b64 s[12:13], vcc
	s_cbranch_execnz .LBB9_106
	s_branch .LBB9_107
.LBB9_116:                              ;   in Loop: Header=BB9_55 Depth=1
	s_or_b64 exec, exec, s[36:37]
	v_accvgpr_read_b32 v20, a22
	v_accvgpr_read_b32 v21, a23
.LBB9_117:                              ;   in Loop: Header=BB9_55 Depth=1
	s_or_b64 exec, exec, s[34:35]
	v_and_b32_e32 v40, 0x7ffffff8, v58
	v_cmp_eq_u64_e32 vcc, s[30:31], v[40:41]
	v_cmp_gt_i32_e64 s[12:13], v62, v6
	s_and_b64 vcc, vcc, s[12:13]
	s_and_saveexec_b64 s[12:13], vcc
	s_cbranch_execz .LBB9_120
; %bb.118:                              ;   in Loop: Header=BB9_55 Depth=1
	v_and_b32_e32 v7, 7, v58
	v_mul_lo_u32 v8, v7, v62
	v_ashrrev_i32_e32 v9, 31, v8
	v_ashrrev_i32_e32 v7, 31, v6
	v_lshlrev_b64 v[8:9], 4, v[8:9]
	v_mov_b32_e32 v10, v41
	v_mov_b32_e32 v11, v58
	v_lshl_add_u64 v[8:9], v[6:7], 4, v[8:9]
	v_lshl_add_u64 v[12:13], v[10:11], 0, s[26:27]
	;; [unrolled: 1-line block ×3, first 2 shown]
	s_mov_b64 s[34:35], 0
.LBB9_119:                              ;   Parent Loop BB9_55 Depth=1
                                        ; =>  This Inner Loop Header: Depth=2
	v_add_u32_e32 v6, v6, v16
	v_mov_b32_e32 v14, v12
	v_mov_b32_e32 v15, v13
	v_cmp_ge_i32_e32 vcc, v6, v62
	global_store_dwordx4 v[8:9], v[12:15], off
	s_or_b64 s[34:35], vcc, s[34:35]
	v_lshl_add_u64 v[8:9], v[8:9], 0, v[24:25]
	s_andn2_b64 exec, exec, s[34:35]
	s_cbranch_execnz .LBB9_119
.LBB9_120:                              ;   in Loop: Header=BB9_55 Depth=1
	s_or_b64 exec, exec, s[12:13]
.LBB9_121:                              ;   in Loop: Header=BB9_55 Depth=1
	s_andn2_saveexec_b64 s[14:15], s[14:15]
	s_cbranch_execz .LBB9_169
; %bb.122:                              ;   in Loop: Header=BB9_55 Depth=1
	s_and_saveexec_b64 s[12:13], s[2:3]
	s_cbranch_execz .LBB9_138
; %bb.123:                              ;   in Loop: Header=BB9_55 Depth=1
	v_lshl_add_u64 v[6:7], v[4:5], 0, 1
	s_waitcnt vmcnt(0) lgkmcnt(0)
	v_lshl_add_u64 v[8:9], v[52:53], 0, 8
	v_cmp_lt_u64_e32 vcc, v[8:9], v[6:7]
	s_and_saveexec_b64 s[34:35], vcc
	s_cbranch_execz .LBB9_135
; %bb.124:                              ;   in Loop: Header=BB9_55 Depth=1
	s_sleep 1
	flat_load_dwordx2 v[52:53], v[48:49] sc1
	v_cmp_eq_u32_e32 vcc, 0, v17
	s_and_saveexec_b64 s[36:37], vcc
	s_cbranch_execz .LBB9_134
; %bb.125:                              ;   in Loop: Header=BB9_55 Depth=1
	v_cndmask_b32_e64 v5, 0, 1, vcc
	s_mov_b64 s[38:39], 0
                                        ; implicit-def: $sgpr40_sgpr41
	s_branch .LBB9_129
.LBB9_126:                              ;   in Loop: Header=BB9_129 Depth=2
	s_or_b64 exec, exec, s[48:49]
	s_orn2_b64 s[46:47], s[46:47], exec
.LBB9_127:                              ;   in Loop: Header=BB9_129 Depth=2
	s_or_b64 exec, exec, s[44:45]
	s_xor_b64 vcc, s[46:47], -1
	s_andn2_b64 s[40:41], s[40:41], exec
	s_and_b64 vcc, vcc, exec
	s_or_b64 s[40:41], s[40:41], vcc
.LBB9_128:                              ;   in Loop: Header=BB9_129 Depth=2
	s_or_b64 exec, exec, s[42:43]
	s_and_b64 vcc, exec, s[40:41]
	s_or_b64 s[38:39], vcc, s[38:39]
	s_andn2_b64 exec, exec, s[38:39]
	s_cbranch_execz .LBB9_133
.LBB9_129:                              ;   Parent Loop BB9_55 Depth=1
                                        ; =>  This Inner Loop Header: Depth=2
	s_waitcnt vmcnt(0) lgkmcnt(0)
	v_lshl_add_u64 v[8:9], v[52:53], 0, 8
	v_cmp_lt_u64_e32 vcc, v[8:9], v[6:7]
	v_mov_b32_e32 v17, 0
	s_or_b64 s[40:41], s[40:41], exec
	s_and_saveexec_b64 s[42:43], vcc
	s_cbranch_execz .LBB9_128
; %bb.130:                              ;   in Loop: Header=BB9_129 Depth=2
	s_sleep 1
	flat_load_dwordx2 v[52:53], v[48:49] sc1
	v_add_u32_e32 v5, 1, v5
	v_cmp_eq_u32_e32 vcc, s52, v5
	s_mov_b64 s[46:47], -1
	v_mov_b32_e32 v17, 0
	s_and_saveexec_b64 s[44:45], vcc
	s_cbranch_execz .LBB9_127
; %bb.131:                              ;   in Loop: Header=BB9_129 Depth=2
	s_trap 2
	ds_read_b64 v[8:9], v0
	v_mov_b32_e32 v5, 0
	v_mov_b32_e32 v17, 0
	s_waitcnt vmcnt(0) lgkmcnt(0)
	flat_load_dword v8, v[8:9] sc0 sc1
	s_waitcnt vmcnt(0) lgkmcnt(0)
	buffer_inv sc0 sc1
	v_cmp_ne_u32_e32 vcc, 0, v8
	s_and_saveexec_b64 s[48:49], vcc
	s_cbranch_execz .LBB9_126
; %bb.132:                              ;   in Loop: Header=BB9_129 Depth=2
	v_mov_b32_e32 v17, 1
	s_xor_b64 s[46:47], exec, -1
	ds_write_b32 v0, v8
	s_trap 2
	s_branch .LBB9_126
.LBB9_133:                              ;   in Loop: Header=BB9_55 Depth=1
	s_or_b64 exec, exec, s[38:39]
.LBB9_134:                              ;   in Loop: Header=BB9_55 Depth=1
	s_or_b64 exec, exec, s[36:37]
.LBB9_135:                              ;   in Loop: Header=BB9_55 Depth=1
	s_or_b64 exec, exec, s[34:35]
	s_and_saveexec_b64 s[34:35], s[4:5]
	s_cbranch_execz .LBB9_137
; %bb.136:                              ;   in Loop: Header=BB9_55 Depth=1
	v_and_b32_e32 v40, 0x7ffffff8, v4
	v_cmp_eq_u64_e32 vcc, s[30:31], v[40:41]
	v_accvgpr_read_b32 v5, a38
	v_and_b32_e32 v4, 7, v4
	v_cndmask_b32_e32 v5, v5, v62, vcc
	v_lshlrev_b32_e32 v8, 4, v5
	v_ashrrev_i32_e32 v9, 31, v8
	v_mad_u64_u32 v[4:5], vcc, v4, 24, v[2:3]
	flat_store_dwordx2 v[4:5], v[8:9] offset:8 sc0 sc1
	s_waitcnt vmcnt(0)
.LBB9_137:                              ;   in Loop: Header=BB9_55 Depth=1
	s_or_b64 exec, exec, s[34:35]
	v_mov_b64_e32 v[4:5], v[6:7]
.LBB9_138:                              ;   in Loop: Header=BB9_55 Depth=1
	s_or_b64 exec, exec, s[12:13]
	s_and_saveexec_b64 s[12:13], s[6:7]
	s_cbranch_execz .LBB9_157
; %bb.139:                              ;   in Loop: Header=BB9_55 Depth=1
	s_and_saveexec_b64 vcc, s[24:25]
	s_xor_b64 s[34:35], exec, vcc
	s_cbranch_execz .LBB9_154
; %bb.140:                              ;   in Loop: Header=BB9_55 Depth=1
	s_and_saveexec_b64 s[36:37], s[8:9]
	s_cbranch_execz .LBB9_153
; %bb.141:                              ;   in Loop: Header=BB9_55 Depth=1
	s_mov_b64 s[40:41], exec
	v_mbcnt_lo_u32_b32 v6, s40, 0
	v_mbcnt_hi_u32_b32 v6, s41, v6
	v_cmp_eq_u32_e32 vcc, 0, v6
	s_waitcnt lgkmcnt(0)
	s_and_saveexec_b64 s[38:39], vcc
	s_cbranch_execz .LBB9_143
; %bb.142:                              ;   in Loop: Header=BB9_55 Depth=1
	s_bcnt1_i32_b64 vcc_lo, s[40:41]
	v_mov_b32_e32 v40, vcc_lo
	ds_add_u64 v0, v[40:41]
	s_trap 2
.LBB9_143:                              ;   in Loop: Header=BB9_55 Depth=1
	s_or_b64 exec, exec, s[38:39]
	s_trap 2
	ds_read_b64 v[6:7], v0
	v_accvgpr_read_b32 v8, a20
	v_accvgpr_read_b32 v9, a21
	v_lshl_add_u64 v[50:51], v[50:51], 0, v[8:9]
	s_waitcnt lgkmcnt(0)
	v_cmp_lt_u64_e32 vcc, v[6:7], v[50:51]
	s_and_saveexec_b64 s[38:39], vcc
	s_cbranch_execz .LBB9_152
; %bb.144:                              ;   in Loop: Header=BB9_55 Depth=1
	s_mov_b32 s53, 0
	s_mov_b64 s[40:41], 0
                                        ; implicit-def: $sgpr42_sgpr43
                                        ; implicit-def: $sgpr44_sgpr45
	s_branch .LBB9_146
.LBB9_145:                              ;   in Loop: Header=BB9_146 Depth=2
	s_or_b64 exec, exec, s[48:49]
	s_and_b64 vcc, exec, vcc
	s_or_b64 s[40:41], vcc, s[40:41]
	s_andn2_b64 vcc, s[42:43], exec
	s_and_b64 s[42:43], s[44:45], exec
	s_or_b64 s[42:43], vcc, s[42:43]
	s_andn2_b64 exec, exec, s[40:41]
	s_cbranch_execz .LBB9_150
.LBB9_146:                              ;   Parent Loop BB9_55 Depth=1
                                        ; =>  This Inner Loop Header: Depth=2
	s_add_i32 s53, s53, 1
	s_cmpk_lg_i32 s53, 0x2710
	s_cselect_b64 s[46:47], -1, 0
	s_and_b64 vcc, exec, s[46:47]
                                        ; implicit-def: $sgpr48_sgpr49
	s_cbranch_vccnz .LBB9_148
; %bb.147:                              ;   in Loop: Header=BB9_146 Depth=2
	s_trap 2
	ds_read_b64 v[6:7], v0
	s_andn2_b64 s[46:47], s[46:47], exec
	s_mov_b32 s53, 0
	s_mov_b64 s[48:49], -1
	s_waitcnt vmcnt(0) lgkmcnt(0)
	flat_load_dword v6, v[6:7] sc0 sc1
	s_waitcnt vmcnt(0) lgkmcnt(0)
	buffer_inv sc0 sc1
	v_cmp_eq_u32_e32 vcc, 0, v6
	s_and_b64 vcc, vcc, exec
	s_or_b64 s[46:47], s[46:47], vcc
.LBB9_148:                              ;   in Loop: Header=BB9_146 Depth=2
	s_andn2_b64 s[44:45], s[44:45], exec
	s_and_b64 s[48:49], s[48:49], exec
	s_mov_b64 vcc, -1
	s_or_b64 s[44:45], s[44:45], s[48:49]
	s_and_saveexec_b64 s[48:49], s[46:47]
	s_cbranch_execz .LBB9_145
; %bb.149:                              ;   in Loop: Header=BB9_146 Depth=2
	s_sleep 1
	s_trap 2
	ds_read_b64 v[6:7], v0
	s_andn2_b64 s[44:45], s[44:45], exec
	s_waitcnt lgkmcnt(0)
	v_cmp_ge_u64_e32 vcc, v[6:7], v[50:51]
	s_orn2_b64 vcc, vcc, exec
	s_branch .LBB9_145
.LBB9_150:                              ;   in Loop: Header=BB9_55 Depth=1
	s_or_b64 exec, exec, s[40:41]
	s_and_saveexec_b64 vcc, s[42:43]
	s_xor_b64 vcc, exec, vcc
	s_cbranch_execz .LBB9_152
; %bb.151:                              ;   in Loop: Header=BB9_55 Depth=1
	v_mov_b32_e32 v6, 1
	ds_write_b32 v0, v6
	s_trap 2
.LBB9_152:                              ;   in Loop: Header=BB9_55 Depth=1
	s_or_b64 exec, exec, s[38:39]
	;;#ASMSTART
	s_wakeup
	;;#ASMEND
.LBB9_153:                              ;   in Loop: Header=BB9_55 Depth=1
	s_or_b64 exec, exec, s[36:37]
.LBB9_154:                              ;   in Loop: Header=BB9_55 Depth=1
	s_andn2_saveexec_b64 vcc, s[34:35]
	s_cbranch_execz .LBB9_156
; %bb.155:                              ;   in Loop: Header=BB9_55 Depth=1
	s_waitcnt lgkmcnt(0)
	s_barrier
.LBB9_156:                              ;   in Loop: Header=BB9_55 Depth=1
	s_or_b64 exec, exec, vcc
.LBB9_157:                              ;   in Loop: Header=BB9_55 Depth=1
	s_or_b64 exec, exec, s[12:13]
	v_sub_u32_e32 v20, v1, v20
	v_cmp_lt_i32_e32 vcc, 0, v20
	v_and_b32_e32 v7, 7, v58
	v_mov_b32_e32 v6, v0
	s_and_saveexec_b64 s[12:13], vcc
	s_cbranch_execz .LBB9_165
; %bb.158:                              ;   in Loop: Header=BB9_55 Depth=1
	v_mul_lo_u32 v10, v7, v62
	v_accvgpr_read_b32 v12, a32
	v_ashrrev_i32_e32 v11, 31, v10
	v_accvgpr_read_b32 v13, a33
	v_mov_b32_e32 v8, v41
	v_mov_b32_e32 v9, v58
	v_lshl_add_u64 v[10:11], v[10:11], 4, v[12:13]
	v_accvgpr_read_b32 v12, a28
	v_lshl_add_u64 v[8:9], v[8:9], 0, s[26:27]
	s_mov_b64 s[34:35], 0
	v_accvgpr_read_b32 v21, a30
	v_accvgpr_read_b32 v13, a29
	v_mov_b32_e32 v6, v0
	s_branch .LBB9_160
.LBB9_159:                              ;   in Loop: Header=BB9_160 Depth=2
	s_or_b64 exec, exec, s[36:37]
	s_waitcnt vmcnt(0)
	v_alignbit_b32 v14, v30, v26, v21
	v_alignbit_b32 v15, v31, v30, v21
	v_sub_u32_e32 v20, v20, v56
	v_or_b32_e32 v44, v8, v14
	v_or_b32_e32 v46, v8, v15
	v_mov_b32_e32 v45, v9
	v_mov_b32_e32 v47, v9
	v_cmp_gt_i32_e32 vcc, 1, v20
	global_store_dwordx4 v[10:11], v[44:47], off
	v_add_u32_e32 v6, v6, v16
	v_lshl_add_u64 v[12:13], v[12:13], 0, v[56:57]
	v_add_u32_e32 v21, v21, v27
	s_or_b64 s[34:35], vcc, s[34:35]
	v_lshl_add_u64 v[10:11], v[10:11], 0, v[24:25]
	s_andn2_b64 exec, exec, s[34:35]
	s_cbranch_execz .LBB9_164
.LBB9_160:                              ;   Parent Loop BB9_55 Depth=1
                                        ; =>  This Inner Loop Header: Depth=2
	v_and_b32_e32 v14, -4, v12
	v_mov_b32_e32 v15, v13
	global_load_dword v26, v[14:15], off nt
	v_min_u32_e32 v40, 8, v20
	v_and_b32_e32 v30, 3, v12
	v_mov_b32_e32 v31, 0
	v_lshl_add_u64 v[54:55], v[30:31], 0, v[40:41]
	v_cmp_lt_u64_e32 vcc, 4, v[54:55]
	v_mov_b32_e32 v30, 0
	s_and_saveexec_b64 s[36:37], vcc
	s_cbranch_execz .LBB9_162
; %bb.161:                              ;   in Loop: Header=BB9_160 Depth=2
	global_load_dword v30, v[14:15], off offset:4 nt
.LBB9_162:                              ;   in Loop: Header=BB9_160 Depth=2
	s_or_b64 exec, exec, s[36:37]
	v_cmp_lt_u64_e32 vcc, 8, v[54:55]
	s_and_saveexec_b64 s[36:37], vcc
	s_cbranch_execz .LBB9_159
; %bb.163:                              ;   in Loop: Header=BB9_160 Depth=2
	global_load_dword v31, v[14:15], off offset:8 nt
	s_branch .LBB9_159
.LBB9_164:                              ;   in Loop: Header=BB9_55 Depth=1
	s_or_b64 exec, exec, s[34:35]
.LBB9_165:                              ;   in Loop: Header=BB9_55 Depth=1
	s_or_b64 exec, exec, s[12:13]
	v_and_b32_e32 v40, 0x7ffffff8, v58
	v_cmp_eq_u64_e32 vcc, s[30:31], v[40:41]
	v_cmp_gt_i32_e64 s[12:13], v62, v6
	s_and_b64 vcc, vcc, s[12:13]
	s_mov_b64 s[12:13], exec
	v_accvgpr_read_b32 v20, a22
	s_and_b64 vcc, s[12:13], vcc
	v_accvgpr_read_b32 v21, a23
	s_mov_b64 exec, vcc
	s_cbranch_execz .LBB9_168
; %bb.166:                              ;   in Loop: Header=BB9_55 Depth=1
	v_mul_lo_u32 v8, v7, v62
	v_ashrrev_i32_e32 v9, 31, v8
	v_ashrrev_i32_e32 v7, 31, v6
	v_lshlrev_b64 v[8:9], 4, v[8:9]
	v_mov_b32_e32 v10, v41
	v_mov_b32_e32 v11, v58
	v_lshl_add_u64 v[8:9], v[6:7], 4, v[8:9]
	v_lshl_add_u64 v[12:13], v[10:11], 0, s[26:27]
	;; [unrolled: 1-line block ×3, first 2 shown]
	s_mov_b64 s[34:35], 0
.LBB9_167:                              ;   Parent Loop BB9_55 Depth=1
                                        ; =>  This Inner Loop Header: Depth=2
	v_add_u32_e32 v6, v6, v16
	v_mov_b32_e32 v14, v12
	v_mov_b32_e32 v15, v13
	v_cmp_ge_i32_e32 vcc, v6, v62
	global_store_dwordx4 v[8:9], v[12:15], off
	s_or_b64 s[34:35], vcc, s[34:35]
	v_lshl_add_u64 v[8:9], v[8:9], 0, v[24:25]
	s_andn2_b64 exec, exec, s[34:35]
	s_cbranch_execnz .LBB9_167
.LBB9_168:                              ;   in Loop: Header=BB9_55 Depth=1
	s_or_b64 exec, exec, s[12:13]
.LBB9_169:                              ;   in Loop: Header=BB9_55 Depth=1
	s_or_b64 exec, exec, s[14:15]
	v_lshl_add_u64 v[30:31], v[58:59], 0, 1
	s_andn2_b64 vcc, exec, s[28:29]
	v_sub_u32_e32 v26, v1, v20
	s_cbranch_vccnz .LBB9_171
; %bb.170:                              ;   in Loop: Header=BB9_55 Depth=1
	v_sub_u32_e32 v1, v1, v20
	s_cbranch_execz .LBB9_172
	s_branch .LBB9_269
.LBB9_171:                              ;   in Loop: Header=BB9_55 Depth=1
                                        ; implicit-def: $vgpr1
.LBB9_172:                              ;   in Loop: Header=BB9_55 Depth=1
	v_accvgpr_read_b32 v6, a24
	v_accvgpr_read_b32 v8, a36
	;; [unrolled: 1-line block ×4, first 2 shown]
	v_cmp_lt_i32_e64 s[12:13], 0, v26
	v_lshl_add_u64 v[44:45], v[6:7], 0, v[8:9]
	v_add_u16_e32 v21, 1, v58
	s_mov_b32 s53, 1
.LBB9_173:                              ;   Parent Loop BB9_55 Depth=1
                                        ; =>  This Loop Header: Depth=2
                                        ;       Child Loop BB9_190 Depth 3
                                        ;       Child Loop BB9_206 Depth 3
	;; [unrolled: 1-line block ×3, first 2 shown]
                                        ;         Child Loop BB9_223 Depth 4
                                        ;       Child Loop BB9_257 Depth 3
                                        ;       Child Loop BB9_181 Depth 3
	s_sub_i32 s14, s50, s53
	s_ashr_i32 s15, s14, 31
	s_lshl_b64 s[14:15], s[14:15], 2
	v_lshl_add_u64 v[6:7], v[18:19], 0, s[14:15]
	s_waitcnt vmcnt(0) lgkmcnt(0)
	flat_load_dword v1, v[6:7]
	s_and_saveexec_b64 s[14:15], s[2:3]
	s_cbranch_execnz .LBB9_184
; %bb.174:                              ;   in Loop: Header=BB9_173 Depth=2
	s_or_b64 exec, exec, s[14:15]
	s_and_saveexec_b64 s[14:15], s[6:7]
	s_cbranch_execnz .LBB9_199
.LBB9_175:                              ;   in Loop: Header=BB9_173 Depth=2
	s_or_b64 exec, exec, s[14:15]
	v_mov_b32_e32 v46, v0
	s_and_saveexec_b64 s[34:35], s[12:13]
	s_cbranch_execnz .LBB9_217
.LBB9_176:                              ;   in Loop: Header=BB9_173 Depth=2
	s_or_b64 exec, exec, s[34:35]
	s_and_saveexec_b64 s[14:15], s[6:7]
	s_cbranch_execnz .LBB9_250
.LBB9_177:                              ;   in Loop: Header=BB9_173 Depth=2
	s_or_b64 exec, exec, s[14:15]
	s_and_saveexec_b64 s[14:15], s[10:11]
	s_cbranch_execz .LBB9_179
.LBB9_178:                              ;   in Loop: Header=BB9_173 Depth=2
	v_lshl_add_u64 v[36:37], v[36:37], 0, 1
	flat_store_dwordx2 v[38:39], v[36:37] sc0 sc1
.LBB9_179:                              ;   in Loop: Header=BB9_173 Depth=2
	s_or_b64 exec, exec, s[14:15]
	v_and_b32_e32 v40, 0x7ffffff8, v30
	v_cmp_eq_u64_e32 vcc, s[30:31], v[40:41]
	v_cmp_gt_i32_e64 s[14:15], v62, v46
	s_and_b64 vcc, vcc, s[14:15]
	s_and_saveexec_b64 s[14:15], vcc
	s_cbranch_execz .LBB9_182
; %bb.180:                              ;   in Loop: Header=BB9_173 Depth=2
	s_waitcnt vmcnt(0) lgkmcnt(0)
	v_and_b32_e32 v1, 7, v21
	v_mul_lo_u32 v6, v62, v1
	v_ashrrev_i32_e32 v7, 31, v6
	v_lshlrev_b64 v[6:7], 4, v[6:7]
	v_ashrrev_i32_e32 v47, 31, v46
	v_mov_b32_e32 v8, v41
	v_mov_b32_e32 v9, v30
	v_lshl_add_u64 v[6:7], v[46:47], 4, v[6:7]
	v_lshl_add_u64 v[12:13], v[8:9], 0, s[26:27]
	;; [unrolled: 1-line block ×3, first 2 shown]
	s_mov_b64 s[34:35], 0
.LBB9_181:                              ;   Parent Loop BB9_55 Depth=1
                                        ;     Parent Loop BB9_173 Depth=2
                                        ; =>    This Inner Loop Header: Depth=3
	v_add_u32_e32 v46, v46, v16
	v_mov_b32_e32 v14, v12
	v_mov_b32_e32 v15, v13
	v_cmp_ge_i32_e32 vcc, v46, v62
	global_store_dwordx4 v[6:7], v[12:15], off
	s_or_b64 s[34:35], vcc, s[34:35]
	v_lshl_add_u64 v[6:7], v[6:7], 0, v[24:25]
	s_andn2_b64 exec, exec, s[34:35]
	s_cbranch_execnz .LBB9_181
.LBB9_182:                              ;   in Loop: Header=BB9_173 Depth=2
	s_or_b64 exec, exec, s[14:15]
	s_add_i32 s14, s53, 1
	v_lshl_add_u64 v[32:33], v[32:33], 0, 1
	v_lshl_add_u64 v[30:31], v[30:31], 0, 1
	s_cmp_eq_u32 s53, s51
	v_add_u16_e32 v21, 1, v21
	s_cbranch_scc1 .LBB9_268
; %bb.183:                              ;   in Loop: Header=BB9_173 Depth=2
	s_mov_b32 s53, s14
	s_branch .LBB9_173
.LBB9_184:                              ;   in Loop: Header=BB9_173 Depth=2
	v_lshl_add_u64 v[6:7], v[4:5], 0, 1
	s_waitcnt vmcnt(0) lgkmcnt(0)
	v_lshl_add_u64 v[8:9], v[52:53], 0, 8
	v_cmp_lt_u64_e32 vcc, v[8:9], v[6:7]
	s_and_saveexec_b64 s[34:35], vcc
	s_cbranch_execz .LBB9_196
; %bb.185:                              ;   in Loop: Header=BB9_173 Depth=2
	s_sleep 1
	flat_load_dwordx2 v[52:53], v[48:49] sc1
	v_cmp_eq_u32_e32 vcc, 0, v17
	s_and_saveexec_b64 s[36:37], vcc
	s_cbranch_execz .LBB9_195
; %bb.186:                              ;   in Loop: Header=BB9_173 Depth=2
	v_cndmask_b32_e64 v5, 0, 1, vcc
	s_mov_b64 s[38:39], 0
                                        ; implicit-def: $sgpr40_sgpr41
	s_branch .LBB9_190
.LBB9_187:                              ;   in Loop: Header=BB9_190 Depth=3
	s_or_b64 exec, exec, s[48:49]
	s_orn2_b64 s[46:47], s[46:47], exec
.LBB9_188:                              ;   in Loop: Header=BB9_190 Depth=3
	s_or_b64 exec, exec, s[44:45]
	s_xor_b64 vcc, s[46:47], -1
	s_andn2_b64 s[40:41], s[40:41], exec
	s_and_b64 vcc, vcc, exec
	s_or_b64 s[40:41], s[40:41], vcc
.LBB9_189:                              ;   in Loop: Header=BB9_190 Depth=3
	s_or_b64 exec, exec, s[42:43]
	s_and_b64 vcc, exec, s[40:41]
	s_or_b64 s[38:39], vcc, s[38:39]
	s_andn2_b64 exec, exec, s[38:39]
	s_cbranch_execz .LBB9_194
.LBB9_190:                              ;   Parent Loop BB9_55 Depth=1
                                        ;     Parent Loop BB9_173 Depth=2
                                        ; =>    This Inner Loop Header: Depth=3
	s_waitcnt vmcnt(0) lgkmcnt(0)
	v_lshl_add_u64 v[8:9], v[52:53], 0, 8
	v_cmp_lt_u64_e32 vcc, v[8:9], v[6:7]
	v_mov_b32_e32 v17, 0
	s_or_b64 s[40:41], s[40:41], exec
	s_and_saveexec_b64 s[42:43], vcc
	s_cbranch_execz .LBB9_189
; %bb.191:                              ;   in Loop: Header=BB9_190 Depth=3
	s_sleep 1
	flat_load_dwordx2 v[52:53], v[48:49] sc1
	v_add_u32_e32 v5, 1, v5
	v_cmp_eq_u32_e32 vcc, s52, v5
	s_mov_b64 s[46:47], -1
	v_mov_b32_e32 v17, 0
	s_and_saveexec_b64 s[44:45], vcc
	s_cbranch_execz .LBB9_188
; %bb.192:                              ;   in Loop: Header=BB9_190 Depth=3
	s_trap 2
	ds_read_b64 v[8:9], v0
	v_mov_b32_e32 v5, 0
	v_mov_b32_e32 v17, 0
	s_waitcnt vmcnt(0) lgkmcnt(0)
	flat_load_dword v8, v[8:9] sc0 sc1
	s_waitcnt vmcnt(0) lgkmcnt(0)
	buffer_inv sc0 sc1
	v_cmp_ne_u32_e32 vcc, 0, v8
	s_and_saveexec_b64 s[48:49], vcc
	s_cbranch_execz .LBB9_187
; %bb.193:                              ;   in Loop: Header=BB9_190 Depth=3
	v_mov_b32_e32 v17, 1
	s_xor_b64 s[46:47], exec, -1
	ds_write_b32 v0, v8
	s_trap 2
	s_branch .LBB9_187
.LBB9_194:                              ;   in Loop: Header=BB9_173 Depth=2
	s_or_b64 exec, exec, s[38:39]
.LBB9_195:                              ;   in Loop: Header=BB9_173 Depth=2
	s_or_b64 exec, exec, s[36:37]
.LBB9_196:                              ;   in Loop: Header=BB9_173 Depth=2
	s_or_b64 exec, exec, s[34:35]
	s_and_saveexec_b64 s[34:35], s[4:5]
	s_cbranch_execz .LBB9_198
; %bb.197:                              ;   in Loop: Header=BB9_173 Depth=2
	v_and_b32_e32 v40, 0x7ffffff8, v4
	v_cmp_eq_u64_e32 vcc, s[30:31], v[40:41]
	v_accvgpr_read_b32 v5, a38
	v_and_b32_e32 v4, 7, v4
	v_cndmask_b32_e32 v5, v5, v62, vcc
	v_lshlrev_b32_e32 v8, 4, v5
	v_ashrrev_i32_e32 v9, 31, v8
	v_mad_u64_u32 v[4:5], vcc, v4, 24, v[2:3]
	flat_store_dwordx2 v[4:5], v[8:9] offset:8 sc0 sc1
	s_waitcnt vmcnt(0)
.LBB9_198:                              ;   in Loop: Header=BB9_173 Depth=2
	s_or_b64 exec, exec, s[34:35]
	v_mov_b64_e32 v[4:5], v[6:7]
	s_or_b64 exec, exec, s[14:15]
	s_and_saveexec_b64 s[14:15], s[6:7]
	s_cbranch_execz .LBB9_175
.LBB9_199:                              ;   in Loop: Header=BB9_173 Depth=2
	s_and_saveexec_b64 vcc, s[24:25]
	s_xor_b64 s[34:35], exec, vcc
	s_cbranch_execz .LBB9_214
; %bb.200:                              ;   in Loop: Header=BB9_173 Depth=2
	s_and_saveexec_b64 s[36:37], s[8:9]
	s_cbranch_execz .LBB9_213
; %bb.201:                              ;   in Loop: Header=BB9_173 Depth=2
	s_mov_b64 s[40:41], exec
	v_mbcnt_lo_u32_b32 v6, s40, 0
	v_mbcnt_hi_u32_b32 v6, s41, v6
	v_cmp_eq_u32_e32 vcc, 0, v6
	s_waitcnt lgkmcnt(0)
	s_and_saveexec_b64 s[38:39], vcc
	s_cbranch_execz .LBB9_203
; %bb.202:                              ;   in Loop: Header=BB9_173 Depth=2
	s_bcnt1_i32_b64 vcc_lo, s[40:41]
	v_mov_b32_e32 v40, vcc_lo
	ds_add_u64 v0, v[40:41]
	s_trap 2
.LBB9_203:                              ;   in Loop: Header=BB9_173 Depth=2
	s_or_b64 exec, exec, s[38:39]
	s_trap 2
	ds_read_b64 v[6:7], v0
	v_accvgpr_read_b32 v8, a20
	v_accvgpr_read_b32 v9, a21
	v_lshl_add_u64 v[50:51], v[50:51], 0, v[8:9]
	s_waitcnt lgkmcnt(0)
	v_cmp_lt_u64_e32 vcc, v[6:7], v[50:51]
	s_and_saveexec_b64 s[38:39], vcc
	s_cbranch_execz .LBB9_212
; %bb.204:                              ;   in Loop: Header=BB9_173 Depth=2
	s_mov_b32 s54, 0
	s_mov_b64 s[40:41], 0
                                        ; implicit-def: $sgpr42_sgpr43
                                        ; implicit-def: $sgpr44_sgpr45
	s_branch .LBB9_206
.LBB9_205:                              ;   in Loop: Header=BB9_206 Depth=3
	s_or_b64 exec, exec, s[48:49]
	s_and_b64 vcc, exec, vcc
	s_or_b64 s[40:41], vcc, s[40:41]
	s_andn2_b64 vcc, s[42:43], exec
	s_and_b64 s[42:43], s[44:45], exec
	s_or_b64 s[42:43], vcc, s[42:43]
	s_andn2_b64 exec, exec, s[40:41]
	s_cbranch_execz .LBB9_210
.LBB9_206:                              ;   Parent Loop BB9_55 Depth=1
                                        ;     Parent Loop BB9_173 Depth=2
                                        ; =>    This Inner Loop Header: Depth=3
	s_add_i32 s54, s54, 1
	s_cmpk_lg_i32 s54, 0x2710
	s_cselect_b64 s[46:47], -1, 0
	s_and_b64 vcc, exec, s[46:47]
                                        ; implicit-def: $sgpr48_sgpr49
	s_cbranch_vccnz .LBB9_208
; %bb.207:                              ;   in Loop: Header=BB9_206 Depth=3
	s_trap 2
	ds_read_b64 v[6:7], v0
	s_andn2_b64 s[46:47], s[46:47], exec
	s_mov_b32 s54, 0
	s_mov_b64 s[48:49], -1
	s_waitcnt vmcnt(0) lgkmcnt(0)
	flat_load_dword v6, v[6:7] sc0 sc1
	s_waitcnt vmcnt(0) lgkmcnt(0)
	buffer_inv sc0 sc1
	v_cmp_eq_u32_e32 vcc, 0, v6
	s_and_b64 vcc, vcc, exec
	s_or_b64 s[46:47], s[46:47], vcc
.LBB9_208:                              ;   in Loop: Header=BB9_206 Depth=3
	s_andn2_b64 s[44:45], s[44:45], exec
	s_and_b64 s[48:49], s[48:49], exec
	s_mov_b64 vcc, -1
	s_or_b64 s[44:45], s[44:45], s[48:49]
	s_and_saveexec_b64 s[48:49], s[46:47]
	s_cbranch_execz .LBB9_205
; %bb.209:                              ;   in Loop: Header=BB9_206 Depth=3
	s_sleep 1
	s_trap 2
	ds_read_b64 v[6:7], v0
	s_andn2_b64 s[44:45], s[44:45], exec
	s_waitcnt lgkmcnt(0)
	v_cmp_ge_u64_e32 vcc, v[6:7], v[50:51]
	s_orn2_b64 vcc, vcc, exec
	s_branch .LBB9_205
.LBB9_210:                              ;   in Loop: Header=BB9_173 Depth=2
	s_or_b64 exec, exec, s[40:41]
	s_and_saveexec_b64 vcc, s[42:43]
	s_xor_b64 vcc, exec, vcc
	s_cbranch_execz .LBB9_212
; %bb.211:                              ;   in Loop: Header=BB9_173 Depth=2
	v_mov_b32_e32 v6, 1
	ds_write_b32 v0, v6
	s_trap 2
.LBB9_212:                              ;   in Loop: Header=BB9_173 Depth=2
	s_or_b64 exec, exec, s[38:39]
	;;#ASMSTART
	s_wakeup
	;;#ASMEND
.LBB9_213:                              ;   in Loop: Header=BB9_173 Depth=2
	s_or_b64 exec, exec, s[36:37]
.LBB9_214:                              ;   in Loop: Header=BB9_173 Depth=2
	s_andn2_saveexec_b64 vcc, s[34:35]
	s_cbranch_execz .LBB9_216
; %bb.215:                              ;   in Loop: Header=BB9_173 Depth=2
	s_waitcnt lgkmcnt(0)
	s_barrier
.LBB9_216:                              ;   in Loop: Header=BB9_173 Depth=2
	s_or_b64 exec, exec, vcc
	s_or_b64 exec, exec, s[14:15]
	v_mov_b32_e32 v46, v0
	s_and_saveexec_b64 s[34:35], s[12:13]
	s_cbranch_execz .LBB9_176
.LBB9_217:                              ;   in Loop: Header=BB9_173 Depth=2
	s_waitcnt vmcnt(0) lgkmcnt(0)
	v_ashrrev_i32_e32 v6, 31, v1
	v_mad_u64_u32 v[8:9], s[14:15], v22, v1, v[44:45]
	v_mul_lo_u32 v1, v23, v1
	v_mul_lo_u32 v6, v22, v6
	v_add3_u32 v9, v1, v9, v6
	v_and_b32_e32 v1, 7, v32
	v_mul_lo_u32 v6, v1, v62
	v_accvgpr_read_b32 v10, a14
	v_ashrrev_i32_e32 v7, 31, v6
	v_accvgpr_read_b32 v11, a15
	v_and_b32_e32 v1, 7, v30
	v_lshl_add_u64 v[10:11], v[6:7], 4, v[10:11]
	v_mul_lo_u32 v6, v1, v62
	v_ashrrev_i32_e32 v7, 31, v6
	v_lshl_add_u64 v[54:55], v[6:7], 4, v[34:35]
	v_mov_b32_e32 v6, v41
	v_mov_b32_e32 v7, v30
	v_add_u32_e32 v40, 1, v32
	v_lshl_add_u64 v[6:7], v[6:7], 0, s[26:27]
	s_mov_b64 s[36:37], 0
	v_mov_b32_e32 v20, v26
	v_mov_b32_e32 v46, v0
	s_branch .LBB9_219
.LBB9_218:                              ;   in Loop: Header=BB9_219 Depth=3
	v_sub_u32_e32 v20, v20, v56
	v_cmp_gt_i32_e32 vcc, 1, v20
	v_lshl_add_u64 v[8:9], v[8:9], 0, v[56:57]
	s_or_b64 s[36:37], vcc, s[36:37]
	v_add_u32_e32 v46, v46, v16
	s_andn2_b64 exec, exec, s[36:37]
	s_cbranch_execz .LBB9_249
.LBB9_219:                              ;   Parent Loop BB9_55 Depth=1
                                        ;     Parent Loop BB9_173 Depth=2
                                        ; =>    This Loop Header: Depth=3
                                        ;         Child Loop BB9_223 Depth 4
	v_ashrrev_i32_e32 v47, 31, v46
	v_lshl_add_u64 v[58:59], v[46:47], 4, v[10:11]
	global_load_dwordx4 v[12:15], v[58:59], off nt
	v_cmp_eq_u32_e32 vcc, 0, v17
	s_and_saveexec_b64 s[38:39], vcc
	s_cbranch_execz .LBB9_231
; %bb.220:                              ;   in Loop: Header=BB9_219 Depth=3
	s_waitcnt vmcnt(0)
	v_cmp_ne_u32_e32 vcc, v40, v13
	v_cmp_ne_u32_e64 s[14:15], v40, v15
	s_or_b64 s[14:15], vcc, s[14:15]
	v_mov_b32_e32 v17, 0
	s_and_saveexec_b64 s[40:41], s[14:15]
	s_cbranch_execz .LBB9_230
; %bb.221:                              ;   in Loop: Header=BB9_219 Depth=3
	s_mov_b32 s46, 1
	s_mov_b64 s[42:43], 0
	v_mov_b32_e32 v17, 0
	s_branch .LBB9_223
.LBB9_222:                              ;   in Loop: Header=BB9_223 Depth=4
	s_or_b64 exec, exec, s[44:45]
	s_and_b64 s[14:15], exec, s[14:15]
	s_or_b64 s[42:43], s[14:15], s[42:43]
	s_andn2_b64 exec, exec, s[42:43]
	s_cbranch_execz .LBB9_229
.LBB9_223:                              ;   Parent Loop BB9_55 Depth=1
                                        ;     Parent Loop BB9_173 Depth=2
                                        ;       Parent Loop BB9_219 Depth=3
                                        ; =>      This Inner Loop Header: Depth=4
	global_load_dwordx4 v[12:15], v[58:59], off nt
	s_add_i32 s46, s46, 1
	s_cmpk_lg_i32 s46, 0x2710
	s_cbranch_scc1 .LBB9_227
; %bb.224:                              ;   in Loop: Header=BB9_223 Depth=4
	s_trap 2
	ds_read_b64 v[60:61], v0
	s_waitcnt vmcnt(0) lgkmcnt(0)
	flat_load_dword v1, v[60:61] sc0 sc1
	s_waitcnt vmcnt(0) lgkmcnt(0)
	buffer_inv sc0 sc1
	v_cmp_ne_u32_e32 vcc, 0, v1
	s_and_saveexec_b64 s[14:15], vcc
	s_cbranch_execz .LBB9_226
; %bb.225:                              ;   in Loop: Header=BB9_223 Depth=4
	v_mov_b32_e32 v17, 1
	ds_write_b32 v0, v1
	s_trap 2
.LBB9_226:                              ;   in Loop: Header=BB9_223 Depth=4
	s_or_b64 exec, exec, s[14:15]
	s_mov_b32 s46, 0
	v_mov_b32_e32 v1, v17
	v_cmp_eq_u32_e32 vcc, 0, v1
	s_mov_b64 s[14:15], -1
	s_and_saveexec_b64 s[44:45], vcc
	s_cbranch_execz .LBB9_222
	s_branch .LBB9_228
.LBB9_227:                              ;   in Loop: Header=BB9_223 Depth=4
	v_mov_b32_e32 v1, 0
	v_cmp_eq_u32_e32 vcc, 0, v1
	s_mov_b64 s[14:15], -1
	s_and_saveexec_b64 s[44:45], vcc
	s_cbranch_execz .LBB9_222
.LBB9_228:                              ;   in Loop: Header=BB9_223 Depth=4
	s_waitcnt vmcnt(0)
	v_cmp_eq_u32_e32 vcc, v40, v13
	v_cmp_eq_u32_e64 s[14:15], v40, v15
	s_and_b64 s[14:15], vcc, s[14:15]
	s_orn2_b64 s[14:15], s[14:15], exec
	s_branch .LBB9_222
.LBB9_229:                              ;   in Loop: Header=BB9_219 Depth=3
	s_or_b64 exec, exec, s[42:43]
.LBB9_230:                              ;   in Loop: Header=BB9_219 Depth=3
	s_or_b64 exec, exec, s[40:41]
.LBB9_231:                              ;   in Loop: Header=BB9_219 Depth=3
	s_or_b64 exec, exec, s[38:39]
	v_cmp_lt_u32_e32 vcc, 7, v20
	v_lshl_add_u64 v[28:29], v[46:47], 4, v[54:55]
	s_waitcnt vmcnt(0)
	v_or_b32_e32 v58, v12, v6
	v_or_b32_e32 v60, v14, v6
	v_mov_b32_e32 v59, v7
	v_mov_b32_e32 v61, v7
	v_cndmask_b32_e64 v13, 0, 1, vcc
	global_store_dwordx4 v[28:29], v[58:61], off
	;;#ASMSTART
	;;#ASMEND
	v_mov_b32_e32 v1, v14
	v_cmp_ne_u32_e64 s[14:15], 0, v13
	s_cmp_lg_u64 s[14:15], exec
	s_mov_b64 s[14:15], -1
	s_cbranch_scc0 .LBB9_241
; %bb.232:                              ;   in Loop: Header=BB9_219 Depth=3
	v_cmp_ne_u32_e64 s[14:15], 1, v20
	flat_store_byte v[8:9], v12
	s_and_saveexec_b64 s[38:39], s[14:15]
	s_cbranch_execnz .LBB9_243
; %bb.233:                              ;   in Loop: Header=BB9_219 Depth=3
	s_or_b64 exec, exec, s[38:39]
	v_cmp_lt_u32_e64 s[14:15], 2, v20
	s_and_saveexec_b64 s[38:39], s[14:15]
	s_cbranch_execnz .LBB9_244
.LBB9_234:                              ;   in Loop: Header=BB9_219 Depth=3
	s_or_b64 exec, exec, s[38:39]
	v_cmp_lt_u32_e64 s[14:15], 3, v20
	s_and_saveexec_b64 s[38:39], s[14:15]
	s_cbranch_execnz .LBB9_245
.LBB9_235:                              ;   in Loop: Header=BB9_219 Depth=3
	s_or_b64 exec, exec, s[38:39]
	v_cmp_lt_u32_e64 s[14:15], 4, v20
	s_and_saveexec_b64 s[38:39], s[14:15]
	s_cbranch_execnz .LBB9_246
.LBB9_236:                              ;   in Loop: Header=BB9_219 Depth=3
	s_or_b64 exec, exec, s[38:39]
	v_cmp_lt_u32_e64 s[14:15], 5, v20
	s_and_saveexec_b64 s[38:39], s[14:15]
	s_cbranch_execnz .LBB9_247
.LBB9_237:                              ;   in Loop: Header=BB9_219 Depth=3
	s_or_b64 exec, exec, s[38:39]
	v_cmp_lt_u32_e64 s[14:15], 6, v20
	s_and_saveexec_b64 s[38:39], s[14:15]
	s_cbranch_execnz .LBB9_248
.LBB9_238:                              ;   in Loop: Header=BB9_219 Depth=3
	s_or_b64 exec, exec, s[38:39]
	s_and_saveexec_b64 s[14:15], vcc
	s_cbranch_execz .LBB9_240
.LBB9_239:                              ;   in Loop: Header=BB9_219 Depth=3
	v_lshrrev_b32_e32 v13, 24, v1
	flat_store_byte v[8:9], v13 offset:7
.LBB9_240:                              ;   in Loop: Header=BB9_219 Depth=3
	s_or_b64 exec, exec, s[14:15]
	s_mov_b64 s[14:15], 0
.LBB9_241:                              ;   in Loop: Header=BB9_219 Depth=3
	s_and_b64 vcc, exec, s[14:15]
	s_cbranch_vccz .LBB9_218
; %bb.242:                              ;   in Loop: Header=BB9_219 Depth=3
	v_or_b32_e32 v13, 0, v1
	global_store_dwordx2 v[8:9], v[12:13], off
	s_branch .LBB9_218
.LBB9_243:                              ;   in Loop: Header=BB9_219 Depth=3
	v_lshrrev_b32_e32 v13, 8, v12
	flat_store_byte v[8:9], v13 offset:1
	s_or_b64 exec, exec, s[38:39]
	v_cmp_lt_u32_e64 s[14:15], 2, v20
	s_and_saveexec_b64 s[38:39], s[14:15]
	s_cbranch_execz .LBB9_234
.LBB9_244:                              ;   in Loop: Header=BB9_219 Depth=3
	flat_store_byte_d16_hi v[8:9], v12 offset:2
	s_or_b64 exec, exec, s[38:39]
	v_cmp_lt_u32_e64 s[14:15], 3, v20
	s_and_saveexec_b64 s[38:39], s[14:15]
	s_cbranch_execz .LBB9_235
.LBB9_245:                              ;   in Loop: Header=BB9_219 Depth=3
	v_lshrrev_b32_e32 v13, 24, v12
	flat_store_byte v[8:9], v13 offset:3
	s_or_b64 exec, exec, s[38:39]
	v_cmp_lt_u32_e64 s[14:15], 4, v20
	s_and_saveexec_b64 s[38:39], s[14:15]
	s_cbranch_execz .LBB9_236
.LBB9_246:                              ;   in Loop: Header=BB9_219 Depth=3
	flat_store_byte v[8:9], v14 offset:4
	s_or_b64 exec, exec, s[38:39]
	v_cmp_lt_u32_e64 s[14:15], 5, v20
	s_and_saveexec_b64 s[38:39], s[14:15]
	s_cbranch_execz .LBB9_237
.LBB9_247:                              ;   in Loop: Header=BB9_219 Depth=3
	v_lshrrev_b32_e32 v13, 8, v1
	flat_store_byte v[8:9], v13 offset:5
	s_or_b64 exec, exec, s[38:39]
	v_cmp_lt_u32_e64 s[14:15], 6, v20
	s_and_saveexec_b64 s[38:39], s[14:15]
	s_cbranch_execz .LBB9_238
.LBB9_248:                              ;   in Loop: Header=BB9_219 Depth=3
	flat_store_byte_d16_hi v[8:9], v1 offset:6
	s_or_b64 exec, exec, s[38:39]
	s_and_saveexec_b64 s[14:15], vcc
	s_cbranch_execnz .LBB9_239
	s_branch .LBB9_240
.LBB9_249:                              ;   in Loop: Header=BB9_173 Depth=2
	s_or_b64 exec, exec, s[36:37]
	s_or_b64 exec, exec, s[34:35]
	s_and_saveexec_b64 s[14:15], s[6:7]
	s_cbranch_execz .LBB9_177
.LBB9_250:                              ;   in Loop: Header=BB9_173 Depth=2
	s_and_saveexec_b64 vcc, s[24:25]
	s_xor_b64 s[34:35], exec, vcc
	s_cbranch_execz .LBB9_265
; %bb.251:                              ;   in Loop: Header=BB9_173 Depth=2
	s_and_saveexec_b64 s[36:37], s[8:9]
	s_cbranch_execz .LBB9_264
; %bb.252:                              ;   in Loop: Header=BB9_173 Depth=2
	s_mov_b64 s[40:41], exec
	s_waitcnt vmcnt(0) lgkmcnt(0)
	v_mbcnt_lo_u32_b32 v1, s40, 0
	v_mbcnt_hi_u32_b32 v1, s41, v1
	v_cmp_eq_u32_e32 vcc, 0, v1
	s_and_saveexec_b64 s[38:39], vcc
	s_cbranch_execz .LBB9_254
; %bb.253:                              ;   in Loop: Header=BB9_173 Depth=2
	s_bcnt1_i32_b64 vcc_lo, s[40:41]
	v_mov_b32_e32 v40, vcc_lo
	ds_add_u64 v0, v[40:41]
	s_trap 2
.LBB9_254:                              ;   in Loop: Header=BB9_173 Depth=2
	s_or_b64 exec, exec, s[38:39]
	s_trap 2
	ds_read_b64 v[6:7], v0
	v_accvgpr_read_b32 v8, a20
	v_accvgpr_read_b32 v9, a21
	v_lshl_add_u64 v[50:51], v[50:51], 0, v[8:9]
	s_waitcnt lgkmcnt(0)
	v_cmp_lt_u64_e32 vcc, v[6:7], v[50:51]
	s_and_saveexec_b64 s[38:39], vcc
	s_cbranch_execz .LBB9_263
; %bb.255:                              ;   in Loop: Header=BB9_173 Depth=2
	s_mov_b32 s54, 0
	s_mov_b64 s[40:41], 0
                                        ; implicit-def: $sgpr42_sgpr43
                                        ; implicit-def: $sgpr44_sgpr45
	s_branch .LBB9_257
.LBB9_256:                              ;   in Loop: Header=BB9_257 Depth=3
	s_or_b64 exec, exec, s[48:49]
	s_and_b64 vcc, exec, vcc
	s_or_b64 s[40:41], vcc, s[40:41]
	s_andn2_b64 vcc, s[42:43], exec
	s_and_b64 s[42:43], s[44:45], exec
	s_or_b64 s[42:43], vcc, s[42:43]
	s_andn2_b64 exec, exec, s[40:41]
	s_cbranch_execz .LBB9_261
.LBB9_257:                              ;   Parent Loop BB9_55 Depth=1
                                        ;     Parent Loop BB9_173 Depth=2
                                        ; =>    This Inner Loop Header: Depth=3
	s_add_i32 s54, s54, 1
	s_cmpk_lg_i32 s54, 0x2710
	s_cselect_b64 s[46:47], -1, 0
	s_and_b64 vcc, exec, s[46:47]
                                        ; implicit-def: $sgpr48_sgpr49
	s_cbranch_vccnz .LBB9_259
; %bb.258:                              ;   in Loop: Header=BB9_257 Depth=3
	s_trap 2
	ds_read_b64 v[6:7], v0
	s_andn2_b64 s[46:47], s[46:47], exec
	s_mov_b32 s54, 0
	s_mov_b64 s[48:49], -1
	s_waitcnt lgkmcnt(0)
	flat_load_dword v1, v[6:7] sc0 sc1
	s_waitcnt vmcnt(0) lgkmcnt(0)
	buffer_inv sc0 sc1
	v_cmp_eq_u32_e32 vcc, 0, v1
	s_and_b64 vcc, vcc, exec
	s_or_b64 s[46:47], s[46:47], vcc
.LBB9_259:                              ;   in Loop: Header=BB9_257 Depth=3
	s_andn2_b64 s[44:45], s[44:45], exec
	s_and_b64 s[48:49], s[48:49], exec
	s_mov_b64 vcc, -1
	s_or_b64 s[44:45], s[44:45], s[48:49]
	s_and_saveexec_b64 s[48:49], s[46:47]
	s_cbranch_execz .LBB9_256
; %bb.260:                              ;   in Loop: Header=BB9_257 Depth=3
	s_sleep 1
	s_trap 2
	ds_read_b64 v[6:7], v0
	s_andn2_b64 s[44:45], s[44:45], exec
	s_waitcnt lgkmcnt(0)
	v_cmp_ge_u64_e32 vcc, v[6:7], v[50:51]
	s_orn2_b64 vcc, vcc, exec
	s_branch .LBB9_256
.LBB9_261:                              ;   in Loop: Header=BB9_173 Depth=2
	s_or_b64 exec, exec, s[40:41]
	s_and_saveexec_b64 vcc, s[42:43]
	s_xor_b64 vcc, exec, vcc
	s_cbranch_execz .LBB9_263
; %bb.262:                              ;   in Loop: Header=BB9_173 Depth=2
	v_mov_b32_e32 v1, 1
	ds_write_b32 v0, v1
	s_trap 2
.LBB9_263:                              ;   in Loop: Header=BB9_173 Depth=2
	s_or_b64 exec, exec, s[38:39]
	;;#ASMSTART
	s_wakeup
	;;#ASMEND
.LBB9_264:                              ;   in Loop: Header=BB9_173 Depth=2
	s_or_b64 exec, exec, s[36:37]
.LBB9_265:                              ;   in Loop: Header=BB9_173 Depth=2
	s_andn2_saveexec_b64 vcc, s[34:35]
	s_cbranch_execz .LBB9_267
; %bb.266:                              ;   in Loop: Header=BB9_173 Depth=2
	s_waitcnt lgkmcnt(0)
	s_barrier
.LBB9_267:                              ;   in Loop: Header=BB9_173 Depth=2
	s_or_b64 exec, exec, vcc
	s_or_b64 exec, exec, s[14:15]
	s_and_saveexec_b64 s[14:15], s[10:11]
	s_cbranch_execnz .LBB9_178
	s_branch .LBB9_179
.LBB9_268:                              ;   in Loop: Header=BB9_55 Depth=1
	v_accvgpr_read_b32 v20, a22
	s_waitcnt vmcnt(0) lgkmcnt(0)
	v_mov_b32_e32 v1, v26
	v_accvgpr_read_b32 v21, a23
.LBB9_269:                              ;   in Loop: Header=BB9_55 Depth=1
	v_mov_b64_e32 v[58:59], v[30:31]
	v_cmp_lt_i32_e32 vcc, 0, v1
	s_and_saveexec_b64 s[14:15], vcc
	s_cbranch_execnz .LBB9_272
; %bb.270:                              ;   in Loop: Header=BB9_55 Depth=1
	s_or_b64 exec, exec, s[14:15]
	s_and_saveexec_b64 s[12:13], s[6:7]
	s_cbranch_execnz .LBB9_305
.LBB9_271:                              ;   in Loop: Header=BB9_55 Depth=1
	s_or_b64 exec, exec, s[12:13]
	s_and_saveexec_b64 s[12:13], s[10:11]
	s_cbranch_execz .LBB9_54
	s_branch .LBB9_323
.LBB9_272:                              ;   in Loop: Header=BB9_55 Depth=1
	flat_load_dword v10, v[18:19] offset:4
	v_accvgpr_read_b32 v6, a6
	v_accvgpr_read_b32 v8, a8
	;; [unrolled: 1-line block ×6, first 2 shown]
	v_lshl_add_u64 v[8:9], v[6:7], 0, v[8:9]
	v_and_b32_e32 v6, 7, v32
	v_mul_lo_u32 v6, v6, v62
	v_accvgpr_read_b32 v12, a14
	v_ashrrev_i32_e32 v7, 31, v6
	v_accvgpr_read_b32 v13, a15
	v_lshl_add_u64 v[6:7], v[6:7], 4, v[12:13]
	v_mov_b64_e32 v[14:15], v[20:21]
	v_add_u32_e32 v20, 1, v32
	s_mov_b64 s[34:35], 0
	s_waitcnt vmcnt(0) lgkmcnt(0)
	v_ashrrev_i32_e32 v11, 31, v10
	v_mul_lo_u32 v12, v23, v10
	v_mad_u64_u32 v[8:9], s[12:13], v22, v10, v[8:9]
	v_mul_lo_u32 v10, v22, v11
	v_add3_u32 v9, v12, v9, v10
	v_lshl_add_u64 v[8:9], v[8:9], 0, v[14:15]
	v_mov_b32_e32 v10, v0
	s_branch .LBB9_274
.LBB9_273:                              ;   in Loop: Header=BB9_274 Depth=2
	v_sub_u32_e32 v1, v1, v56
	v_cmp_gt_i32_e32 vcc, 1, v1
	v_lshl_add_u64 v[8:9], v[8:9], 0, v[56:57]
	s_or_b64 s[34:35], vcc, s[34:35]
	v_add_u32_e32 v10, v10, v16
	s_andn2_b64 exec, exec, s[34:35]
	s_cbranch_execz .LBB9_304
.LBB9_274:                              ;   Parent Loop BB9_55 Depth=1
                                        ; =>  This Loop Header: Depth=2
                                        ;       Child Loop BB9_278 Depth 3
	v_ashrrev_i32_e32 v11, 31, v10
	v_lshl_add_u64 v[30:31], v[10:11], 4, v[6:7]
	global_load_dwordx4 v[12:15], v[30:31], off nt
	v_cmp_eq_u32_e32 vcc, 0, v17
	s_and_saveexec_b64 s[36:37], vcc
	s_cbranch_execz .LBB9_286
; %bb.275:                              ;   in Loop: Header=BB9_274 Depth=2
	s_waitcnt vmcnt(0)
	v_cmp_ne_u32_e32 vcc, v20, v13
	v_cmp_ne_u32_e64 s[12:13], v20, v15
	s_or_b64 s[12:13], vcc, s[12:13]
	v_mov_b32_e32 v17, 0
	s_and_saveexec_b64 s[38:39], s[12:13]
	s_cbranch_execz .LBB9_285
; %bb.276:                              ;   in Loop: Header=BB9_274 Depth=2
	s_mov_b32 s44, 1
	s_mov_b64 s[40:41], 0
	v_mov_b32_e32 v17, 0
	s_branch .LBB9_278
.LBB9_277:                              ;   in Loop: Header=BB9_278 Depth=3
	s_or_b64 exec, exec, s[42:43]
	s_and_b64 s[12:13], exec, s[12:13]
	s_or_b64 s[40:41], s[12:13], s[40:41]
	s_andn2_b64 exec, exec, s[40:41]
	s_cbranch_execz .LBB9_284
.LBB9_278:                              ;   Parent Loop BB9_55 Depth=1
                                        ;     Parent Loop BB9_274 Depth=2
                                        ; =>    This Inner Loop Header: Depth=3
	global_load_dwordx4 v[12:15], v[30:31], off nt
	s_add_i32 s44, s44, 1
	s_cmpk_lg_i32 s44, 0x2710
	s_cbranch_scc1 .LBB9_282
; %bb.279:                              ;   in Loop: Header=BB9_278 Depth=3
	s_trap 2
	ds_read_b64 v[54:55], v0
	s_waitcnt vmcnt(0) lgkmcnt(0)
	flat_load_dword v11, v[54:55] sc0 sc1
	s_waitcnt vmcnt(0) lgkmcnt(0)
	buffer_inv sc0 sc1
	v_cmp_ne_u32_e32 vcc, 0, v11
	s_and_saveexec_b64 s[12:13], vcc
	s_cbranch_execz .LBB9_281
; %bb.280:                              ;   in Loop: Header=BB9_278 Depth=3
	v_mov_b32_e32 v17, 1
	ds_write_b32 v0, v11
	s_trap 2
.LBB9_281:                              ;   in Loop: Header=BB9_278 Depth=3
	s_or_b64 exec, exec, s[12:13]
	s_mov_b32 s44, 0
	v_mov_b32_e32 v11, v17
	v_cmp_eq_u32_e32 vcc, 0, v11
	s_mov_b64 s[12:13], -1
	s_and_saveexec_b64 s[42:43], vcc
	s_cbranch_execz .LBB9_277
	s_branch .LBB9_283
.LBB9_282:                              ;   in Loop: Header=BB9_278 Depth=3
	v_mov_b32_e32 v11, 0
	v_cmp_eq_u32_e32 vcc, 0, v11
	s_mov_b64 s[12:13], -1
	s_and_saveexec_b64 s[42:43], vcc
	s_cbranch_execz .LBB9_277
.LBB9_283:                              ;   in Loop: Header=BB9_278 Depth=3
	s_waitcnt vmcnt(0)
	v_cmp_eq_u32_e32 vcc, v20, v13
	v_cmp_eq_u32_e64 s[12:13], v20, v15
	s_and_b64 s[12:13], vcc, s[12:13]
	s_orn2_b64 s[12:13], s[12:13], exec
	s_branch .LBB9_277
.LBB9_284:                              ;   in Loop: Header=BB9_274 Depth=2
	s_or_b64 exec, exec, s[40:41]
.LBB9_285:                              ;   in Loop: Header=BB9_274 Depth=2
	s_or_b64 exec, exec, s[38:39]
.LBB9_286:                              ;   in Loop: Header=BB9_274 Depth=2
	s_or_b64 exec, exec, s[36:37]
	v_cmp_lt_u32_e32 vcc, 7, v1
	s_waitcnt vmcnt(0)
	v_mov_b32_e32 v13, v14
	v_cndmask_b32_e64 v11, 0, 1, vcc
	;;#ASMSTART
	;;#ASMEND
	s_nop 0
	v_cmp_ne_u32_e64 s[12:13], 0, v11
	s_cmp_lg_u64 s[12:13], exec
	s_mov_b64 s[12:13], -1
	s_cbranch_scc0 .LBB9_296
; %bb.287:                              ;   in Loop: Header=BB9_274 Depth=2
	v_cmp_ne_u32_e64 s[12:13], 1, v1
	flat_store_byte v[8:9], v12
	s_and_saveexec_b64 s[36:37], s[12:13]
	s_cbranch_execnz .LBB9_298
; %bb.288:                              ;   in Loop: Header=BB9_274 Depth=2
	s_or_b64 exec, exec, s[36:37]
	v_cmp_lt_u32_e64 s[12:13], 2, v1
	s_and_saveexec_b64 s[36:37], s[12:13]
	s_cbranch_execnz .LBB9_299
.LBB9_289:                              ;   in Loop: Header=BB9_274 Depth=2
	s_or_b64 exec, exec, s[36:37]
	v_cmp_lt_u32_e64 s[12:13], 3, v1
	s_and_saveexec_b64 s[36:37], s[12:13]
	s_cbranch_execnz .LBB9_300
.LBB9_290:                              ;   in Loop: Header=BB9_274 Depth=2
	s_or_b64 exec, exec, s[36:37]
	v_cmp_lt_u32_e64 s[12:13], 4, v1
	s_and_saveexec_b64 s[36:37], s[12:13]
	s_cbranch_execnz .LBB9_301
.LBB9_291:                              ;   in Loop: Header=BB9_274 Depth=2
	s_or_b64 exec, exec, s[36:37]
	v_cmp_lt_u32_e64 s[12:13], 5, v1
	s_and_saveexec_b64 s[36:37], s[12:13]
	s_cbranch_execnz .LBB9_302
.LBB9_292:                              ;   in Loop: Header=BB9_274 Depth=2
	s_or_b64 exec, exec, s[36:37]
	v_cmp_lt_u32_e64 s[12:13], 6, v1
	s_and_saveexec_b64 s[36:37], s[12:13]
	s_cbranch_execnz .LBB9_303
.LBB9_293:                              ;   in Loop: Header=BB9_274 Depth=2
	s_or_b64 exec, exec, s[36:37]
	s_and_saveexec_b64 s[12:13], vcc
	s_cbranch_execz .LBB9_295
.LBB9_294:                              ;   in Loop: Header=BB9_274 Depth=2
	v_lshrrev_b32_e32 v11, 24, v13
	flat_store_byte v[8:9], v11 offset:7
.LBB9_295:                              ;   in Loop: Header=BB9_274 Depth=2
	s_or_b64 exec, exec, s[12:13]
	s_mov_b64 s[12:13], 0
.LBB9_296:                              ;   in Loop: Header=BB9_274 Depth=2
	s_and_b64 vcc, exec, s[12:13]
	s_cbranch_vccz .LBB9_273
; %bb.297:                              ;   in Loop: Header=BB9_274 Depth=2
	global_store_dwordx2 v[8:9], v[12:13], off
	s_branch .LBB9_273
.LBB9_298:                              ;   in Loop: Header=BB9_274 Depth=2
	v_lshrrev_b32_e32 v11, 8, v12
	flat_store_byte v[8:9], v11 offset:1
	s_or_b64 exec, exec, s[36:37]
	v_cmp_lt_u32_e64 s[12:13], 2, v1
	s_and_saveexec_b64 s[36:37], s[12:13]
	s_cbranch_execz .LBB9_289
.LBB9_299:                              ;   in Loop: Header=BB9_274 Depth=2
	flat_store_byte_d16_hi v[8:9], v12 offset:2
	s_or_b64 exec, exec, s[36:37]
	v_cmp_lt_u32_e64 s[12:13], 3, v1
	s_and_saveexec_b64 s[36:37], s[12:13]
	s_cbranch_execz .LBB9_290
.LBB9_300:                              ;   in Loop: Header=BB9_274 Depth=2
	v_lshrrev_b32_e32 v11, 24, v12
	flat_store_byte v[8:9], v11 offset:3
	s_or_b64 exec, exec, s[36:37]
	v_cmp_lt_u32_e64 s[12:13], 4, v1
	s_and_saveexec_b64 s[36:37], s[12:13]
	s_cbranch_execz .LBB9_291
.LBB9_301:                              ;   in Loop: Header=BB9_274 Depth=2
	flat_store_byte v[8:9], v14 offset:4
	s_or_b64 exec, exec, s[36:37]
	v_cmp_lt_u32_e64 s[12:13], 5, v1
	s_and_saveexec_b64 s[36:37], s[12:13]
	s_cbranch_execz .LBB9_292
.LBB9_302:                              ;   in Loop: Header=BB9_274 Depth=2
	v_lshrrev_b32_e32 v11, 8, v13
	flat_store_byte v[8:9], v11 offset:5
	s_or_b64 exec, exec, s[36:37]
	v_cmp_lt_u32_e64 s[12:13], 6, v1
	s_and_saveexec_b64 s[36:37], s[12:13]
	s_cbranch_execz .LBB9_293
.LBB9_303:                              ;   in Loop: Header=BB9_274 Depth=2
	flat_store_byte_d16_hi v[8:9], v13 offset:6
	s_or_b64 exec, exec, s[36:37]
	s_and_saveexec_b64 s[12:13], vcc
	s_cbranch_execnz .LBB9_294
	s_branch .LBB9_295
.LBB9_304:                              ;   in Loop: Header=BB9_55 Depth=1
	s_or_b64 exec, exec, s[34:35]
	v_accvgpr_read_b32 v20, a22
	v_accvgpr_read_b32 v21, a23
	s_or_b64 exec, exec, s[14:15]
	s_and_saveexec_b64 s[12:13], s[6:7]
	s_cbranch_execz .LBB9_271
.LBB9_305:                              ;   in Loop: Header=BB9_55 Depth=1
	s_and_saveexec_b64 s[14:15], s[24:25]
	s_xor_b64 s[14:15], exec, s[14:15]
	s_cbranch_execz .LBB9_320
; %bb.306:                              ;   in Loop: Header=BB9_55 Depth=1
	s_and_saveexec_b64 s[34:35], s[8:9]
	s_cbranch_execz .LBB9_319
; %bb.307:                              ;   in Loop: Header=BB9_55 Depth=1
	s_mov_b64 s[38:39], exec
	v_mbcnt_lo_u32_b32 v1, s38, 0
	v_mbcnt_hi_u32_b32 v1, s39, v1
	v_cmp_eq_u32_e32 vcc, 0, v1
	s_waitcnt lgkmcnt(0)
	s_and_saveexec_b64 s[36:37], vcc
	s_cbranch_execz .LBB9_309
; %bb.308:                              ;   in Loop: Header=BB9_55 Depth=1
	s_bcnt1_i32_b64 vcc_lo, s[38:39]
	v_mov_b32_e32 v40, vcc_lo
	ds_add_u64 v0, v[40:41]
	s_trap 2
.LBB9_309:                              ;   in Loop: Header=BB9_55 Depth=1
	s_or_b64 exec, exec, s[36:37]
	s_trap 2
	ds_read_b64 v[6:7], v0
	v_accvgpr_read_b32 v8, a20
	v_accvgpr_read_b32 v9, a21
	v_lshl_add_u64 v[50:51], v[50:51], 0, v[8:9]
	s_waitcnt lgkmcnt(0)
	v_cmp_lt_u64_e32 vcc, v[6:7], v[50:51]
	s_and_saveexec_b64 s[36:37], vcc
	s_cbranch_execz .LBB9_318
; %bb.310:                              ;   in Loop: Header=BB9_55 Depth=1
	s_mov_b32 s48, 0
	s_mov_b64 s[38:39], 0
                                        ; implicit-def: $sgpr40_sgpr41
                                        ; implicit-def: $sgpr42_sgpr43
	s_branch .LBB9_312
.LBB9_311:                              ;   in Loop: Header=BB9_312 Depth=2
	s_or_b64 exec, exec, s[46:47]
	s_and_b64 vcc, exec, vcc
	s_or_b64 s[38:39], vcc, s[38:39]
	s_andn2_b64 vcc, s[40:41], exec
	s_and_b64 s[40:41], s[42:43], exec
	s_or_b64 s[40:41], vcc, s[40:41]
	s_andn2_b64 exec, exec, s[38:39]
	s_cbranch_execz .LBB9_316
.LBB9_312:                              ;   Parent Loop BB9_55 Depth=1
                                        ; =>  This Inner Loop Header: Depth=2
	s_add_i32 s48, s48, 1
	s_cmpk_lg_i32 s48, 0x2710
	s_cselect_b64 s[44:45], -1, 0
	s_and_b64 vcc, exec, s[44:45]
                                        ; implicit-def: $sgpr46_sgpr47
	s_cbranch_vccnz .LBB9_314
; %bb.313:                              ;   in Loop: Header=BB9_312 Depth=2
	s_trap 2
	ds_read_b64 v[6:7], v0
	s_andn2_b64 s[44:45], s[44:45], exec
	s_mov_b32 s48, 0
	s_mov_b64 s[46:47], -1
	s_waitcnt vmcnt(0) lgkmcnt(0)
	flat_load_dword v1, v[6:7] sc0 sc1
	s_waitcnt vmcnt(0) lgkmcnt(0)
	buffer_inv sc0 sc1
	v_cmp_eq_u32_e32 vcc, 0, v1
	s_and_b64 vcc, vcc, exec
	s_or_b64 s[44:45], s[44:45], vcc
.LBB9_314:                              ;   in Loop: Header=BB9_312 Depth=2
	s_andn2_b64 s[42:43], s[42:43], exec
	s_and_b64 s[46:47], s[46:47], exec
	s_mov_b64 vcc, -1
	s_or_b64 s[42:43], s[42:43], s[46:47]
	s_and_saveexec_b64 s[46:47], s[44:45]
	s_cbranch_execz .LBB9_311
; %bb.315:                              ;   in Loop: Header=BB9_312 Depth=2
	s_sleep 1
	s_trap 2
	ds_read_b64 v[6:7], v0
	s_andn2_b64 s[42:43], s[42:43], exec
	s_waitcnt lgkmcnt(0)
	v_cmp_ge_u64_e32 vcc, v[6:7], v[50:51]
	s_orn2_b64 vcc, vcc, exec
	s_branch .LBB9_311
.LBB9_316:                              ;   in Loop: Header=BB9_55 Depth=1
	s_or_b64 exec, exec, s[38:39]
	s_and_saveexec_b64 vcc, s[40:41]
	s_xor_b64 vcc, exec, vcc
	s_cbranch_execz .LBB9_318
; %bb.317:                              ;   in Loop: Header=BB9_55 Depth=1
	v_mov_b32_e32 v1, 1
	ds_write_b32 v0, v1
	s_trap 2
.LBB9_318:                              ;   in Loop: Header=BB9_55 Depth=1
	s_or_b64 exec, exec, s[36:37]
	;;#ASMSTART
	s_wakeup
	;;#ASMEND
.LBB9_319:                              ;   in Loop: Header=BB9_55 Depth=1
	s_or_b64 exec, exec, s[34:35]
.LBB9_320:                              ;   in Loop: Header=BB9_55 Depth=1
	s_andn2_saveexec_b64 s[14:15], s[14:15]
	s_cbranch_execz .LBB9_322
; %bb.321:                              ;   in Loop: Header=BB9_55 Depth=1
	s_waitcnt lgkmcnt(0)
	s_barrier
.LBB9_322:                              ;   in Loop: Header=BB9_55 Depth=1
	s_or_b64 exec, exec, s[14:15]
	s_or_b64 exec, exec, s[12:13]
	s_and_saveexec_b64 s[12:13], s[10:11]
	s_cbranch_execz .LBB9_54
.LBB9_323:                              ;   in Loop: Header=BB9_55 Depth=1
	v_lshl_add_u64 v[36:37], v[36:37], 0, 1
	flat_store_dwordx2 v[38:39], v[36:37] sc0 sc1
	s_branch .LBB9_54
.LBB9_324:
	s_or_b64 exec, exec, s[22:23]
	v_accvgpr_read_b32 v15, a11
	v_accvgpr_read_b32 v21, a13
	;; [unrolled: 1-line block ×6, first 2 shown]
.LBB9_325:
	s_or_b64 exec, exec, s[20:21]
; %bb.326:
	s_and_saveexec_b64 s[2:3], s[18:19]
	s_cbranch_execnz .LBB9_329
; %bb.327:
	s_or_b64 exec, exec, s[2:3]
	s_and_saveexec_b64 s[2:3], s[0:1]
	s_cbranch_execnz .LBB9_330
.LBB9_328:
	s_or_b64 exec, exec, s[2:3]
	v_cmp_ne_u32_e32 vcc, 64, v16
	s_and_saveexec_b64 s[0:1], vcc
	s_cbranch_execnz .LBB9_331
	s_branch .LBB9_348
.LBB9_329:
	s_waitcnt vmcnt(0) lgkmcnt(0)
	flat_store_dwordx2 v[20:21], v[36:37] offset:104
	s_or_b64 exec, exec, s[2:3]
	s_and_saveexec_b64 s[2:3], s[0:1]
	s_cbranch_execz .LBB9_328
.LBB9_330:
	s_waitcnt vmcnt(0) lgkmcnt(0)
	flat_store_dwordx2 v[14:15], v[4:5] offset:104
	s_or_b64 exec, exec, s[2:3]
	v_cmp_ne_u32_e32 vcc, 64, v16
	s_and_saveexec_b64 s[0:1], vcc
	s_cbranch_execz .LBB9_348
.LBB9_331:
	v_cmp_ne_u32_sdwa s[2:3], v10, v16 src0_sel:WORD_0 src1_sel:DWORD
	s_and_saveexec_b64 s[4:5], s[2:3]
	s_xor_b64 s[2:3], exec, s[4:5]
	s_cbranch_execz .LBB9_346
; %bb.332:
	v_and_b32_e32 v0, 63, v31
	v_cmp_eq_u32_e32 vcc, 0, v0
	s_and_saveexec_b64 s[4:5], vcc
	s_cbranch_execz .LBB9_345
; %bb.333:
	s_mov_b64 s[8:9], exec
	v_mbcnt_lo_u32_b32 v0, s8, 0
	v_mbcnt_hi_u32_b32 v0, s9, v0
	v_cmp_eq_u32_e32 vcc, 0, v0
	s_waitcnt lgkmcnt(0)
	s_and_saveexec_b64 s[6:7], vcc
	s_cbranch_execz .LBB9_335
; %bb.334:
	s_bcnt1_i32_b64 s8, s[8:9]
	v_mov_b32_e32 v0, s8
	v_mov_b32_e32 v1, 0
	ds_add_u64 v0, v[0:1]
	s_trap 2
.LBB9_335:
	s_or_b64 exec, exec, s[6:7]
	v_ashrrev_i32_e32 v0, 31, v16
	v_lshrrev_b32_e32 v0, 26, v0
	s_trap 2
	s_waitcnt vmcnt(0)
	ds_read_b64 v[2:3], v0
	v_add_u32_e32 v0, v16, v0
	v_ashrrev_i32_e32 v0, 6, v0
	v_ashrrev_i32_e32 v1, 31, v0
	v_lshl_add_u64 v[0:1], v[50:51], 0, v[0:1]
	s_waitcnt lgkmcnt(0)
	v_cmp_lt_u64_e32 vcc, v[2:3], v[0:1]
	s_and_saveexec_b64 s[6:7], vcc
	s_cbranch_execz .LBB9_344
; %bb.336:
	s_mov_b32 s22, 0
	s_mov_b64 s[8:9], 0
                                        ; implicit-def: $sgpr10_sgpr11
                                        ; implicit-def: $sgpr12_sgpr13
	s_branch .LBB9_338
.LBB9_337:                              ;   in Loop: Header=BB9_338 Depth=1
	s_or_b64 exec, exec, s[20:21]
	s_and_b64 s[14:15], exec, s[18:19]
	s_or_b64 s[8:9], s[14:15], s[8:9]
	s_andn2_b64 s[10:11], s[10:11], exec
	s_and_b64 s[14:15], s[12:13], exec
	s_or_b64 s[10:11], s[10:11], s[14:15]
	s_andn2_b64 exec, exec, s[8:9]
	s_cbranch_execz .LBB9_342
.LBB9_338:                              ; =>This Inner Loop Header: Depth=1
	s_add_i32 s22, s22, 1
	s_cmpk_lg_i32 s22, 0x2710
	s_cselect_b64 s[14:15], -1, 0
	s_and_b64 vcc, exec, s[14:15]
                                        ; implicit-def: $sgpr20_sgpr21
	s_cbranch_vccnz .LBB9_340
; %bb.339:                              ;   in Loop: Header=BB9_338 Depth=1
	s_trap 2
	ds_read_b64 v[2:3], v0
	s_andn2_b64 s[14:15], s[14:15], exec
	s_mov_b32 s22, 0
	s_mov_b64 s[20:21], -1
	s_waitcnt lgkmcnt(0)
	flat_load_dword v2, v[2:3] sc0 sc1
	s_waitcnt vmcnt(0) lgkmcnt(0)
	buffer_inv sc0 sc1
	v_cmp_eq_u32_e32 vcc, 0, v2
	s_and_b64 s[18:19], vcc, exec
	s_or_b64 s[14:15], s[14:15], s[18:19]
.LBB9_340:                              ;   in Loop: Header=BB9_338 Depth=1
	s_andn2_b64 s[12:13], s[12:13], exec
	s_and_b64 s[20:21], s[20:21], exec
	s_mov_b64 s[18:19], -1
	s_or_b64 s[12:13], s[12:13], s[20:21]
	s_and_saveexec_b64 s[20:21], s[14:15]
	s_cbranch_execz .LBB9_337
; %bb.341:                              ;   in Loop: Header=BB9_338 Depth=1
	s_sleep 1
	s_trap 2
	ds_read_b64 v[2:3], v0
	s_andn2_b64 s[12:13], s[12:13], exec
	s_waitcnt lgkmcnt(0)
	v_cmp_ge_u64_e32 vcc, v[2:3], v[0:1]
	s_orn2_b64 s[18:19], vcc, exec
	s_branch .LBB9_337
.LBB9_342:
	s_or_b64 exec, exec, s[8:9]
	s_and_saveexec_b64 s[8:9], s[10:11]
	s_xor_b64 s[8:9], exec, s[8:9]
	s_cbranch_execz .LBB9_344
; %bb.343:
	v_mov_b32_e32 v0, 1
	ds_write_b32 v0, v0
	s_trap 2
.LBB9_344:
	s_or_b64 exec, exec, s[6:7]
	;;#ASMSTART
	s_wakeup
	;;#ASMEND
.LBB9_345:
	s_or_b64 exec, exec, s[4:5]
.LBB9_346:
	s_andn2_saveexec_b64 s[2:3], s[2:3]
	s_cbranch_execz .LBB9_348
; %bb.347:
	s_waitcnt lgkmcnt(0)
	s_barrier
.LBB9_348:
	s_or_b64 exec, exec, s[0:1]
.LBB9_349:
	s_or_b64 exec, exec, s[16:17]
	scratch_load_dword a38, off, s32        ; 4-byte Folded Reload
	scratch_load_dword a37, off, s32 offset:4 ; 4-byte Folded Reload
	scratch_load_dword a36, off, s32 offset:8 ; 4-byte Folded Reload
	;; [unrolled: 1-line block ×9, first 2 shown]
	s_waitcnt lgkmcnt(0)
	scratch_load_dword v59, off, s32 offset:40 ; 4-byte Folded Reload
	scratch_load_dword v58, off, s32 offset:44 ; 4-byte Folded Reload
	;; [unrolled: 1-line block ×12, first 2 shown]
	v_readlane_b32 s30, v63, 21
	v_readlane_b32 s31, v63, 22
	;; [unrolled: 1-line block ×23, first 2 shown]
	s_or_saveexec_b64 s[0:1], -1
	scratch_load_dword v63, off, s32 offset:88 ; 4-byte Folded Reload
	s_mov_b64 exec, s[0:1]
	s_waitcnt vmcnt(0)
	s_setpc_b64 s[30:31]
.Lfunc_end9:
	.size	_ZN12_GLOBAL__N_17runRingIa7FuncSumIaE7ProtoLLLi0ELi2ELi0ELb0EEEviiP15ncclDevWorkColl, .Lfunc_end9-_ZN12_GLOBAL__N_17runRingIa7FuncSumIaE7ProtoLLLi0ELi2ELi0ELb0EEEviiP15ncclDevWorkColl
                                        ; -- End function
	.section	.AMDGPU.csdata,"",@progbits
; Function info:
; codeLenInByte = 11276
; NumSgprs: 61
; NumVgprs: 64
; NumAgprs: 39
; TotalNumVgprs: 103
; ScratchSize: 96
; MemoryBound: 0
	.text
	.p2align	2                               ; -- Begin function _Z42ncclDevFunc_AllGather_RING_LL_Sum_i8_0_0_2v
	.type	_Z42ncclDevFunc_AllGather_RING_LL_Sum_i8_0_0_2v,@function
_Z42ncclDevFunc_AllGather_RING_LL_Sum_i8_0_0_2v: ; @_Z42ncclDevFunc_AllGather_RING_LL_Sum_i8_0_0_2v
; %bb.0:
	s_waitcnt vmcnt(0) expcnt(0) lgkmcnt(0)
	s_mov_b32 s0, s33
	s_mov_b32 s33, s32
	s_or_saveexec_b64 s[2:3], -1
	scratch_store_dword off, v43, s33 offset:16 ; 4-byte Folded Spill
	s_mov_b64 exec, s[2:3]
	v_writelane_b32 v43, s0, 31
	s_add_i32 s32, s32, 32
	scratch_store_dword off, v40, s33 offset:12 ; 4-byte Folded Spill
	scratch_store_dword off, v41, s33 offset:8 ; 4-byte Folded Spill
	;; [unrolled: 1-line block ×3, first 2 shown]
	scratch_store_dword off, v63, s33       ; 4-byte Folded Spill
	v_writelane_b32 v43, s34, 0
	v_writelane_b32 v43, s35, 1
	;; [unrolled: 1-line block ×30, first 2 shown]
	s_nop 1
	v_writelane_b32 v43, s31, 30
	s_trap 2
	ds_read_b32 v0, v0
	v_mov_b32_e32 v40, v31
	s_mov_b32 s55, s12
	s_mov_b64 s[56:57], s[8:9]
	s_waitcnt lgkmcnt(0)
	v_cmp_gt_i32_e32 vcc, 1, v0
	s_cbranch_vccnz .LBB10_8
; %bb.1:
	s_mov_b32 s62, 0
	v_and_b32_e32 v41, 0x3ff, v40
	s_mov_b64 s[58:59], src_shared_base
	v_mov_b32_e32 v42, 6
	s_branch .LBB10_3
.LBB10_2:                               ;   in Loop: Header=BB10_3 Depth=1
	s_or_b64 exec, exec, s[60:61]
	s_trap 2
	ds_read_b32 v0, v0
	s_add_i32 s62, s62, 1
	s_waitcnt lgkmcnt(0)
	v_cmp_lt_i32_e32 vcc, s62, v0
	s_cbranch_vccz .LBB10_8
.LBB10_3:                               ; =>This Inner Loop Header: Depth=1
	s_trap 2
	ds_read_b32 v0, v0
	s_cmp_eq_u32 s62, 0
	s_cbranch_scc1 .LBB10_6
; %bb.4:                                ;   in Loop: Header=BB10_3 Depth=1
	s_trap 2
	s_waitcnt lgkmcnt(0)
	ds_read_b32 v1, v0
	s_waitcnt lgkmcnt(0)
	v_xor_b32_e32 v1, v1, v0
	v_and_b32_e32 v1, 0xff0000, v1
	v_cmp_eq_u32_e32 vcc, 0, v1
	s_cbranch_vccnz .LBB10_6
; %bb.5:                                ;   in Loop: Header=BB10_3 Depth=1
	s_barrier
	ds_read_b32 v0, v0
.LBB10_6:                               ;   in Loop: Header=BB10_3 Depth=1
	s_waitcnt lgkmcnt(0)
	v_lshlrev_b32_sdwa v1, v42, v0 dst_sel:DWORD dst_unused:UNUSED_PAD src0_sel:DWORD src1_sel:BYTE_2
	v_cmp_lt_u32_e32 vcc, v41, v1
	s_and_saveexec_b64 s[60:61], vcc
	s_cbranch_execz .LBB10_2
; %bb.7:                                ;   in Loop: Header=BB10_3 Depth=1
	s_mov_b64 s[8:9], s[56:57]
	s_mov_b32 s12, s55
	v_mov_b32_e32 v31, v40
	v_mov_b32_e32 v0, v41
	;; [unrolled: 1-line block ×3, first 2 shown]
	s_getpc_b64 s[0:1]
	s_add_u32 s0, s0, _ZN12_GLOBAL__N_17runRingIa7FuncSumIaE7ProtoLLLi0ELi2ELi0ELb0EEEviiP15ncclDevWorkColl@rel32@lo+4
	s_addc_u32 s1, s1, _ZN12_GLOBAL__N_17runRingIa7FuncSumIaE7ProtoLLLi0ELi2ELi0ELb0EEEviiP15ncclDevWorkColl@rel32@hi+12
	s_swappc_b64 s[30:31], s[0:1]
	s_branch .LBB10_2
.LBB10_8:
	scratch_load_dword v63, off, s33        ; 4-byte Folded Reload
	scratch_load_dword v42, off, s33 offset:4 ; 4-byte Folded Reload
	scratch_load_dword v41, off, s33 offset:8 ; 4-byte Folded Reload
	scratch_load_dword v40, off, s33 offset:12 ; 4-byte Folded Reload
	v_readlane_b32 s30, v43, 29
	v_readlane_b32 s31, v43, 30
	;; [unrolled: 1-line block ×32, first 2 shown]
	s_or_saveexec_b64 s[2:3], -1
	scratch_load_dword v43, off, s33 offset:16 ; 4-byte Folded Reload
	s_mov_b64 exec, s[2:3]
	s_addk_i32 s32, 0xffe0
	s_mov_b32 s33, s0
	s_waitcnt vmcnt(0)
	s_setpc_b64 s[30:31]
.Lfunc_end10:
	.size	_Z42ncclDevFunc_AllGather_RING_LL_Sum_i8_0_0_2v, .Lfunc_end10-_Z42ncclDevFunc_AllGather_RING_LL_Sum_i8_0_0_2v
                                        ; -- End function
	.section	.AMDGPU.csdata,"",@progbits
; Function info:
; codeLenInByte = 880
; NumSgprs: 69
; NumVgprs: 64
; NumAgprs: 39
; TotalNumVgprs: 103
; ScratchSize: 128
; MemoryBound: 0
	.text
	.p2align	2                               ; -- Begin function _ZN12_GLOBAL__N_17runRingIa7FuncSumIaE11ProtoSimpleILi1ELi4ELi0ELi2ELi0ELi0EELi0ELi2ELi0ELb0EEEviiP15ncclDevWorkColl
	.type	_ZN12_GLOBAL__N_17runRingIa7FuncSumIaE11ProtoSimpleILi1ELi4ELi0ELi2ELi0ELi0EELi0ELi2ELi0ELb0EEEviiP15ncclDevWorkColl,@function
_ZN12_GLOBAL__N_17runRingIa7FuncSumIaE11ProtoSimpleILi1ELi4ELi0ELi2ELi0ELi0EELi0ELi2ELi0ELb0EEEviiP15ncclDevWorkColl: ; @_ZN12_GLOBAL__N_17runRingIa7FuncSumIaE11ProtoSimpleILi1ELi4ELi0ELi2ELi0ELi0EELi0ELi2ELi0ELb0EEEviiP15ncclDevWorkColl
; %bb.0:
	s_waitcnt vmcnt(0) expcnt(0) lgkmcnt(0)
	s_mov_b32 s0, s33
	s_mov_b32 s33, s32
	s_or_saveexec_b64 s[2:3], -1
	scratch_store_dword off, v63, s33 offset:92 ; 4-byte Folded Spill
	s_mov_b64 exec, s[2:3]
	v_writelane_b32 v63, s0, 49
	s_addk_i32 s32, 0x70
	scratch_store_dword off, v40, s33 offset:88 ; 4-byte Folded Spill
	scratch_store_dword off, v41, s33 offset:84 ; 4-byte Folded Spill
	;; [unrolled: 1-line block ×22, first 2 shown]
	scratch_store_dword off, a39, s33       ; 4-byte Folded Spill
	v_writelane_b32 v63, s34, 0
	v_writelane_b32 v63, s35, 1
	;; [unrolled: 1-line block ×48, first 2 shown]
	s_nop 1
	v_writelane_b32 v63, s31, 48
	s_trap 2
	flat_load_dword v5, v[2:3]
	flat_load_dwordx4 v[26:29], v[2:3] offset:72
	flat_load_dwordx2 v[12:13], v[2:3] offset:88
	v_mov_b32_e32 v42, v0
	ds_read_b32 v0, v0
	v_mov_b32_e32 v11, v1
                                        ; implicit-def: $vgpr22_vgpr23
                                        ; implicit-def: $agpr8_agpr9
	s_waitcnt lgkmcnt(0)
	ds_read_b64 v[52:53], v0
	v_readfirstlane_b32 s74, v0
	s_waitcnt vmcnt(0)
	v_not_b32_sdwa v4, v5 dst_sel:DWORD dst_unused:UNUSED_PAD src0_sel:BYTE_0
	v_add_u32_sdwa v1, v5, v4 dst_sel:DWORD dst_unused:UNUSED_PAD src0_sel:BYTE_1 src1_sel:DWORD
	v_ashrrev_i32_e32 v6, 31, v1
	v_mul_lo_u32 v7, v29, v1
	v_mad_u64_u32 v[14:15], s[0:1], v28, v1, 0
	v_mul_lo_u32 v1, v28, v6
	v_add3_u32 v15, v15, v1, v7
	v_cmp_ne_u32_sdwa s[0:1], v5, v0 src0_sel:BYTE_0 src1_sel:DWORD
	s_and_saveexec_b64 s[2:3], s[0:1]
	s_xor_b64 s[0:1], exec, s[2:3]
	s_cbranch_execz .LBB11_6
; %bb.1:
	v_cmp_ne_u32_sdwa s[2:3], v5, v0 src0_sel:BYTE_1 src1_sel:DWORD
                                        ; implicit-def: $vgpr22_vgpr23
                                        ; implicit-def: $agpr8_agpr9
	s_and_saveexec_b64 s[4:5], s[2:3]
	s_xor_b64 s[2:3], exec, s[4:5]
	s_cbranch_execz .LBB11_3
; %bb.2:
	flat_load_dwordx2 v[6:7], v[2:3] offset:96
	v_add_u32_e32 v0, v0, v4
	v_ashrrev_i32_e32 v1, 31, v0
	v_mul_lo_u32 v1, v28, v1
	v_mul_lo_u32 v4, v29, v0
	v_mad_u64_u32 v[8:9], s[4:5], v28, v0, v[26:27]
	v_add3_u32 v9, v4, v9, v1
	v_accvgpr_write_b32 a8, v8
	v_accvgpr_write_b32 a9, v9
	s_waitcnt vmcnt(0) lgkmcnt(0)
	v_lshrrev_b64 v[22:23], 21, v[6:7]
.LBB11_3:
	s_andn2_saveexec_b64 s[2:3], s[2:3]
	s_cbranch_execz .LBB11_5
; %bb.4:
	flat_load_dword v0, v[2:3] offset:100
	v_lshl_add_u64 v[4:5], v[14:15], 0, v[26:27]
	v_accvgpr_write_b32 a9, v5
	v_accvgpr_write_b32 a8, v4
	v_mov_b64_e32 v[28:29], v[12:13]
	s_waitcnt vmcnt(0) lgkmcnt(0)
	v_lshrrev_b32_e32 v22, 10, v0
.LBB11_5:
	s_or_b64 exec, exec, s[2:3]
.LBB11_6:
	s_andn2_saveexec_b64 s[0:1], s[0:1]
	s_cbranch_execz .LBB11_8
; %bb.7:
	flat_load_dwordx2 v[22:23], v[2:3] offset:96
	v_mov_b64_e32 v[0:1], 0
	v_accvgpr_write_b32 a9, v1
	v_accvgpr_write_b32 a8, v0
	v_mov_b64_e32 v[28:29], v[26:27]
.LBB11_8:
	s_or_b64 exec, exec, s[0:1]
	flat_load_dwordx4 v[32:35], v[2:3] offset:16
	v_lshl_add_u64 v[0:1], v[12:13], 0, v[26:27]
	v_lshl_add_u64 v[20:21], v[0:1], 0, v[14:15]
	v_cmp_ge_i32_e32 vcc, v42, v11
	s_and_saveexec_b64 s[0:1], vcc
	s_xor_b64 s[0:1], exec, s[0:1]
	s_cbranch_execz .LBB11_41
; %bb.9:
	s_waitcnt lgkmcnt(0)
	flat_load_dword v0, v[52:53]
	s_waitcnt vmcnt(0) lgkmcnt(0)
	v_ashrrev_i32_e32 v1, 31, v0
	v_mul_lo_u32 v2, v21, v0
	v_mul_lo_u32 v3, v20, v1
	v_mad_u64_u32 v[4:5], s[2:3], v20, v0, v[32:33]
	v_add3_u32 v5, v2, v5, v3
	v_cmp_ne_u64_e32 vcc, v[34:35], v[4:5]
	s_and_saveexec_b64 s[2:3], vcc
	s_cbranch_execz .LBB11_40
; %bb.10:
	v_accvgpr_read_b32 v4, a8
	v_mad_u64_u32 v[0:1], s[4:5], v20, v0, 0
	v_accvgpr_read_b32 v5, a9
	v_add3_u32 v1, v1, v3, v2
	v_lshl_add_u64 v[2:3], v[34:35], 0, v[4:5]
	v_lshl_add_u64 v[4:5], v[32:33], 0, v[4:5]
	;; [unrolled: 1-line block ×3, first 2 shown]
	v_sub_u32_e32 v1, v42, v11
	v_ashrrev_i32_e32 v0, 31, v1
	v_lshrrev_b32_e32 v0, 26, v0
	v_add_u32_e32 v0, v1, v0
	v_and_b32_e32 v6, 0xffffffc0, v0
	v_sub_u32_e32 v20, v1, v6
	v_cmp_gt_i32_e32 vcc, 1, v20
	v_mov_b32_e32 v1, 0
	s_and_saveexec_b64 s[4:5], vcc
; %bb.11:
	v_or_b32_e32 v1, v2, v4
	v_and_b32_e32 v1, 15, v1
	v_cmp_ne_u32_e32 vcc, 0, v1
	s_nop 1
	v_cndmask_b32_e64 v1, 0, 1, vcc
; %bb.12:
	s_or_b64 exec, exec, s[4:5]
	v_ashrrev_i32_e32 v21, 6, v0
	;;#ASMSTART
	;;#ASMEND
	s_nop 0
	v_cmp_ne_u32_e32 vcc, 0, v1
	s_cbranch_vccz .LBB11_14
; %bb.13:
	s_mov_b64 s[14:15], -1
	s_mov_b64 s[6:7], 0
	v_mov_b64_e32 v[10:11], 0
	s_mov_b64 s[4:5], 0
                                        ; implicit-def: $vgpr8_vgpr9
                                        ; implicit-def: $vgpr0_vgpr1
	v_mov_b32_e32 v6, v20
	v_mov_b32_e32 v7, v21
	s_and_saveexec_b64 s[10:11], s[14:15]
	s_cbranch_execnz .LBB11_25
	s_branch .LBB11_34
.LBB11_14:
	v_ashrrev_i32_e32 v0, 31, v29
	v_lshrrev_b32_e32 v0, 20, v0
	v_mov_b32_e32 v1, 0
	v_lshl_add_u64 v[0:1], v[28:29], 0, v[0:1]
	v_ashrrev_i64 v[12:13], 12, v[0:1]
	v_ashrrev_i32_e32 v0, 31, v21
	v_sub_co_u32_e32 v16, vcc, v12, v21
	s_mov_b64 s[14:15], 0
	s_nop 0
	v_subb_co_u32_e32 v17, vcc, v13, v0, vcc
	v_cmp_gt_i64_e32 vcc, 1, v[16:17]
	s_mov_b64 s[4:5], -1
	v_mov_b64_e32 v[10:11], 0
	s_mov_b64 s[6:7], 0
                                        ; implicit-def: $vgpr8_vgpr9
                                        ; implicit-def: $vgpr0_vgpr1
                                        ; implicit-def: $vgpr6
                                        ; implicit-def: $vgpr7
	s_and_saveexec_b64 s[10:11], vcc
	s_cbranch_execz .LBB11_24
; %bb.15:
	v_lshlrev_b64 v[0:1], 12, v[12:13]
	v_cmp_ne_u64_e32 vcc, v[28:29], v[0:1]
	v_mov_b64_e32 v[10:11], 0
                                        ; implicit-def: $vgpr8_vgpr9
                                        ; implicit-def: $vgpr6
                                        ; implicit-def: $vgpr7
	s_and_saveexec_b64 s[4:5], vcc
	s_cbranch_execz .LBB11_23
; %bb.16:
	v_sub_co_u32_e32 v10, vcc, v28, v0
	v_mov_b32_e32 v9, 0
	s_nop 0
	v_subb_co_u32_e32 v11, vcc, v29, v1, vcc
	v_ashrrev_i32_e32 v6, 31, v11
	v_lshrrev_b32_e32 v8, 22, v6
	v_lshl_add_u64 v[6:7], v[10:11], 0, v[8:9]
	v_ashrrev_i64 v[18:19], 10, v[6:7]
	v_and_b32_e32 v6, 0xfffffc00, v6
	v_sub_co_u32_e32 v12, vcc, v10, v6
	v_lshl_add_u64 v[14:15], v[6:7], 0, v[0:1]
	s_nop 0
	v_subb_co_u32_e32 v13, vcc, v11, v7, vcc
	v_cmp_lt_i64_e32 vcc, 15, v[12:13]
	s_and_saveexec_b64 s[6:7], vcc
; %bb.17:
	v_and_b32_e32 v8, 15, v28
	v_sub_co_u32_e32 v6, vcc, v12, v8
	v_lshl_add_u64 v[18:19], v[18:19], 0, 1
	s_nop 0
	v_subbrev_co_u32_e32 v7, vcc, 0, v13, vcc
	v_lshl_add_u64 v[14:15], v[6:7], 0, v[14:15]
	v_mov_b64_e32 v[12:13], v[8:9]
; %bb.18:
	s_or_b64 exec, exec, s[6:7]
	v_lshlrev_b32_e32 v6, 6, v16
	v_sub_u32_e32 v6, v20, v6
	v_ashrrev_i32_e32 v7, 31, v6
	v_lshrrev_b32_e32 v7, 26, v7
	v_add_u32_e32 v7, v6, v7
	v_ashrrev_i32_e32 v16, 6, v7
	v_and_b32_e32 v7, 0xffffffc0, v7
	v_sub_u32_e32 v17, v6, v7
	v_lshlrev_b32_e32 v6, 4, v17
	v_lshl_add_u32 v8, v16, 10, v6
	v_ashrrev_i32_e32 v9, 31, v8
	v_sub_co_u32_e32 v6, vcc, v10, v8
	s_mov_b64 s[16:17], -1
	s_nop 0
	v_subb_co_u32_e32 v7, vcc, v11, v9, vcc
	v_cmp_gt_i64_e32 vcc, 16, v[6:7]
	v_mov_b64_e32 v[10:11], 0
                                        ; implicit-def: $vgpr28_vgpr29
                                        ; implicit-def: $vgpr6
                                        ; implicit-def: $vgpr7
	s_and_saveexec_b64 s[6:7], vcc
	s_cbranch_execz .LBB11_22
; %bb.19:
	v_cmp_ne_u64_e32 vcc, 0, v[12:13]
	v_mov_b64_e32 v[10:11], 0
                                        ; implicit-def: $vgpr6
                                        ; implicit-def: $vgpr7
	s_and_saveexec_b64 s[16:17], vcc
; %bb.20:
	v_sub_u32_e32 v6, v16, v18
	v_lshl_add_u32 v6, v6, 6, v17
	v_ashrrev_i32_e32 v7, 31, v6
	v_lshrrev_b32_e32 v7, 26, v7
	v_add_u32_e32 v7, v6, v7
	v_and_b32_e32 v10, 0xffffffc0, v7
	s_mov_b64 s[14:15], exec
	v_sub_u32_e32 v6, v6, v10
	v_ashrrev_i32_e32 v7, 6, v7
	v_mov_b64_e32 v[10:11], v[14:15]
; %bb.21:
	s_or_b64 exec, exec, s[16:17]
	s_xor_b64 s[16:17], exec, -1
	s_and_b64 s[14:15], s[14:15], exec
	v_mov_b64_e32 v[28:29], v[12:13]
.LBB11_22:
	s_or_b64 exec, exec, s[6:7]
	s_and_b64 s[6:7], s[16:17], exec
	s_and_b64 s[14:15], s[14:15], exec
.LBB11_23:
	s_or_b64 exec, exec, s[4:5]
	s_xor_b64 s[4:5], exec, -1
	s_and_b64 s[6:7], s[6:7], exec
	s_and_b64 s[14:15], s[14:15], exec
.LBB11_24:
	s_or_b64 exec, exec, s[10:11]
	s_and_saveexec_b64 s[10:11], s[14:15]
	s_cbranch_execz .LBB11_34
.LBB11_25:
	v_ashrrev_i32_e32 v12, 31, v29
	v_lshrrev_b32_e32 v12, 22, v12
	v_mov_b32_e32 v13, 0
	v_lshl_add_u64 v[12:13], v[28:29], 0, v[12:13]
	v_ashrrev_i64 v[14:15], 10, v[12:13]
	v_ashrrev_i32_e32 v13, 31, v7
	v_sub_co_u32_e32 v12, vcc, v14, v7
	s_nop 1
	v_subb_co_u32_e32 v13, vcc, v15, v13, vcc
	v_cmp_gt_i64_e32 vcc, 1, v[12:13]
	s_and_saveexec_b64 s[14:15], vcc
	s_xor_b64 s[14:15], exec, s[14:15]
	s_cbranch_execz .LBB11_31
; %bb.26:
	v_lshlrev_b64 v[14:15], 10, v[14:15]
	v_cmp_ne_u64_e32 vcc, v[28:29], v[14:15]
	s_and_saveexec_b64 s[16:17], vcc
	s_cbranch_execz .LBB11_30
; %bb.27:
	v_lshlrev_b32_e32 v7, 6, v12
	v_sub_co_u32_e32 v16, vcc, v28, v14
	v_sub_u32_e32 v6, v6, v7
	s_nop 0
	v_subb_co_u32_e32 v17, vcc, v29, v15, vcc
	v_ashrrev_i32_e32 v7, 31, v6
	v_cmp_gt_i64_e32 vcc, v[16:17], v[6:7]
	s_and_b64 exec, exec, vcc
	s_cbranch_execz .LBB11_30
; %bb.28:
	v_lshl_add_u64 v[10:11], v[14:15], 0, v[10:11]
	v_lshl_add_u64 v[6:7], v[10:11], 0, v[6:7]
	;; [unrolled: 1-line block ×3, first 2 shown]
	flat_load_ubyte v10, v[10:11]
	v_lshl_add_u64 v[6:7], v[6:7], 0, v[4:5]
	s_and_b64 vcc, exec, -1
	s_waitcnt vmcnt(0) lgkmcnt(0)
	flat_store_byte v[6:7], v10 nt
.LBB11_29:                              ; =>This Inner Loop Header: Depth=1
	s_mov_b64 vcc, vcc
	s_cbranch_vccnz .LBB11_29
.LBB11_30:
	s_or_b64 exec, exec, s[16:17]
                                        ; implicit-def: $vgpr7
                                        ; implicit-def: $vgpr6
                                        ; implicit-def: $vgpr10_vgpr11
.LBB11_31:
	s_andn2_saveexec_b64 s[14:15], s[14:15]
	s_cbranch_execz .LBB11_34
; %bb.32:
	v_lshl_add_u32 v6, v7, 10, v6
	v_ashrrev_i32_e32 v7, 31, v6
	v_lshl_add_u64 v[10:11], v[10:11], 0, v[6:7]
	v_lshl_add_u64 v[6:7], v[10:11], 0, v[4:5]
	;; [unrolled: 1-line block ×3, first 2 shown]
	s_and_b64 vcc, exec, 0
.LBB11_33:                              ; =>This Inner Loop Header: Depth=1
	flat_load_ubyte v12, v[10:11] nt
	flat_load_ubyte v13, v[10:11] offset:64 nt
	flat_load_ubyte v14, v[10:11] offset:128 nt
	;; [unrolled: 1-line block ×15, first 2 shown]
	s_waitcnt vmcnt(0) lgkmcnt(0)
	flat_store_byte v[6:7], v12 nt
	flat_store_byte v[6:7], v13 offset:64 nt
	flat_store_byte v[6:7], v14 offset:128 nt
	;; [unrolled: 1-line block ×15, first 2 shown]
	s_mov_b64 vcc, vcc
	s_cbranch_vccz .LBB11_33
.LBB11_34:
	s_or_b64 exec, exec, s[10:11]
	s_and_saveexec_b64 s[10:11], s[6:7]
	s_cbranch_execz .LBB11_37
; %bb.35:
	v_lshl_add_u64 v[6:7], v[0:1], 0, v[8:9]
	v_lshl_add_u64 v[0:1], v[6:7], 0, v[4:5]
	;; [unrolled: 1-line block ×3, first 2 shown]
	s_and_b64 vcc, exec, 0
.LBB11_36:                              ; =>This Inner Loop Header: Depth=1
	global_load_dwordx4 v[8:11], v[6:7], off nt
	s_waitcnt vmcnt(0)
	global_store_dwordx4 v[0:1], v[8:11], off nt
	s_mov_b64 vcc, vcc
	s_cbranch_vccz .LBB11_36
.LBB11_37:
	s_or_b64 exec, exec, s[10:11]
	s_and_saveexec_b64 s[6:7], s[4:5]
	s_xor_b64 s[6:7], exec, s[6:7]
	s_cbranch_execz .LBB11_40
; %bb.38:
	v_lshlrev_b32_e32 v0, 4, v20
	v_lshl_add_u32 v6, v21, 12, v0
	v_ashrrev_i32_e32 v7, 31, v6
	v_lshl_add_u64 v[0:1], v[4:5], 0, v[6:7]
	v_lshl_add_u64 v[2:3], v[2:3], 0, v[6:7]
	s_and_b64 vcc, exec, 0
.LBB11_39:                              ; =>This Inner Loop Header: Depth=1
	global_load_dwordx4 v[4:7], v[2:3], off nt
	global_load_dwordx4 v[8:11], v[2:3], off offset:1024 nt
	global_load_dwordx4 v[12:15], v[2:3], off offset:2048 nt
	;; [unrolled: 1-line block ×3, first 2 shown]
	s_waitcnt vmcnt(0)
	global_store_dwordx4 v[0:1], v[4:7], off nt
	global_store_dwordx4 v[0:1], v[8:11], off offset:1024 nt
	global_store_dwordx4 v[0:1], v[12:15], off offset:2048 nt
	;; [unrolled: 1-line block ×3, first 2 shown]
	s_mov_b64 vcc, vcc
	s_cbranch_vccz .LBB11_39
.LBB11_40:
	s_or_b64 exec, exec, s[2:3]
                                        ; implicit-def: $vgpr28_vgpr29
                                        ; implicit-def: $agpr8_agpr9
                                        ; implicit-def: $vgpr22_vgpr23
                                        ; implicit-def: $vgpr20_vgpr21
                                        ; implicit-def: $vgpr42
                                        ; implicit-def: $vgpr11
                                        ; implicit-def: $vgpr52_vgpr53
                                        ; implicit-def: $vgpr31
                                        ; implicit-def: $vgpr34_vgpr35
                                        ; implicit-def: $vgpr2_vgpr3
.LBB11_41:
	s_andn2_saveexec_b64 s[34:35], s[0:1]
	s_cbranch_execz .LBB11_1033
; %bb.42:
	s_trap 2
	ds_read_b64 v[0:1], v0
	s_waitcnt lgkmcnt(0)
	v_cmp_ne_u32_e32 vcc, -1, v0
	s_nop 1
	v_cndmask_b32_e64 v10, 0, 1, vcc
	v_cmp_ne_u32_e32 vcc, -1, v1
	s_nop 1
	v_addc_co_u32_e64 v0, s[0:1], 0, v10, vcc
	v_lshlrev_b32_e32 v1, 1, v0
	v_cmp_le_i32_e64 s[0:1], v1, v11
	s_and_saveexec_b64 s[2:3], s[0:1]
	s_xor_b64 s[36:37], exec, s[2:3]
	s_cbranch_execz .LBB11_1030
; %bb.43:
	flat_load_dwordx2 v[4:5], v[2:3] offset:104
	flat_load_ushort v13, v[2:3] offset:8
	flat_load_dword v12, v[2:3] offset:4
	s_trap 2
	s_load_dword s0, s[8:9], 0x0
	v_mov_b32_e32 v1, 0
	v_mov_b32_e32 v62, 4
	s_waitcnt lgkmcnt(0)
	s_cmp_lt_u32 s12, s0
	s_cselect_b32 s0, 12, 18
	s_add_u32 s0, s8, s0
	s_addc_u32 s1, s9, 0
	global_load_ushort v16, v1, s[0:1]
	ds_read_b32 v1, v0
	v_cmp_ge_i32_e64 s[0:1], v42, v10
	s_waitcnt lgkmcnt(0)
	v_readfirstlane_b32 s14, v1
	s_and_saveexec_b64 s[2:3], s[0:1]
	s_cbranch_execz .LBB11_53
; %bb.44:
	v_cmp_le_u32_e64 s[0:1], v0, v42
                                        ; implicit-def: $vgpr62
	s_and_saveexec_b64 s[4:5], s[0:1]
	s_xor_b64 s[0:1], exec, s[4:5]
	s_cbranch_execz .LBB11_50
; %bb.45:
	v_cndmask_b32_e64 v1, 0, 1, vcc
	v_sub_u32_e32 v1, v11, v1
	v_cmp_ge_u32_e32 vcc, v42, v1
                                        ; implicit-def: $sgpr6
	s_and_saveexec_b64 s[4:5], vcc
	s_xor_b64 s[4:5], exec, s[4:5]
; %bb.46:
	s_mov_b32 s6, 16
                                        ; implicit-def: $vgpr0
; %bb.47:
	s_or_saveexec_b64 s[4:5], s[4:5]
	v_mov_b32_e32 v62, s6
	s_xor_b64 exec, exec, s[4:5]
; %bb.48:
	v_sub_u32_e32 v0, v11, v0
	v_cmp_ge_i32_e32 vcc, v42, v0
	s_nop 1
	v_cndmask_b32_e64 v0, 0, 1, vcc
	v_lshlrev_b32_e32 v62, 5, v0
; %bb.49:
	s_or_b64 exec, exec, s[4:5]
.LBB11_50:
	s_andn2_saveexec_b64 s[0:1], s[0:1]
; %bb.51:
	v_mov_b32_e32 v62, 8
; %bb.52:
	s_or_b64 exec, exec, s[0:1]
.LBB11_53:
	s_or_b64 exec, exec, s[2:3]
	v_and_b32_e32 v0, 36, v62
	v_cmp_ne_u32_e32 vcc, 0, v0
	v_mov_b32_e32 v14, -1
	s_and_saveexec_b64 s[0:1], vcc
	s_cbranch_execz .LBB11_55
; %bb.54:
	s_trap 2
	ds_read_b32 v14, v0
.LBB11_55:
	s_or_b64 exec, exec, s[0:1]
	v_and_b32_e32 v0, 24, v62
	v_cmp_ne_u32_e64 s[0:1], 0, v0
	s_and_saveexec_b64 s[2:3], s[0:1]
	s_cbranch_execz .LBB11_57
; %bb.56:
	s_trap 2
	s_waitcnt lgkmcnt(0)
	ds_read_b32 v14, v0
.LBB11_57:
	s_or_b64 exec, exec, s[2:3]
	s_waitcnt vmcnt(0)
	v_lshrrev_b64 v[0:1], 31, v[12:13]
	v_mov_b64_e32 v[12:13], 0
	v_accvgpr_write_b32 a19, v13
	v_and_b32_e32 v0, 3, v0
	v_accvgpr_write_b32 a18, v12
                                        ; implicit-def: $agpr14_agpr15
                                        ; implicit-def: $agpr22
                                        ; implicit-def: $vgpr38_vgpr39
                                        ; implicit-def: $agpr24_agpr25
                                        ; implicit-def: $vgpr36_vgpr37
                                        ; implicit-def: $vgpr26_vgpr27
	s_and_saveexec_b64 s[0:1], vcc
	s_cbranch_execz .LBB11_67
; %bb.58:
	s_trap 2
	ds_read_b64 v[6:7], v0
	s_waitcnt lgkmcnt(1)
	v_ashrrev_i32_e32 v15, 31, v14
	v_and_b32_e32 v1, 0xffff, v0
	s_movk_i32 s2, 0xa8
                                        ; implicit-def: $agpr14_agpr15
	s_waitcnt lgkmcnt(0)
	v_lshl_add_u64 v[6:7], v[14:15], 3, v[6:7]
	flat_load_dwordx2 v[6:7], v[6:7]
	s_waitcnt vmcnt(0) lgkmcnt(0)
	v_mad_u64_u32 v[6:7], s[2:3], v1, s2, v[6:7]
	flat_load_dword v1, v[6:7] offset:640
	s_mov_b64 s[2:3], 0x1f8
	v_lshl_add_u64 v[12:13], v[6:7], 0, s[2:3]
	s_waitcnt vmcnt(0) lgkmcnt(0)
	v_cmp_eq_u32_e32 vcc, 1, v1
	s_and_saveexec_b64 s[2:3], vcc
	s_cbranch_execz .LBB11_60
; %bb.59:
	flat_load_dwordx2 v[8:9], v[12:13] offset:144
	v_or_b32_e32 v62, 0x2000, v62
	s_waitcnt vmcnt(0) lgkmcnt(0)
	flat_load_dwordx2 v[6:7], v[8:9]
	s_trap 2
	v_accvgpr_write_b32 a15, v9
	v_accvgpr_write_b32 a14, v8
	s_waitcnt vmcnt(0) lgkmcnt(0)
	ds_write_b64 v0, v[6:7]
	flat_load_dwordx2 v[6:7], v[8:9] offset:8
	s_waitcnt vmcnt(0) lgkmcnt(0)
	ds_write_b64 v0, v[6:7]
	flat_load_dwordx2 v[6:7], v[8:9] offset:16
	s_waitcnt vmcnt(0) lgkmcnt(0)
	ds_write_b64 v0, v[6:7]
.LBB11_60:
	s_or_b64 exec, exec, s[2:3]
	flat_load_dwordx2 v[6:7], v[12:13] offset:104
	v_and_b32_e32 v1, 32, v62
	v_cmp_ne_u32_e32 vcc, 0, v1
                                        ; implicit-def: $vgpr26_vgpr27
	s_waitcnt vmcnt(0) lgkmcnt(0)
	v_lshl_add_u64 v[38:39], v[6:7], 0, 3
	v_and_b32_e32 v38, -4, v38
	s_and_saveexec_b64 s[2:3], vcc
	s_cbranch_execz .LBB11_62
; %bb.61:
	flat_load_dwordx2 v[26:27], v[12:13] offset:56
	s_waitcnt vmcnt(0) lgkmcnt(0)
	flat_store_dwordx2 v[26:27], v[38:39] sc0 sc1
.LBB11_62:
	s_or_b64 exec, exec, s[2:3]
	v_mov_b64_e32 v[6:7], 0
	v_and_b32_e32 v1, 4, v62
	v_accvgpr_write_b32 a19, v7
	v_cmp_ne_u32_e32 vcc, 0, v1
	v_accvgpr_write_b32 a18, v6
                                        ; implicit-def: $agpr22
                                        ; implicit-def: $agpr24_agpr25
                                        ; implicit-def: $vgpr36_vgpr37
	s_and_saveexec_b64 s[2:3], vcc
	s_cbranch_execz .LBB11_66
; %bb.63:
	v_and_b32_e32 v1, 0x800, v62
	v_cmp_eq_u32_e32 vcc, 0, v1
	s_and_saveexec_b64 s[4:5], vcc
	s_cbranch_execz .LBB11_65
; %bb.64:
	s_trap 2
	ds_write_b64 v0, v[12:13]
.LBB11_65:
	s_or_b64 exec, exec, s[4:5]
	flat_load_dwordx2 v[26:27], v[12:13] offset:48
	v_or_b32_e32 v1, 0x100, v62
	s_waitcnt vmcnt(0) lgkmcnt(0)
	flat_load_dwordx2 v[36:37], v[26:27] sc0 sc1
	flat_load_dwordx2 v[6:7], v[12:13] offset:96
	flat_load_dword a22, v[12:13] offset:72
	flat_load_dwordx2 a[24:25], v[12:13] offset:16
	s_waitcnt vmcnt(0) lgkmcnt(0)
	v_accvgpr_write_b32 a19, v7
	v_cmp_eq_u64_e32 vcc, 0, v[6:7]
	v_accvgpr_write_b32 a18, v6
	s_nop 0
	v_cndmask_b32_e32 v62, v1, v62, vcc
.LBB11_66:
	s_or_b64 exec, exec, s[2:3]
.LBB11_67:
	s_or_b64 exec, exec, s[0:1]
	v_and_b32_e32 v1, 24, v62
	v_cmp_ne_u32_e32 vcc, 0, v1
                                        ; implicit-def: $agpr26_agpr27
	s_and_saveexec_b64 s[0:1], vcc
	s_cbranch_execz .LBB11_75
; %bb.68:
	s_trap 2
	ds_read_b64 v[6:7], v0
	s_waitcnt lgkmcnt(0)
	v_ashrrev_i32_e32 v15, 31, v14
	v_and_b32_e32 v0, 0xffff, v0
	s_movk_i32 s2, 0xa8
                                        ; implicit-def: $agpr26_agpr27
	v_lshl_add_u64 v[6:7], v[14:15], 3, v[6:7]
	flat_load_dwordx2 v[6:7], v[6:7]
	s_waitcnt vmcnt(0) lgkmcnt(0)
	v_mad_u64_u32 v[12:13], s[2:3], v0, s2, v[6:7]
	flat_load_dwordx4 v[6:9], v[12:13] offset:96
	v_or_b32_e32 v0, 0x100, v62
	s_waitcnt vmcnt(0) lgkmcnt(0)
	v_cmp_eq_u64_e32 vcc, 0, v[6:7]
	s_nop 1
	v_cndmask_b32_e32 v62, v0, v62, vcc
	v_accvgpr_write_b32 a21, v9
	v_and_b32_e32 v0, 16, v62
	v_accvgpr_write_b32 a20, v8
	v_accvgpr_write_b32 a19, v7
	;; [unrolled: 1-line block ×3, first 2 shown]
	v_cmp_ne_u32_e32 vcc, 0, v0
	s_and_saveexec_b64 s[2:3], vcc
	s_cbranch_execz .LBB11_70
; %bb.69:
	flat_load_dwordx2 a[26:27], v[12:13] offset:120
	flat_load_dwordx2 v[26:27], v[12:13] offset:48
	;; [unrolled: 1-line block ×3, first 2 shown]
.LBB11_70:
	s_or_b64 exec, exec, s[2:3]
	v_accvgpr_read_b32 v6, a18
	v_accvgpr_read_b32 v8, a20
	;; [unrolled: 1-line block ×3, first 2 shown]
	v_lshl_add_u64 v[38:39], v[8:9], 0, 3
	v_and_b32_e32 v0, 8, v62
	v_and_b32_e32 v38, -4, v38
	v_cmp_ne_u32_e32 vcc, 0, v0
	v_accvgpr_read_b32 v7, a19
	s_and_saveexec_b64 s[2:3], vcc
	s_cbranch_execz .LBB11_74
; %bb.71:
	v_and_b32_e32 v0, 0x800, v62
	v_cmp_eq_u32_e32 vcc, 0, v0
	s_and_saveexec_b64 s[4:5], vcc
	s_cbranch_execz .LBB11_73
; %bb.72:
	s_trap 2
	ds_write_b64 v0, v[12:13]
.LBB11_73:
	s_or_b64 exec, exec, s[4:5]
	s_waitcnt vmcnt(0) lgkmcnt(0)
	flat_load_dwordx2 v[26:27], v[12:13] offset:56
	s_waitcnt vmcnt(0) lgkmcnt(0)
	flat_load_dwordx2 v[36:37], v[26:27] sc0 sc1
	flat_load_dword a22, v[12:13] offset:72
	flat_load_dwordx2 a[24:25], v[12:13] offset:16
.LBB11_74:
	s_or_b64 exec, exec, s[2:3]
.LBB11_75:
	s_or_b64 exec, exec, s[0:1]
	v_cmp_eq_u32_e64 s[0:1], 0, v42
	s_and_saveexec_b64 s[2:3], s[0:1]
	s_cbranch_execz .LBB11_77
; %bb.76:
	flat_load_dwordx2 v[0:1], v[2:3] offset:32
	v_mov_b32_e32 v6, v34
	v_mov_b32_e32 v7, v35
	;; [unrolled: 1-line block ×4, first 2 shown]
	s_waitcnt vmcnt(0) lgkmcnt(0)
	ds_write2_b64 v0, v[6:7], v[8:9] offset1:1
	s_trap 2
	ds_write_b64 v0, v[0:1]
	ds_write_b64 v0, v[4:5]
.LBB11_77:
	s_or_b64 exec, exec, s[2:3]
	s_mov_b64 s[40:41], 0
	v_cmp_ne_u64_e32 vcc, 0, v[28:29]
	s_waitcnt lgkmcnt(0)
	v_mov_b64_e32 v[14:15], 0
	s_and_saveexec_b64 s[38:39], vcc
	s_cbranch_execz .LBB11_994
; %bb.78:
	flat_load_dword v0, v[2:3] offset:4
	v_accvgpr_write_b32 a10, v32
	v_mov_b32_e32 v49, 0
	v_accvgpr_write_b32 a11, v33
	v_accvgpr_write_b32 a12, v34
	;; [unrolled: 1-line block ×3, first 2 shown]
	v_lshlrev_b32_e32 v1, 9, v22
	s_waitcnt vmcnt(0)
	v_accvgpr_read_b32 v32, a22
	v_mov_b32_e32 v9, v49
	v_cvt_f64_u32_e32 v[2:3], 0
	v_ashrrev_i32_e32 v5, 31, v32
	v_and_b32_e32 v8, 0x3ffffe00, v1
	v_accvgpr_write_b32 a29, v9
	v_accvgpr_write_b32 a21, v5
	v_ashrrev_i32_e32 v5, 31, v42
	v_ldexp_f64 v[2:3], v[2:3], 32
	v_accvgpr_write_b32 a28, v8
	v_cvt_f64_u32_e32 v[8:9], v8
	v_lshrrev_b32_e32 v5, 26, v5
	v_add_f64 v[2:3], v[2:3], v[8:9]
	s_ashr_i32 s12, s14, 31
	v_and_b32_e32 v4, 63, v31
	v_lshrrev_b32_e32 v50, 6, v11
	v_mov_b32_e32 v6, 0xfffff800
	v_add_u32_e32 v14, v42, v5
	v_accvgpr_write_b32 a33, v3
	s_lshr_b32 s15, s12, 26
	v_cmp_eq_u32_e64 s[12:13], 0, v4
	v_lshl_add_u32 v4, v50, 11, v6
	v_accvgpr_write_b32 a32, v2
	v_ashrrev_i32_e32 v1, 6, v14
	v_and_b32_e32 v2, 0xffffffc0, v14
	s_mov_b64 s[16:17], 0x800
	v_lshlrev_b32_e32 v33, 10, v50
	v_ashrrev_i32_e32 v5, 31, v4
	v_sub_u32_e32 v3, v42, v2
	v_lshlrev_b32_e32 v2, 11, v1
	v_cmp_eq_u32_e64 s[2:3], 64, v11
	v_cmp_ne_u32_e64 s[4:5], 64, v11
	v_accvgpr_write_b32 a5, v16
	v_cmp_ne_u32_sdwa s[42:43], v16, v11 src0_sel:WORD_0 src1_sel:DWORD
	v_accvgpr_write_b32 a0, v11
	v_and_b32_e32 v11, 0xffffffc0, v11
	v_mov_b32_e32 v7, 0xfffff000
	s_add_i32 s14, s14, s15
	v_add_u32_e32 v16, 0xfffffc00, v33
	v_lshl_add_u64 v[46:47], v[4:5], 0, s[16:17]
	v_lshl_add_u32 v4, v3, 4, v2
	v_accvgpr_write_b32 a17, v13
	v_accvgpr_write_b32 a1, v31
	v_accvgpr_read_b32 v31, a27
	v_subrev_u32_e32 v40, 64, v11
	v_lshl_add_u32 v6, v50, 12, v7
	s_ashr_i32 s78, s14, 6
	v_ashrrev_i32_e32 v17, 31, v16
	v_ashrrev_i32_e32 v5, 31, v4
	v_accvgpr_write_b32 a16, v12
	s_mov_b64 s[44:45], 0x400
	s_mov_b64 s[18:19], 0x1000
	v_accvgpr_read_b32 v30, a26
	v_mov_b64_e32 v[12:13], 0
	v_ashrrev_i32_e32 v41, 31, v40
	v_ashrrev_i32_e32 v7, 31, v6
	v_accvgpr_write_b32 a31, v17
	s_cmp_gt_i32 s74, 2
	v_accvgpr_write_b32 a37, v5
	v_add_u32_e32 v24, v4, v2
	v_accvgpr_write_b32 a6, v52
	v_accvgpr_read_b32 v35, a25
	s_movk_i32 s75, 0xffc0
	v_cmp_eq_u64_e64 s[6:7], 0, v[30:31]
	v_cmp_ne_u64_e64 s[10:11], 0, v[30:31]
	s_movk_i32 s76, 0x270e
	v_mov_b32_e32 v43, 1
	s_mov_b64 s[46:47], 0x3c0
	s_movk_i32 s77, 0x108
	v_mov_b32_e32 v51, v49
	v_lshl_add_u64 v[56:57], v[40:41], 0, 64
	v_lshl_add_u64 v[58:59], v[6:7], 0, s[18:19]
	v_accvgpr_write_b32 a23, v1
	s_waitcnt lgkmcnt(0)
	v_and_b32_e32 v0, 1, v0
	v_cmp_eq_u32_e64 s[20:21], 1, v0
	v_accvgpr_write_b32 a30, v16
	v_lshl_add_u64 v[60:61], v[16:17], 0, s[44:45]
	v_cmp_gt_i32_e64 s[14:15], 1, v3
	v_cmp_le_i32_e64 s[16:17], v3, v10
	v_accvgpr_write_b32 a34, v3
	v_cmp_lt_i32_e64 s[18:19], v3, v10
	s_cselect_b64 s[48:49], -1, 0
	s_add_i32 s79, s74, -2
	v_accvgpr_write_b32 a36, v4
	v_ashrrev_i32_e32 v25, 31, v24
	s_xor_b64 s[50:51], s[20:21], -1
	v_mov_b64_e32 v[14:15], v[12:13]
	v_accvgpr_write_b32 a4, v42
	v_accvgpr_write_b32 a7, v53
	v_accvgpr_read_b32 v34, a24
	v_accvgpr_write_b32 a20, v33
	s_trap 2
	s_branch .LBB11_81
.LBB11_79:                              ;   in Loop: Header=BB11_81 Depth=1
	s_or_b64 exec, exec, s[22:23]
.LBB11_80:                              ;   in Loop: Header=BB11_81 Depth=1
	s_or_b64 exec, exec, s[24:25]
	v_accvgpr_read_b32 v0, a28
	v_accvgpr_read_b32 v1, a29
	;; [unrolled: 1-line block ×3, first 2 shown]
	v_lshl_add_u64 v[12:13], v[12:13], 0, v[0:1]
	v_accvgpr_read_b32 v28, a2
	v_cmp_ge_u64_e32 vcc, v[12:13], v[28:29]
	s_or_b64 s[40:41], vcc, s[40:41]
	s_andn2_b64 exec, exec, s[40:41]
	s_cbranch_execz .LBB11_993
.LBB11_81:                              ; =>This Loop Header: Depth=1
                                        ;     Child Loop BB11_98 Depth 2
                                        ;     Child Loop BB11_129 Depth 2
                                        ;     Child Loop BB11_172 Depth 2
                                        ;     Child Loop BB11_244 Depth 2
                                        ;     Child Loop BB11_249 Depth 2
                                        ;     Child Loop BB11_258 Depth 2
                                        ;     Child Loop BB11_263 Depth 2
                                        ;     Child Loop BB11_211 Depth 2
                                        ;     Child Loop BB11_216 Depth 2
                                        ;       Child Loop BB11_217 Depth 3
                                        ;     Child Loop BB11_227 Depth 2
                                        ;     Child Loop BB11_232 Depth 2
                                        ;       Child Loop BB11_233 Depth 3
                                        ;     Child Loop BB11_274 Depth 2
                                        ;     Child Loop BB11_346 Depth 2
	;; [unrolled: 1-line block ×26, first 2 shown]
                                        ;       Child Loop BB11_699 Depth 3
                                        ;     Child Loop BB11_708 Depth 2
                                        ;     Child Loop BB11_713 Depth 2
                                        ;       Child Loop BB11_714 Depth 3
                                        ;     Child Loop BB11_753 Depth 2
                                        ;     Child Loop BB11_772 Depth 2
	;; [unrolled: 1-line block ×17, first 2 shown]
	flat_load_dword v0, v[52:53]
	v_sub_co_u32_e32 v6, vcc, v28, v12
	v_accvgpr_read_b32 v2, a32
	s_nop 0
	v_subb_co_u32_e32 v4, vcc, v29, v13, vcc
	v_cvt_f64_u32_e32 v[4:5], v4
	v_accvgpr_read_b32 v3, a33
	v_cvt_f64_u32_e32 v[6:7], v6
	v_ldexp_f64 v[4:5], v[4:5], 32
	v_max_f64 v[2:3], v[2:3], v[2:3]
	v_add_f64 v[4:5], v[4:5], v[6:7]
	v_min_f64 v[2:3], v[2:3], v[4:5]
	v_cvt_i32_f64_e32 v2, v[2:3]
	v_max_i32_e32 v23, 0, v2
	v_cmp_gt_i32_e64 s[22:23], 1, v2
	v_cmp_lt_i32_e64 s[24:25], 0, v2
	v_add_u32_e32 v2, 15, v23
	v_ashrrev_i32_e32 v3, 31, v2
	v_accvgpr_read_b32 v8, a8
	v_lshrrev_b32_e32 v3, 28, v3
	v_accvgpr_write_b32 a2, v28
	v_accvgpr_read_b32 v9, a9
	v_add_u32_e32 v2, v2, v3
	v_accvgpr_write_b32 a3, v29
	v_lshl_add_u64 v[28:29], v[12:13], 0, v[8:9]
	v_and_b32_e32 v2, -16, v2
	v_accvgpr_read_b32 v19, a13
	v_max_i32_e32 v10, s78, v2
	v_accvgpr_read_b32 v18, a12
	v_accvgpr_read_b32 v17, a11
	;; [unrolled: 1-line block ×3, first 2 shown]
	v_accvgpr_write_b32 a39, v29
	s_mov_b64 s[30:31], 0
	v_lshl_add_u64 v[8:9], v[18:19], 0, v[28:29]
	v_accvgpr_write_b32 a38, v28
	s_mov_b64 s[28:29], 0
	s_waitcnt vmcnt(0) lgkmcnt(0)
	v_ashrrev_i32_e32 v4, 31, v0
	v_mul_lo_u32 v5, v21, v0
	v_mad_u64_u32 v[2:3], s[26:27], v20, v0, v[28:29]
	v_mul_lo_u32 v0, v20, v4
	v_add3_u32 v3, v5, v3, v0
	v_lshl_add_u64 v[4:5], v[16:17], 0, v[2:3]
	v_cmp_ne_u64_e32 vcc, v[8:9], v[4:5]
	s_mov_b64 s[26:27], exec
	s_and_b64 vcc, s[26:27], vcc
	v_accvgpr_read_b32 v29, a19
	s_xor_b64 s[52:53], vcc, s[26:27]
	v_accvgpr_read_b32 v28, a18
	v_accvgpr_write_b32 a35, v23
	s_mov_b64 exec, vcc
	s_cbranch_execz .LBB11_88
; %bb.82:                               ;   in Loop: Header=BB11_81 Depth=1
	v_mov_b32_e32 v0, 0
	v_mov_b32_e32 v16, v10
	s_and_saveexec_b64 s[54:55], s[24:25]
	s_cbranch_execz .LBB11_385
; %bb.83:                               ;   in Loop: Header=BB11_81 Depth=1
	s_and_saveexec_b64 s[26:27], s[0:1]
	s_cbranch_execz .LBB11_85
; %bb.84:                               ;   in Loop: Header=BB11_81 Depth=1
	s_trap 2
	ds_read2_b64 v[4:7], v0 offset1:1
	ds_read_b64 v[8:9], v0
	v_accvgpr_read_b32 v0, a38
	v_accvgpr_read_b32 v1, a39
	s_waitcnt lgkmcnt(1)
	v_lshl_add_u64 v[6:7], v[6:7], 0, v[2:3]
	s_waitcnt lgkmcnt(0)
	v_lshl_add_u64 v[2:3], v[8:9], 0, v[2:3]
	v_cmp_ne_u64_e32 vcc, 0, v[8:9]
	v_lshl_add_u64 v[4:5], v[4:5], 0, v[0:1]
	ds_write_b64 v0, v[4:5]
	ds_write_b64 v0, v[6:7]
	v_cndmask_b32_e32 v3, 0, v3, vcc
	v_cndmask_b32_e32 v2, 0, v2, vcc
	ds_write_b64 v0, v[2:3]
.LBB11_85:                              ;   in Loop: Header=BB11_81 Depth=1
	s_or_b64 exec, exec, s[26:27]
	v_and_b32_e32 v0, 8, v62
	v_cmp_ne_u32_e32 vcc, 0, v0
	s_mov_b64 s[28:29], -1
	s_and_saveexec_b64 s[26:27], vcc
	s_cbranch_execz .LBB11_111
; %bb.86:                               ;   in Loop: Header=BB11_81 Depth=1
	v_lshl_add_u64 v[4:5], v[36:37], 0, 8
	v_lshl_add_u64 v[2:3], v[38:39], 0, 4
	v_cmp_lt_u64_e32 vcc, v[4:5], v[2:3]
	v_mov_b32_e32 v0, 1
	s_and_saveexec_b64 s[28:29], vcc
	s_cbranch_execz .LBB11_110
; %bb.87:                               ;   in Loop: Header=BB11_81 Depth=1
	v_mov_b32_e32 v0, 0
                                        ; implicit-def: $sgpr56_sgpr57
	s_branch .LBB11_98
.LBB11_88:                              ;   in Loop: Header=BB11_81 Depth=1
	s_andn2_saveexec_b64 s[52:53], s[52:53]
	s_cbranch_execz .LBB11_523
.LBB11_89:                              ;   in Loop: Header=BB11_81 Depth=1
	v_mov_b32_e32 v0, 0
	v_mov_b32_e32 v2, v10
	s_and_saveexec_b64 s[54:55], s[24:25]
	s_cbranch_execz .LBB11_431
; %bb.90:                               ;   in Loop: Header=BB11_81 Depth=1
	s_and_saveexec_b64 s[26:27], s[0:1]
	s_cbranch_execz .LBB11_92
; %bb.91:                               ;   in Loop: Header=BB11_81 Depth=1
	s_trap 2
	ds_read_b64 v[2:3], v0
	v_accvgpr_read_b32 v0, a38
	v_accvgpr_read_b32 v1, a39
	v_mov_b32_e32 v48, v49
	s_waitcnt lgkmcnt(0)
	v_lshl_add_u64 v[2:3], v[2:3], 0, v[0:1]
	ds_write_b64 v0, v[2:3]
	ds_write_b64 v0, v[48:49]
.LBB11_92:                              ;   in Loop: Header=BB11_81 Depth=1
	s_or_b64 exec, exec, s[26:27]
	v_and_b32_e32 v0, 8, v62
	v_cmp_ne_u32_e32 vcc, 0, v0
	s_mov_b64 s[56:57], -1
	v_lshl_add_u64 v[4:5], v[38:39], 0, 4
	s_and_saveexec_b64 s[26:27], vcc
	s_cbranch_execz .LBB11_135
; %bb.93:                               ;   in Loop: Header=BB11_81 Depth=1
	v_lshl_add_u64 v[6:7], v[36:37], 0, 8
	v_lshl_add_u64 v[2:3], v[38:39], 0, 4
	v_cmp_lt_u64_e32 vcc, v[6:7], v[2:3]
	v_mov_b32_e32 v0, 1
	s_and_saveexec_b64 s[56:57], vcc
	s_cbranch_execz .LBB11_134
; %bb.94:                               ;   in Loop: Header=BB11_81 Depth=1
	s_mov_b64 s[58:59], 0
	v_mov_b32_e32 v0, 0
                                        ; implicit-def: $sgpr60_sgpr61
	s_branch .LBB11_105
.LBB11_95:                              ;   in Loop: Header=BB11_98 Depth=2
	s_or_b64 exec, exec, s[64:65]
	v_mov_b32_e32 v4, 0
	s_orn2_b64 s[62:63], s[62:63], exec
.LBB11_96:                              ;   in Loop: Header=BB11_98 Depth=2
	s_or_b64 exec, exec, s[60:61]
	s_andn2_b64 vcc, s[56:57], exec
	s_and_b64 s[56:57], s[62:63], exec
	s_or_b64 s[56:57], vcc, s[56:57]
	v_mov_b32_e32 v0, v4
.LBB11_97:                              ;   in Loop: Header=BB11_98 Depth=2
	s_or_b64 exec, exec, s[58:59]
	s_waitcnt vmcnt(0) lgkmcnt(0)
	v_lshl_add_u64 v[4:5], v[36:37], 0, 8
	v_cmp_ge_u64_e32 vcc, v[4:5], v[2:3]
	s_xor_b64 s[58:59], s[56:57], -1
	s_or_b64 vcc, s[58:59], vcc
	s_and_b64 vcc, exec, vcc
	s_or_b64 s[30:31], vcc, s[30:31]
	s_andn2_b64 exec, exec, s[30:31]
	s_cbranch_execz .LBB11_109
.LBB11_98:                              ;   Parent Loop BB11_81 Depth=1
                                        ; =>  This Inner Loop Header: Depth=2
	s_sleep 1
	flat_load_dwordx2 v[36:37], v[26:27] sc0 sc1
	v_and_b32_e32 v4, 64, v62
	v_cmp_eq_u32_e32 vcc, 0, v4
	s_andn2_b64 s[56:57], s[56:57], exec
	s_and_saveexec_b64 s[58:59], vcc
	s_cbranch_execz .LBB11_97
; %bb.99:                               ;   in Loop: Header=BB11_98 Depth=2
	v_add_u32_e32 v4, 1, v0
	v_cmp_lt_i32_e32 vcc, s76, v0
	s_mov_b64 s[62:63], -1
	s_and_saveexec_b64 s[60:61], vcc
	s_cbranch_execz .LBB11_96
; %bb.100:                              ;   in Loop: Header=BB11_98 Depth=2
	s_trap 2
	ds_read_b64 v[4:5], v0
	s_waitcnt vmcnt(0) lgkmcnt(0)
	flat_load_dword v0, v[4:5] sc0 sc1
	s_waitcnt vmcnt(0) lgkmcnt(0)
	buffer_inv sc0 sc1
	v_cmp_ne_u32_e32 vcc, 0, v0
	s_and_saveexec_b64 s[64:65], vcc
	s_cbranch_execz .LBB11_95
; %bb.101:                              ;   in Loop: Header=BB11_98 Depth=2
	v_or_b32_e32 v62, 64, v62
	s_xor_b64 s[62:63], exec, -1
	ds_write_b32 v0, v0
	s_trap 2
	s_branch .LBB11_95
.LBB11_102:                             ;   in Loop: Header=BB11_105 Depth=2
	s_or_b64 exec, exec, s[68:69]
	v_mov_b32_e32 v6, 0
	s_orn2_b64 s[66:67], s[66:67], exec
.LBB11_103:                             ;   in Loop: Header=BB11_105 Depth=2
	s_or_b64 exec, exec, s[64:65]
	s_andn2_b64 vcc, s[60:61], exec
	s_and_b64 s[60:61], s[66:67], exec
	s_or_b64 s[60:61], vcc, s[60:61]
	v_mov_b32_e32 v0, v6
.LBB11_104:                             ;   in Loop: Header=BB11_105 Depth=2
	s_or_b64 exec, exec, s[62:63]
	s_waitcnt vmcnt(0) lgkmcnt(0)
	v_lshl_add_u64 v[6:7], v[36:37], 0, 8
	v_cmp_ge_u64_e32 vcc, v[6:7], v[2:3]
	s_xor_b64 s[62:63], s[60:61], -1
	s_or_b64 vcc, s[62:63], vcc
	s_and_b64 vcc, exec, vcc
	s_or_b64 s[58:59], vcc, s[58:59]
	s_andn2_b64 exec, exec, s[58:59]
	s_cbranch_execz .LBB11_133
.LBB11_105:                             ;   Parent Loop BB11_81 Depth=1
                                        ; =>  This Inner Loop Header: Depth=2
	s_sleep 1
	flat_load_dwordx2 v[36:37], v[26:27] sc0 sc1
	v_and_b32_e32 v6, 64, v62
	v_cmp_eq_u32_e32 vcc, 0, v6
	s_andn2_b64 s[60:61], s[60:61], exec
	s_and_saveexec_b64 s[62:63], vcc
	s_cbranch_execz .LBB11_104
; %bb.106:                              ;   in Loop: Header=BB11_105 Depth=2
	v_add_u32_e32 v6, 1, v0
	v_cmp_lt_i32_e32 vcc, s76, v0
	s_mov_b64 s[66:67], -1
	s_and_saveexec_b64 s[64:65], vcc
	s_cbranch_execz .LBB11_103
; %bb.107:                              ;   in Loop: Header=BB11_105 Depth=2
	s_trap 2
	ds_read_b64 v[6:7], v0
	s_waitcnt vmcnt(0) lgkmcnt(0)
	flat_load_dword v0, v[6:7] sc0 sc1
	s_waitcnt vmcnt(0) lgkmcnt(0)
	buffer_inv sc0 sc1
	v_cmp_ne_u32_e32 vcc, 0, v0
	s_and_saveexec_b64 s[68:69], vcc
	s_cbranch_execz .LBB11_102
; %bb.108:                              ;   in Loop: Header=BB11_105 Depth=2
	v_or_b32_e32 v62, 64, v62
	s_xor_b64 s[66:67], exec, -1
	ds_write_b32 v0, v0
	s_trap 2
	s_branch .LBB11_102
.LBB11_109:                             ;   in Loop: Header=BB11_81 Depth=1
	s_or_b64 exec, exec, s[30:31]
	v_and_b32_e32 v0, 8, v62
.LBB11_110:                             ;   in Loop: Header=BB11_81 Depth=1
	s_or_b64 exec, exec, s[28:29]
	v_cmp_eq_u32_e32 vcc, 0, v0
	s_orn2_b64 s[28:29], vcc, exec
	;;#ASMSTART
	s_wakeup
	;;#ASMEND
.LBB11_111:                             ;   in Loop: Header=BB11_81 Depth=1
	s_or_b64 exec, exec, s[26:27]
	s_xor_b64 s[26:27], s[28:29], -1
	v_min_i32_e32 v16, v10, v23
	s_and_saveexec_b64 s[28:29], s[26:27]
	s_cbranch_execz .LBB11_121
; %bb.112:                              ;   in Loop: Header=BB11_81 Depth=1
	v_and_b32_e32 v0, 0x100, v62
	v_cmp_ne_u32_e32 vcc, 0, v0
	v_and_b32_e32 v0, 7, v38
	s_mov_b64 s[26:27], -1
                                        ; implicit-def: $vgpr2_vgpr3
	s_and_saveexec_b64 s[30:31], vcc
	s_cbranch_execz .LBB11_116
; %bb.113:                              ;   in Loop: Header=BB11_81 Depth=1
	v_mad_u64_u32 v[4:5], s[26:27], v0, 24, v[28:29]
	flat_load_dword v2, v[4:5]
	v_ashrrev_i32_e32 v17, 31, v16
	flat_store_dwordx2 v[4:5], v[16:17] offset:8
	s_waitcnt vmcnt(0) lgkmcnt(0)
	v_cmp_ne_u32_e32 vcc, 1, v2
	v_cmp_eq_u32_e64 s[26:27], 1, v2
                                        ; implicit-def: $vgpr2_vgpr3
	s_and_saveexec_b64 s[56:57], s[26:27]
	s_cbranch_execz .LBB11_115
; %bb.114:                              ;   in Loop: Header=BB11_81 Depth=1
	flat_load_dword v2, v[4:5] offset:4 sc0 sc1
	s_waitcnt vmcnt(0) lgkmcnt(0)
	v_ashrrev_i32_e32 v3, 31, v2
.LBB11_115:                             ;   in Loop: Header=BB11_81 Depth=1
	s_or_b64 exec, exec, s[56:57]
	s_orn2_b64 s[26:27], vcc, exec
.LBB11_116:                             ;   in Loop: Header=BB11_81 Depth=1
	s_or_b64 exec, exec, s[30:31]
	s_and_saveexec_b64 vcc, s[26:27]
; %bb.117:                              ;   in Loop: Header=BB11_81 Depth=1
	v_mad_i64_i32 v[2:3], s[26:27], v0, v32, 0
; %bb.118:                              ;   in Loop: Header=BB11_81 Depth=1
	s_or_b64 exec, exec, vcc
	v_lshl_add_u64 v[2:3], v[34:35], 0, v[2:3]
	ds_write_b64 v0, v[2:3] offset:792
	v_and_b32_e32 v0, 0x2000, v62
	v_cmp_ne_u32_e32 vcc, 0, v0
	s_and_saveexec_b64 s[26:27], vcc
	s_cbranch_execz .LBB11_120
; %bb.119:                              ;   in Loop: Header=BB11_81 Depth=1
	ds_read_b64 v[2:3], v0 offset:584
	s_waitcnt lgkmcnt(0)
	v_lshl_add_u64 v[2:3], v[2:3], 0, 1
	ds_write_b64 v0, v[2:3] offset:584
.LBB11_120:                             ;   in Loop: Header=BB11_81 Depth=1
	s_or_b64 exec, exec, s[26:27]
	v_lshl_add_u64 v[38:39], v[38:39], 0, 4
.LBB11_121:                             ;   in Loop: Header=BB11_81 Depth=1
	s_or_b64 exec, exec, s[28:29]
	s_and_saveexec_b64 s[26:27], s[4:5]
	s_cbranch_execz .LBB11_164
; %bb.122:                              ;   in Loop: Header=BB11_81 Depth=1
	s_and_saveexec_b64 s[28:29], s[42:43]
	s_xor_b64 s[28:29], exec, s[28:29]
	s_cbranch_execz .LBB11_161
; %bb.123:                              ;   in Loop: Header=BB11_81 Depth=1
	s_and_saveexec_b64 s[30:31], s[12:13]
	s_cbranch_execz .LBB11_160
; %bb.124:                              ;   in Loop: Header=BB11_81 Depth=1
	s_mov_b64 s[58:59], exec
	v_mbcnt_lo_u32_b32 v0, s58, 0
	v_mbcnt_hi_u32_b32 v0, s59, v0
	v_cmp_eq_u32_e32 vcc, 0, v0
	s_waitcnt lgkmcnt(0)
	s_and_saveexec_b64 s[56:57], vcc
	s_cbranch_execz .LBB11_126
; %bb.125:                              ;   in Loop: Header=BB11_81 Depth=1
	s_bcnt1_i32_b64 vcc_lo, s[58:59]
	v_mov_b32_e32 v48, vcc_lo
	ds_add_u64 v0, v[48:49]
	s_trap 2
.LBB11_126:                             ;   in Loop: Header=BB11_81 Depth=1
	s_or_b64 exec, exec, s[56:57]
	s_trap 2
	ds_read_b64 v[2:3], v0
	v_lshl_add_u64 v[14:15], v[14:15], 0, v[50:51]
	s_waitcnt lgkmcnt(0)
	v_cmp_lt_u64_e32 vcc, v[2:3], v[14:15]
	s_and_saveexec_b64 s[56:57], vcc
	s_cbranch_execz .LBB11_159
; %bb.127:                              ;   in Loop: Header=BB11_81 Depth=1
	s_mov_b32 s68, 0
	s_mov_b64 s[58:59], 0
                                        ; implicit-def: $sgpr60_sgpr61
                                        ; implicit-def: $sgpr62_sgpr63
	s_branch .LBB11_129
.LBB11_128:                             ;   in Loop: Header=BB11_129 Depth=2
	s_or_b64 exec, exec, s[66:67]
	s_and_b64 vcc, exec, vcc
	s_or_b64 s[58:59], vcc, s[58:59]
	s_andn2_b64 vcc, s[60:61], exec
	s_and_b64 s[60:61], s[62:63], exec
	s_or_b64 s[60:61], vcc, s[60:61]
	s_andn2_b64 exec, exec, s[58:59]
	s_cbranch_execz .LBB11_157
.LBB11_129:                             ;   Parent Loop BB11_81 Depth=1
                                        ; =>  This Inner Loop Header: Depth=2
	s_add_i32 s68, s68, 1
	s_cmpk_lg_i32 s68, 0x2710
	s_cselect_b64 s[64:65], -1, 0
	s_and_b64 vcc, exec, s[64:65]
                                        ; implicit-def: $sgpr66_sgpr67
	s_cbranch_vccnz .LBB11_131
; %bb.130:                              ;   in Loop: Header=BB11_129 Depth=2
	s_trap 2
	ds_read_b64 v[2:3], v0
	s_andn2_b64 s[64:65], s[64:65], exec
	s_mov_b32 s68, 0
	s_mov_b64 s[66:67], -1
	s_waitcnt lgkmcnt(0)
	flat_load_dword v0, v[2:3] sc0 sc1
	s_waitcnt vmcnt(0) lgkmcnt(0)
	buffer_inv sc0 sc1
	v_cmp_eq_u32_e32 vcc, 0, v0
	s_and_b64 vcc, vcc, exec
	s_or_b64 s[64:65], s[64:65], vcc
.LBB11_131:                             ;   in Loop: Header=BB11_129 Depth=2
	s_andn2_b64 s[62:63], s[62:63], exec
	s_and_b64 s[66:67], s[66:67], exec
	s_mov_b64 vcc, -1
	s_or_b64 s[62:63], s[62:63], s[66:67]
	s_and_saveexec_b64 s[66:67], s[64:65]
	s_cbranch_execz .LBB11_128
; %bb.132:                              ;   in Loop: Header=BB11_129 Depth=2
	s_sleep 1
	s_trap 2
	ds_read_b64 v[2:3], v0
	s_andn2_b64 s[62:63], s[62:63], exec
	s_waitcnt lgkmcnt(0)
	v_cmp_ge_u64_e32 vcc, v[2:3], v[14:15]
	s_orn2_b64 vcc, vcc, exec
	s_branch .LBB11_128
.LBB11_133:                             ;   in Loop: Header=BB11_81 Depth=1
	s_or_b64 exec, exec, s[58:59]
	v_and_b32_e32 v0, 8, v62
.LBB11_134:                             ;   in Loop: Header=BB11_81 Depth=1
	s_or_b64 exec, exec, s[56:57]
	v_cmp_eq_u32_e32 vcc, 0, v0
	s_orn2_b64 s[56:57], vcc, exec
	;;#ASMSTART
	s_wakeup
	;;#ASMEND
.LBB11_135:                             ;   in Loop: Header=BB11_81 Depth=1
	s_or_b64 exec, exec, s[26:27]
	s_xor_b64 s[26:27], s[56:57], -1
	v_min_i32_e32 v2, v10, v23
	s_and_saveexec_b64 s[56:57], s[26:27]
	s_cbranch_execz .LBB11_145
; %bb.136:                              ;   in Loop: Header=BB11_81 Depth=1
	v_and_b32_e32 v0, 0x100, v62
	v_cmp_ne_u32_e32 vcc, 0, v0
	v_and_b32_e32 v0, 7, v38
	s_mov_b64 s[26:27], -1
                                        ; implicit-def: $vgpr18_vgpr19
	s_and_saveexec_b64 s[58:59], vcc
	s_cbranch_execz .LBB11_140
; %bb.137:                              ;   in Loop: Header=BB11_81 Depth=1
	v_mad_u64_u32 v[22:23], s[26:27], v0, 24, v[28:29]
	flat_load_dword v6, v[22:23]
	v_ashrrev_i32_e32 v3, 31, v2
	flat_store_dwordx2 v[22:23], v[2:3] offset:8
                                        ; implicit-def: $vgpr18_vgpr19
	s_waitcnt vmcnt(0) lgkmcnt(0)
	v_cmp_ne_u32_e32 vcc, 1, v6
	v_cmp_eq_u32_e64 s[26:27], 1, v6
	s_and_saveexec_b64 s[60:61], s[26:27]
	s_cbranch_execz .LBB11_139
; %bb.138:                              ;   in Loop: Header=BB11_81 Depth=1
	flat_load_dword v18, v[22:23] offset:4 sc0 sc1
	s_waitcnt vmcnt(0) lgkmcnt(0)
	v_ashrrev_i32_e32 v19, 31, v18
.LBB11_139:                             ;   in Loop: Header=BB11_81 Depth=1
	s_or_b64 exec, exec, s[60:61]
	s_orn2_b64 s[26:27], vcc, exec
	v_accvgpr_read_b32 v23, a35
.LBB11_140:                             ;   in Loop: Header=BB11_81 Depth=1
	s_or_b64 exec, exec, s[58:59]
	s_and_saveexec_b64 vcc, s[26:27]
; %bb.141:                              ;   in Loop: Header=BB11_81 Depth=1
	v_mad_i64_i32 v[18:19], s[26:27], v0, v32, 0
; %bb.142:                              ;   in Loop: Header=BB11_81 Depth=1
	s_or_b64 exec, exec, vcc
	v_lshl_add_u64 v[6:7], v[34:35], 0, v[18:19]
	ds_write_b64 v0, v[6:7] offset:784
	v_and_b32_e32 v0, 0x2000, v62
	v_cmp_ne_u32_e32 vcc, 0, v0
	s_and_saveexec_b64 s[26:27], vcc
	s_cbranch_execz .LBB11_144
; %bb.143:                              ;   in Loop: Header=BB11_81 Depth=1
	ds_read_b64 v[6:7], v0 offset:584
	s_waitcnt lgkmcnt(0)
	v_lshl_add_u64 v[6:7], v[6:7], 0, 1
	ds_write_b64 v0, v[6:7] offset:584
.LBB11_144:                             ;   in Loop: Header=BB11_81 Depth=1
	s_or_b64 exec, exec, s[26:27]
	v_mov_b64_e32 v[38:39], v[4:5]
.LBB11_145:                             ;   in Loop: Header=BB11_81 Depth=1
	s_or_b64 exec, exec, s[56:57]
	s_and_saveexec_b64 s[26:27], s[4:5]
	s_cbranch_execz .LBB11_183
; %bb.146:                              ;   in Loop: Header=BB11_81 Depth=1
	s_and_saveexec_b64 vcc, s[42:43]
	s_xor_b64 s[56:57], exec, vcc
	s_cbranch_execz .LBB11_180
; %bb.147:                              ;   in Loop: Header=BB11_81 Depth=1
	s_and_saveexec_b64 s[58:59], s[12:13]
	s_cbranch_execz .LBB11_179
; %bb.148:                              ;   in Loop: Header=BB11_81 Depth=1
	s_mov_b64 s[62:63], exec
	v_mbcnt_lo_u32_b32 v0, s62, 0
	v_mbcnt_hi_u32_b32 v0, s63, v0
	v_cmp_eq_u32_e32 vcc, 0, v0
	s_waitcnt lgkmcnt(0)
	s_and_saveexec_b64 s[60:61], vcc
	s_cbranch_execz .LBB11_150
; %bb.149:                              ;   in Loop: Header=BB11_81 Depth=1
	s_bcnt1_i32_b64 vcc_lo, s[62:63]
	v_mov_b32_e32 v48, vcc_lo
	ds_add_u64 v0, v[48:49]
	s_trap 2
.LBB11_150:                             ;   in Loop: Header=BB11_81 Depth=1
	s_or_b64 exec, exec, s[60:61]
	s_trap 2
	ds_read_b64 v[4:5], v0
	v_lshl_add_u64 v[14:15], v[14:15], 0, v[50:51]
	s_waitcnt lgkmcnt(0)
	v_cmp_lt_u64_e32 vcc, v[4:5], v[14:15]
	s_and_saveexec_b64 s[60:61], vcc
	s_cbranch_execz .LBB11_178
; %bb.151:                              ;   in Loop: Header=BB11_81 Depth=1
	s_mov_b32 s72, 0
	s_mov_b64 s[62:63], 0
                                        ; implicit-def: $sgpr64_sgpr65
                                        ; implicit-def: $sgpr66_sgpr67
	s_branch .LBB11_153
.LBB11_152:                             ;   in Loop: Header=BB11_153 Depth=2
	s_or_b64 exec, exec, s[70:71]
	s_and_b64 vcc, exec, vcc
	s_or_b64 s[62:63], vcc, s[62:63]
	s_andn2_b64 vcc, s[64:65], exec
	s_and_b64 s[64:65], s[66:67], exec
	s_or_b64 s[64:65], vcc, s[64:65]
	s_andn2_b64 exec, exec, s[62:63]
	s_cbranch_execz .LBB11_176
.LBB11_153:                             ;   Parent Loop BB11_81 Depth=1
                                        ; =>  This Inner Loop Header: Depth=2
	s_add_i32 s72, s72, 1
	s_cmpk_lg_i32 s72, 0x2710
	s_cselect_b64 s[68:69], -1, 0
	s_and_b64 vcc, exec, s[68:69]
                                        ; implicit-def: $sgpr70_sgpr71
	s_cbranch_vccnz .LBB11_155
; %bb.154:                              ;   in Loop: Header=BB11_153 Depth=2
	s_trap 2
	ds_read_b64 v[4:5], v0
	s_andn2_b64 s[68:69], s[68:69], exec
	s_mov_b32 s72, 0
	s_mov_b64 s[70:71], -1
	s_waitcnt vmcnt(0) lgkmcnt(0)
	flat_load_dword v0, v[4:5] sc0 sc1
	s_waitcnt vmcnt(0) lgkmcnt(0)
	buffer_inv sc0 sc1
	v_cmp_eq_u32_e32 vcc, 0, v0
	s_and_b64 vcc, vcc, exec
	s_or_b64 s[68:69], s[68:69], vcc
.LBB11_155:                             ;   in Loop: Header=BB11_153 Depth=2
	s_andn2_b64 s[66:67], s[66:67], exec
	s_and_b64 s[70:71], s[70:71], exec
	s_mov_b64 vcc, -1
	s_or_b64 s[66:67], s[66:67], s[70:71]
	s_and_saveexec_b64 s[70:71], s[68:69]
	s_cbranch_execz .LBB11_152
; %bb.156:                              ;   in Loop: Header=BB11_153 Depth=2
	s_sleep 1
	s_trap 2
	ds_read_b64 v[4:5], v0
	s_andn2_b64 s[66:67], s[66:67], exec
	s_waitcnt lgkmcnt(0)
	v_cmp_ge_u64_e32 vcc, v[4:5], v[14:15]
	s_orn2_b64 vcc, vcc, exec
	s_branch .LBB11_152
.LBB11_157:                             ;   in Loop: Header=BB11_81 Depth=1
	s_or_b64 exec, exec, s[58:59]
	s_and_saveexec_b64 vcc, s[60:61]
	s_xor_b64 vcc, exec, vcc
	s_cbranch_execz .LBB11_159
; %bb.158:                              ;   in Loop: Header=BB11_81 Depth=1
	ds_write_b32 v0, v43
	s_trap 2
.LBB11_159:                             ;   in Loop: Header=BB11_81 Depth=1
	s_or_b64 exec, exec, s[56:57]
	;;#ASMSTART
	s_wakeup
	;;#ASMEND
.LBB11_160:                             ;   in Loop: Header=BB11_81 Depth=1
	s_or_b64 exec, exec, s[30:31]
.LBB11_161:                             ;   in Loop: Header=BB11_81 Depth=1
	s_andn2_saveexec_b64 s[28:29], s[28:29]
	s_cbranch_execz .LBB11_163
; %bb.162:                              ;   in Loop: Header=BB11_81 Depth=1
	s_waitcnt lgkmcnt(0)
	s_barrier
.LBB11_163:                             ;   in Loop: Header=BB11_81 Depth=1
	s_or_b64 exec, exec, s[28:29]
.LBB11_164:                             ;   in Loop: Header=BB11_81 Depth=1
	s_or_b64 exec, exec, s[26:27]
	s_trap 2
	ds_read_b32 v0, v0
	v_and_b32_e32 v2, 0x4000, v62
	v_cmp_ne_u32_e32 vcc, 0, v2
	s_xor_b64 s[26:27], s[2:3], -1
	s_and_b64 s[28:29], s[26:27], vcc
	s_and_saveexec_b64 s[26:27], s[28:29]
	s_cbranch_execz .LBB11_202
; %bb.165:                              ;   in Loop: Header=BB11_81 Depth=1
	s_and_saveexec_b64 s[28:29], s[42:43]
	s_xor_b64 s[28:29], exec, s[28:29]
	s_cbranch_execz .LBB11_199
; %bb.166:                              ;   in Loop: Header=BB11_81 Depth=1
	s_and_saveexec_b64 s[30:31], s[12:13]
	s_cbranch_execz .LBB11_198
; %bb.167:                              ;   in Loop: Header=BB11_81 Depth=1
	s_mov_b64 s[58:59], exec
	v_mbcnt_lo_u32_b32 v2, s58, 0
	v_mbcnt_hi_u32_b32 v2, s59, v2
	v_cmp_eq_u32_e32 vcc, 0, v2
	s_waitcnt lgkmcnt(0)
	s_and_saveexec_b64 s[56:57], vcc
	s_cbranch_execz .LBB11_169
; %bb.168:                              ;   in Loop: Header=BB11_81 Depth=1
	s_bcnt1_i32_b64 vcc_lo, s[58:59]
	v_mov_b32_e32 v48, vcc_lo
	ds_add_u64 v0, v[48:49]
	s_trap 2
.LBB11_169:                             ;   in Loop: Header=BB11_81 Depth=1
	s_or_b64 exec, exec, s[56:57]
	s_trap 2
	ds_read_b64 v[2:3], v0
	v_lshl_add_u64 v[14:15], v[14:15], 0, v[50:51]
	s_waitcnt lgkmcnt(0)
	v_cmp_lt_u64_e32 vcc, v[2:3], v[14:15]
	s_and_saveexec_b64 s[56:57], vcc
	s_cbranch_execz .LBB11_197
; %bb.170:                              ;   in Loop: Header=BB11_81 Depth=1
	s_mov_b32 s68, 0
	s_mov_b64 s[58:59], 0
                                        ; implicit-def: $sgpr60_sgpr61
                                        ; implicit-def: $sgpr62_sgpr63
	s_branch .LBB11_172
.LBB11_171:                             ;   in Loop: Header=BB11_172 Depth=2
	s_or_b64 exec, exec, s[66:67]
	s_and_b64 vcc, exec, vcc
	s_or_b64 s[58:59], vcc, s[58:59]
	s_andn2_b64 vcc, s[60:61], exec
	s_and_b64 s[60:61], s[62:63], exec
	s_or_b64 s[60:61], vcc, s[60:61]
	s_andn2_b64 exec, exec, s[58:59]
	s_cbranch_execz .LBB11_195
.LBB11_172:                             ;   Parent Loop BB11_81 Depth=1
                                        ; =>  This Inner Loop Header: Depth=2
	s_add_i32 s68, s68, 1
	s_cmpk_lg_i32 s68, 0x2710
	s_cselect_b64 s[64:65], -1, 0
	s_and_b64 vcc, exec, s[64:65]
                                        ; implicit-def: $sgpr66_sgpr67
	s_cbranch_vccnz .LBB11_174
; %bb.173:                              ;   in Loop: Header=BB11_172 Depth=2
	s_trap 2
	ds_read_b64 v[2:3], v0
	s_andn2_b64 s[64:65], s[64:65], exec
	s_mov_b32 s68, 0
	s_mov_b64 s[66:67], -1
	s_waitcnt lgkmcnt(0)
	flat_load_dword v2, v[2:3] sc0 sc1
	s_waitcnt vmcnt(0) lgkmcnt(0)
	buffer_inv sc0 sc1
	v_cmp_eq_u32_e32 vcc, 0, v2
	s_and_b64 vcc, vcc, exec
	s_or_b64 s[64:65], s[64:65], vcc
.LBB11_174:                             ;   in Loop: Header=BB11_172 Depth=2
	s_andn2_b64 s[62:63], s[62:63], exec
	s_and_b64 s[66:67], s[66:67], exec
	s_mov_b64 vcc, -1
	s_or_b64 s[62:63], s[62:63], s[66:67]
	s_and_saveexec_b64 s[66:67], s[64:65]
	s_cbranch_execz .LBB11_171
; %bb.175:                              ;   in Loop: Header=BB11_172 Depth=2
	s_sleep 1
	s_trap 2
	ds_read_b64 v[2:3], v0
	s_andn2_b64 s[62:63], s[62:63], exec
	s_waitcnt lgkmcnt(0)
	v_cmp_ge_u64_e32 vcc, v[2:3], v[14:15]
	s_orn2_b64 vcc, vcc, exec
	s_branch .LBB11_171
.LBB11_176:                             ;   in Loop: Header=BB11_81 Depth=1
	s_or_b64 exec, exec, s[62:63]
	s_and_saveexec_b64 vcc, s[64:65]
	s_xor_b64 vcc, exec, vcc
	s_cbranch_execz .LBB11_178
; %bb.177:                              ;   in Loop: Header=BB11_81 Depth=1
	ds_write_b32 v0, v43
	s_trap 2
.LBB11_178:                             ;   in Loop: Header=BB11_81 Depth=1
	s_or_b64 exec, exec, s[60:61]
	;;#ASMSTART
	s_wakeup
	;;#ASMEND
.LBB11_179:                             ;   in Loop: Header=BB11_81 Depth=1
	s_or_b64 exec, exec, s[58:59]
.LBB11_180:                             ;   in Loop: Header=BB11_81 Depth=1
	s_andn2_saveexec_b64 vcc, s[56:57]
	s_cbranch_execz .LBB11_182
; %bb.181:                              ;   in Loop: Header=BB11_81 Depth=1
	s_waitcnt lgkmcnt(0)
	s_barrier
.LBB11_182:                             ;   in Loop: Header=BB11_81 Depth=1
	s_or_b64 exec, exec, vcc
.LBB11_183:                             ;   in Loop: Header=BB11_81 Depth=1
	s_or_b64 exec, exec, s[26:27]
	s_trap 2
	ds_read_b32 v0, v0
	v_and_b32_e32 v3, 0x4000, v62
	v_cmp_ne_u32_e32 vcc, 0, v3
	s_xor_b64 s[26:27], s[2:3], -1
	s_and_b64 vcc, s[26:27], vcc
	s_and_saveexec_b64 s[26:27], vcc
	s_cbranch_execz .LBB11_285
; %bb.184:                              ;   in Loop: Header=BB11_81 Depth=1
	s_and_saveexec_b64 vcc, s[42:43]
	s_xor_b64 s[56:57], exec, vcc
	s_cbranch_execz .LBB11_282
; %bb.185:                              ;   in Loop: Header=BB11_81 Depth=1
	s_and_saveexec_b64 s[58:59], s[12:13]
	s_cbranch_execz .LBB11_281
; %bb.186:                              ;   in Loop: Header=BB11_81 Depth=1
	s_mov_b64 s[62:63], exec
	v_mbcnt_lo_u32_b32 v3, s62, 0
	v_mbcnt_hi_u32_b32 v3, s63, v3
	v_cmp_eq_u32_e32 vcc, 0, v3
	s_waitcnt lgkmcnt(0)
	s_and_saveexec_b64 s[60:61], vcc
	s_cbranch_execz .LBB11_188
; %bb.187:                              ;   in Loop: Header=BB11_81 Depth=1
	s_bcnt1_i32_b64 vcc_lo, s[62:63]
	v_mov_b32_e32 v48, vcc_lo
	ds_add_u64 v0, v[48:49]
	s_trap 2
.LBB11_188:                             ;   in Loop: Header=BB11_81 Depth=1
	s_or_b64 exec, exec, s[60:61]
	s_trap 2
	ds_read_b64 v[4:5], v0
	v_lshl_add_u64 v[14:15], v[14:15], 0, v[50:51]
	s_waitcnt lgkmcnt(0)
	v_cmp_lt_u64_e32 vcc, v[4:5], v[14:15]
	s_and_saveexec_b64 s[60:61], vcc
	s_cbranch_execz .LBB11_280
; %bb.189:                              ;   in Loop: Header=BB11_81 Depth=1
	s_mov_b32 s72, 0
	s_mov_b64 s[62:63], 0
                                        ; implicit-def: $sgpr64_sgpr65
                                        ; implicit-def: $sgpr66_sgpr67
	s_branch .LBB11_191
.LBB11_190:                             ;   in Loop: Header=BB11_191 Depth=2
	s_or_b64 exec, exec, s[70:71]
	s_and_b64 vcc, exec, vcc
	s_or_b64 s[62:63], vcc, s[62:63]
	s_andn2_b64 vcc, s[64:65], exec
	s_and_b64 s[64:65], s[66:67], exec
	s_or_b64 s[64:65], vcc, s[64:65]
	s_andn2_b64 exec, exec, s[62:63]
	s_cbranch_execz .LBB11_278
.LBB11_191:                             ;   Parent Loop BB11_81 Depth=1
                                        ; =>  This Inner Loop Header: Depth=2
	s_add_i32 s72, s72, 1
	s_cmpk_lg_i32 s72, 0x2710
	s_cselect_b64 s[68:69], -1, 0
	s_and_b64 vcc, exec, s[68:69]
                                        ; implicit-def: $sgpr70_sgpr71
	s_cbranch_vccnz .LBB11_193
; %bb.192:                              ;   in Loop: Header=BB11_191 Depth=2
	s_trap 2
	ds_read_b64 v[4:5], v0
	s_andn2_b64 s[68:69], s[68:69], exec
	s_mov_b32 s72, 0
	s_mov_b64 s[70:71], -1
	s_waitcnt vmcnt(0) lgkmcnt(0)
	flat_load_dword v3, v[4:5] sc0 sc1
	s_waitcnt vmcnt(0) lgkmcnt(0)
	buffer_inv sc0 sc1
	v_cmp_eq_u32_e32 vcc, 0, v3
	s_and_b64 vcc, vcc, exec
	s_or_b64 s[68:69], s[68:69], vcc
.LBB11_193:                             ;   in Loop: Header=BB11_191 Depth=2
	s_andn2_b64 s[66:67], s[66:67], exec
	s_and_b64 s[70:71], s[70:71], exec
	s_mov_b64 vcc, -1
	s_or_b64 s[66:67], s[66:67], s[70:71]
	s_and_saveexec_b64 s[70:71], s[68:69]
	s_cbranch_execz .LBB11_190
; %bb.194:                              ;   in Loop: Header=BB11_191 Depth=2
	s_sleep 1
	s_trap 2
	ds_read_b64 v[4:5], v0
	s_andn2_b64 s[66:67], s[66:67], exec
	s_waitcnt lgkmcnt(0)
	v_cmp_ge_u64_e32 vcc, v[4:5], v[14:15]
	s_orn2_b64 vcc, vcc, exec
	s_branch .LBB11_190
.LBB11_195:                             ;   in Loop: Header=BB11_81 Depth=1
	s_or_b64 exec, exec, s[58:59]
	s_and_saveexec_b64 vcc, s[60:61]
	s_xor_b64 vcc, exec, vcc
	s_cbranch_execz .LBB11_197
; %bb.196:                              ;   in Loop: Header=BB11_81 Depth=1
	ds_write_b32 v0, v43
	s_trap 2
.LBB11_197:                             ;   in Loop: Header=BB11_81 Depth=1
	s_or_b64 exec, exec, s[56:57]
	;;#ASMSTART
	s_wakeup
	;;#ASMEND
.LBB11_198:                             ;   in Loop: Header=BB11_81 Depth=1
	s_or_b64 exec, exec, s[30:31]
.LBB11_199:                             ;   in Loop: Header=BB11_81 Depth=1
	s_andn2_saveexec_b64 s[28:29], s[28:29]
	s_cbranch_execz .LBB11_201
; %bb.200:                              ;   in Loop: Header=BB11_81 Depth=1
	s_waitcnt lgkmcnt(0)
	s_barrier
.LBB11_201:                             ;   in Loop: Header=BB11_81 Depth=1
	s_or_b64 exec, exec, s[28:29]
.LBB11_202:                             ;   in Loop: Header=BB11_81 Depth=1
	s_or_b64 exec, exec, s[26:27]
	s_trap 2
	s_waitcnt lgkmcnt(0)
	ds_read_b64 v[2:3], v0
	s_waitcnt lgkmcnt(0)
	v_readfirstlane_b32 s26, v2
	v_readfirstlane_b32 s27, v3
	s_cmp_eq_u64 s[26:27], 0
	s_cselect_b64 s[26:27], -1, 0
	s_or_b64 s[28:29], s[26:27], s[26:27]
	s_mov_b64 s[26:27], 0
	s_and_b64 vcc, exec, s[28:29]
	s_cbranch_vccnz .LBB11_266
; %bb.203:                              ;   in Loop: Header=BB11_81 Depth=1
	s_trap 2
	ds_read_b64 v[2:3], v0
	v_cmp_eq_u32_e64 s[26:27], 0, v0
	s_waitcnt lgkmcnt(0)
	v_cmp_ne_u64_e32 vcc, 0, v[2:3]
	v_cndmask_b32_e64 v48, 0, v16, s[26:27]
	s_cbranch_vccz .LBB11_236
; %bb.204:                              ;   in Loop: Header=BB11_81 Depth=1
	s_mov_b64 s[28:29], -1
	s_and_saveexec_b64 s[26:27], s[14:15]
	s_cbranch_execz .LBB11_206
; %bb.205:                              ;   in Loop: Header=BB11_81 Depth=1
	ds_read_b32 v0, v0 offset:720
	s_waitcnt lgkmcnt(0)
	v_and_b32_e32 v0, 15, v0
	v_cmp_eq_u32_e32 vcc, 0, v0
	s_orn2_b64 s[28:29], vcc, exec
.LBB11_206:                             ;   in Loop: Header=BB11_81 Depth=1
	s_or_b64 exec, exec, s[26:27]
	s_and_saveexec_b64 s[26:27], s[16:17]
	s_cbranch_execz .LBB11_208
; %bb.207:                              ;   in Loop: Header=BB11_81 Depth=1
	ds_read_b32 v0, v0 offset:784
	s_waitcnt lgkmcnt(0)
	v_and_b32_e32 v0, 15, v0
	v_cmp_eq_u32_e32 vcc, 0, v0
	s_and_b64 vcc, s[28:29], vcc
	s_andn2_b64 s[28:29], s[28:29], exec
	s_and_b64 vcc, vcc, exec
	s_or_b64 s[28:29], s[28:29], vcc
.LBB11_208:                             ;   in Loop: Header=BB11_81 Depth=1
	s_or_b64 exec, exec, s[26:27]
	s_xor_b64 s[28:29], s[28:29], -1
	v_cndmask_b32_e64 v0, 0, 1, s[28:29]
	s_mov_b64 s[26:27], -1
	;;#ASMSTART
	;;#ASMEND
	v_mov_b32_e32 v54, 0
	v_cmp_ne_u32_e32 vcc, 0, v0
	v_mov_b32_e32 v55, v48
	v_mov_b32_e32 v45, v42
	v_accvgpr_read_b32 v2, a23
	s_cbranch_vccnz .LBB11_224
; %bb.209:                              ;   in Loop: Header=BB11_81 Depth=1
	v_ashrrev_i32_e32 v0, 31, v48
	v_lshrrev_b32_e32 v0, 21, v0
	v_add_u32_e32 v0, v48, v0
	v_ashrrev_i32_e32 v0, 11, v0
	v_accvgpr_read_b32 v1, a23
	v_sub_u32_e32 v6, v0, v1
	v_cmp_lt_i32_e32 vcc, 0, v6
	s_and_saveexec_b64 s[26:27], vcc
	s_cbranch_execz .LBB11_213
; %bb.210:                              ;   in Loop: Header=BB11_81 Depth=1
	v_mov_b32_e32 v22, v16
	s_trap 2
	ds_read_b64 v[2:3], v0
	ds_read_b128 v[16:19], v0
	v_accvgpr_read_b32 v8, a36
	v_accvgpr_read_b32 v9, a37
	s_mov_b64 s[28:29], 0
	s_waitcnt lgkmcnt(1)
	v_lshl_add_u64 v[2:3], v[2:3], 0, v[8:9]
	s_waitcnt lgkmcnt(0)
	v_lshl_add_u64 v[4:5], v[16:17], 0, v[8:9]
	v_lshl_add_u64 v[18:19], v[18:19], 0, v[8:9]
.LBB11_211:                             ;   Parent Loop BB11_81 Depth=1
                                        ; =>  This Inner Loop Header: Depth=2
	global_load_dwordx4 v[28:31], v[2:3], off nt
	global_load_dwordx4 v[32:35], v[2:3], off offset:1024 nt
	v_sub_u32_e32 v6, v6, v50
	v_cmp_gt_i32_e32 vcc, 1, v6
	v_lshl_add_u64 v[2:3], v[2:3], 0, v[46:47]
	s_or_b64 s[28:29], vcc, s[28:29]
	s_waitcnt vmcnt(1)
	global_store_dwordx4 v[4:5], v[28:31], off nt
	s_waitcnt vmcnt(1)
	global_store_dwordx4 v[4:5], v[32:35], off offset:1024 nt
	global_store_dwordx4 v[18:19], v[28:31], off nt
	global_store_dwordx4 v[18:19], v[32:35], off offset:1024 nt
	v_lshl_add_u64 v[4:5], v[4:5], 0, v[46:47]
	v_lshl_add_u64 v[18:19], v[18:19], 0, v[46:47]
	s_andn2_b64 exec, exec, s[28:29]
	s_cbranch_execnz .LBB11_211
; %bb.212:                              ;   in Loop: Header=BB11_81 Depth=1
	s_or_b64 exec, exec, s[28:29]
	v_accvgpr_read_b32 v29, a19
	v_accvgpr_read_b32 v35, a25
	;; [unrolled: 1-line block ×8, first 2 shown]
	v_mov_b32_e32 v16, v22
.LBB11_213:                             ;   in Loop: Header=BB11_81 Depth=1
	s_or_b64 exec, exec, s[26:27]
	v_lshlrev_b32_e32 v0, 11, v0
	v_cmp_ne_u32_e32 vcc, v48, v0
	s_mov_b64 s[26:27], 0
	v_mov_b32_e32 v54, 0
                                        ; implicit-def: $vgpr55
                                        ; implicit-def: $vgpr45
                                        ; implicit-def: $vgpr2
	s_and_saveexec_b64 s[56:57], vcc
	s_cbranch_execz .LBB11_223
; %bb.214:                              ;   in Loop: Header=BB11_81 Depth=1
	v_lshlrev_b32_e32 v2, 6, v6
	v_accvgpr_read_b32 v1, a34
	v_sub_u32_e32 v2, v1, v2
	v_ashrrev_i32_e32 v4, 31, v2
	v_lshrrev_b32_e32 v4, 26, v4
	v_add_u32_e32 v4, v2, v4
	v_sub_u32_e32 v3, v48, v0
	v_ashrrev_i32_e32 v5, 6, v4
	v_and_b32_e32 v4, 0xffffffc0, v4
	v_sub_u32_e32 v6, v2, v4
	v_ashrrev_i32_e32 v4, 31, v3
	v_lshrrev_b32_e32 v4, 22, v4
	v_add_u32_e32 v4, v3, v4
	v_and_b32_e32 v7, 0xfffffc00, v4
	v_mov_b32_e32 v44, v16
	v_lshlrev_b32_e32 v2, 4, v6
	v_sub_u32_e32 v16, v3, v7
	v_lshl_add_u32 v2, v5, 10, v2
	v_ashrrev_i32_e32 v8, 10, v4
	v_cmp_lt_i32_e64 s[26:27], 15, v16
	v_sub_u32_e32 v17, v3, v2
	s_nop 0
	v_addc_co_u32_e64 v3, vcc, 0, v8, s[26:27]
	v_sub_u32_e32 v8, v3, v5
	v_cmp_lt_i32_e32 vcc, 15, v17
	s_and_saveexec_b64 s[58:59], vcc
	s_cbranch_execz .LBB11_220
; %bb.215:                              ;   in Loop: Header=BB11_81 Depth=1
	s_trap 2
	ds_read_b64 v[4:5], v0
	ds_read_b128 v[28:31], v0
	v_add_u32_e32 v2, v2, v0
	v_ashrrev_i32_e32 v3, 31, v2
	s_mov_b64 s[60:61], 0
	s_waitcnt lgkmcnt(1)
	v_lshl_add_u64 v[22:23], v[4:5], 0, v[2:3]
	s_waitcnt lgkmcnt(0)
	v_lshl_add_u64 v[54:55], v[28:29], 0, v[2:3]
	v_lshl_add_u64 v[18:19], v[30:31], 0, v[2:3]
.LBB11_216:                             ;   Parent Loop BB11_81 Depth=1
                                        ; =>  This Loop Header: Depth=2
                                        ;       Child Loop BB11_217 Depth 3
	global_load_dwordx4 v[2:5], v[22:23], off nt
	s_mov_b64 s[64:65], -1
	s_mov_b64 s[62:63], 0
	s_waitcnt vmcnt(0)
.LBB11_217:                             ;   Parent Loop BB11_81 Depth=1
                                        ;     Parent Loop BB11_216 Depth=2
                                        ; =>    This Inner Loop Header: Depth=3
	s_cmp_eq_u32 s62, 0
	s_cselect_b64 s[28:29], -1, 0
	s_cmp_eq_u32 s62, 1
	s_cselect_b64 s[30:31], -1, 0
	v_cndmask_b32_e64 v9, 0, 1, s[64:65]
	v_cndmask_b32_e64 v29, v55, v19, s[30:31]
	;; [unrolled: 1-line block ×3, first 2 shown]
	v_cmp_ne_u32_e32 vcc, 1, v9
	global_store_dwordx4 v[28:29], v[2:5], off nt
	v_lshl_add_u64 v[28:29], v[28:29], 0, s[44:45]
	s_mov_b64 s[64:65], 0
	s_mov_b64 s[62:63], 1
	s_and_b64 vcc, exec, vcc
	v_cndmask_b32_e64 v19, v19, v29, s[30:31]
	v_cndmask_b32_e64 v18, v18, v28, s[30:31]
	v_cndmask_b32_e64 v55, v55, v29, s[28:29]
	v_cndmask_b32_e64 v54, v54, v28, s[28:29]
	s_cbranch_vccz .LBB11_217
; %bb.218:                              ;   in Loop: Header=BB11_216 Depth=2
	v_accvgpr_read_b32 v2, a30
	v_sub_u32_e32 v17, v17, v33
	v_accvgpr_read_b32 v3, a31
	v_cmp_gt_i32_e32 vcc, 16, v17
	v_lshl_add_u64 v[54:55], v[54:55], 0, v[2:3]
	v_lshl_add_u64 v[18:19], v[18:19], 0, v[2:3]
	;; [unrolled: 1-line block ×3, first 2 shown]
	s_or_b64 s[60:61], vcc, s[60:61]
	v_sub_u32_e32 v8, v8, v50
	s_andn2_b64 exec, exec, s[60:61]
	s_cbranch_execnz .LBB11_216
; %bb.219:                              ;   in Loop: Header=BB11_81 Depth=1
	s_or_b64 exec, exec, s[60:61]
	v_accvgpr_read_b32 v29, a19
	v_accvgpr_read_b32 v31, a27
	;; [unrolled: 1-line block ×5, first 2 shown]
.LBB11_220:                             ;   in Loop: Header=BB11_81 Depth=1
	s_or_b64 exec, exec, s[58:59]
	v_and_b32_e32 v3, 15, v48
	v_cndmask_b32_e64 v55, v16, v3, s[26:27]
	v_cmp_ne_u32_e32 vcc, 0, v55
	s_mov_b64 s[28:29], 0
	v_mov_b32_e32 v54, 0
                                        ; implicit-def: $vgpr45
                                        ; implicit-def: $vgpr2
	s_and_saveexec_b64 s[30:31], vcc
	s_cbranch_execz .LBB11_222
; %bb.221:                              ;   in Loop: Header=BB11_81 Depth=1
	v_sub_u32_e32 v2, v16, v3
	v_cndmask_b32_e64 v2, 0, v2, s[26:27]
	v_cmp_lt_i32_e32 vcc, 0, v8
	v_add3_u32 v54, v7, v0, v2
	s_mov_b64 s[28:29], exec
	v_cndmask_b32_e32 v0, 0, v50, vcc
	v_sub_u32_e32 v0, v0, v8
	v_lshl_add_u32 v45, v0, 6, v6
	v_ashrrev_i32_e32 v0, 31, v45
	v_lshrrev_b32_e32 v0, 26, v0
	v_add_u32_e32 v0, v45, v0
	v_ashrrev_i32_e32 v2, 6, v0
.LBB11_222:                             ;   in Loop: Header=BB11_81 Depth=1
	s_or_b64 exec, exec, s[30:31]
	s_and_b64 s[26:27], s[28:29], exec
	v_mov_b32_e32 v16, v44
.LBB11_223:                             ;   in Loop: Header=BB11_81 Depth=1
	s_or_b64 exec, exec, s[56:57]
.LBB11_224:                             ;   in Loop: Header=BB11_81 Depth=1
	s_and_saveexec_b64 s[30:31], s[26:27]
	s_cbranch_execz .LBB11_235
; %bb.225:                              ;   in Loop: Header=BB11_81 Depth=1
	v_ashrrev_i32_e32 v0, 31, v55
	v_lshrrev_b32_e32 v0, 22, v0
	v_add_u32_e32 v0, v55, v0
	v_ashrrev_i32_e32 v7, 10, v0
	v_sub_u32_e32 v0, v7, v2
	v_ashrrev_i32_e32 v3, 31, v45
	v_cmp_lt_i32_e32 vcc, 0, v0
	v_lshrrev_b32_e32 v6, 26, v3
	s_and_saveexec_b64 s[26:27], vcc
	s_cbranch_execz .LBB11_229
; %bb.226:                              ;   in Loop: Header=BB11_81 Depth=1
	v_mov_b32_e32 v44, v16
	s_trap 2
	v_add_u32_e32 v3, v45, v6
	ds_read_b64 v[8:9], v0
	ds_read_b128 v[16:19], v0
	v_and_b32_e32 v3, 0xffffffc0, v3
	v_sub_u32_e32 v3, v45, v3
	v_lshlrev_b32_e32 v2, 10, v2
	v_add3_u32 v22, v54, v3, v2
	v_ashrrev_i32_e32 v23, 31, v22
	s_waitcnt lgkmcnt(1)
	v_lshl_add_u64 v[8:9], v[8:9], 0, s[46:47]
	s_waitcnt lgkmcnt(0)
	v_lshl_add_u64 v[2:3], v[16:17], 0, v[22:23]
	v_lshl_add_u64 v[4:5], v[18:19], 0, v[22:23]
	;; [unrolled: 1-line block ×3, first 2 shown]
	s_mov_b64 s[28:29], 0
.LBB11_227:                             ;   Parent Loop BB11_81 Depth=1
                                        ; =>  This Inner Loop Header: Depth=2
	v_add_co_u32_e32 v18, vcc, 0xfffffc40, v22
	flat_load_ubyte v8, v[22:23] nt
	s_nop 0
	v_addc_co_u32_e32 v19, vcc, -1, v23, vcc
	v_add_co_u32_e32 v16, vcc, 0xfffffc80, v22
	flat_load_ubyte v9, v[18:19] nt
	s_nop 0
	v_addc_co_u32_e32 v17, vcc, -1, v23, vcc
	;; [unrolled: 4-line block ×15, first 2 shown]
	flat_load_ubyte v17, v[18:19] nt
	v_sub_u32_e32 v0, v0, v50
	v_cmp_gt_i32_e32 vcc, 1, v0
	s_or_b64 s[28:29], vcc, s[28:29]
	v_lshl_add_u64 v[22:23], v[22:23], 0, v[60:61]
	s_waitcnt vmcnt(0) lgkmcnt(0)
	flat_store_byte v[2:3], v8 offset:960 nt
	flat_store_byte v[2:3], v9 nt
	flat_store_byte v[2:3], v28 offset:64 nt
	flat_store_byte v[2:3], v29 offset:128 nt
	;; [unrolled: 1-line block ×14, first 2 shown]
	flat_store_byte v[4:5], v9 nt
	flat_store_byte v[4:5], v28 offset:64 nt
	flat_store_byte v[4:5], v29 offset:128 nt
	flat_store_byte v[4:5], v30 offset:192 nt
	flat_store_byte v[4:5], v31 offset:256 nt
	flat_store_byte v[4:5], v32 offset:320 nt
	flat_store_byte v[4:5], v33 offset:384 nt
	flat_store_byte v[4:5], v34 offset:448 nt
	flat_store_byte v[4:5], v35 offset:512 nt
	flat_store_byte v[4:5], v52 offset:576 nt
	flat_store_byte v[4:5], v53 offset:640 nt
	flat_store_byte v[4:5], v42 offset:704 nt
	flat_store_byte v[4:5], v43 offset:768 nt
	flat_store_byte v[4:5], v16 offset:832 nt
	flat_store_byte v[4:5], v17 offset:896 nt
	flat_store_byte v[4:5], v8 offset:960 nt
	v_lshl_add_u64 v[2:3], v[2:3], 0, v[60:61]
	v_lshl_add_u64 v[4:5], v[4:5], 0, v[60:61]
	s_andn2_b64 exec, exec, s[28:29]
	s_cbranch_execnz .LBB11_227
; %bb.228:                              ;   in Loop: Header=BB11_81 Depth=1
	s_or_b64 exec, exec, s[28:29]
	v_accvgpr_read_b32 v53, a7
	v_accvgpr_read_b32 v29, a19
	;; [unrolled: 1-line block ×10, first 2 shown]
	v_mov_b32_e32 v43, 1
	v_accvgpr_read_b32 v33, a20
	v_accvgpr_read_b32 v23, a35
	v_mov_b32_e32 v16, v44
.LBB11_229:                             ;   in Loop: Header=BB11_81 Depth=1
	s_or_b64 exec, exec, s[26:27]
	v_lshlrev_b32_e32 v2, 10, v7
	v_cmp_ne_u32_e32 vcc, v55, v2
	s_and_b64 exec, exec, vcc
	s_cbranch_execz .LBB11_235
; %bb.230:                              ;   in Loop: Header=BB11_81 Depth=1
	v_add_u32_e32 v3, v45, v6
	v_and_b32_e32 v3, 0xffffffc0, v3
	v_sub_u32_e32 v3, v45, v3
	v_lshlrev_b32_e32 v0, 6, v0
	v_sub_u32_e32 v0, v3, v0
	v_add_u32_e32 v2, v2, v0
	v_sub_u32_e32 v0, v55, v2
	v_cmp_lt_i32_e32 vcc, 0, v0
	s_and_b64 exec, exec, vcc
	s_cbranch_execz .LBB11_235
; %bb.231:                              ;   in Loop: Header=BB11_81 Depth=1
	s_trap 2
	ds_read_b64 v[8:9], v0
	ds_read_b128 v[4:7], v0
	v_mov_b32_e32 v22, v16
	v_add_u32_e32 v16, v2, v54
	v_ashrrev_i32_e32 v17, 31, v16
	s_waitcnt lgkmcnt(0)
	v_lshl_add_u64 v[2:3], v[8:9], 0, v[16:17]
	v_lshl_add_u64 v[4:5], v[4:5], 0, v[16:17]
	;; [unrolled: 1-line block ×3, first 2 shown]
	v_mov_b32_e32 v16, v22
	s_mov_b64 s[56:57], 0
.LBB11_232:                             ;   Parent Loop BB11_81 Depth=1
                                        ; =>  This Loop Header: Depth=2
                                        ;       Child Loop BB11_233 Depth 3
	flat_load_ubyte v6, v[2:3] nt
	s_mov_b64 s[58:59], -1
	s_mov_b64 s[60:61], 0
	s_waitcnt vmcnt(0)
.LBB11_233:                             ;   Parent Loop BB11_81 Depth=1
                                        ;     Parent Loop BB11_232 Depth=2
                                        ; =>    This Inner Loop Header: Depth=3
	s_cmp_eq_u32 s60, 1
	s_cselect_b64 vcc, -1, 0
	v_cndmask_b32_e32 v9, v5, v19, vcc
	s_cmp_eq_u32 s60, 0
	v_cndmask_b32_e32 v8, v4, v18, vcc
	s_waitcnt lgkmcnt(0)
	flat_store_byte v[8:9], v6 nt
	v_lshl_add_u64 v[8:9], v[8:9], 0, 64
	s_cselect_b64 s[26:27], -1, 0
	s_and_b64 s[28:29], exec, s[58:59]
	s_mov_b64 s[60:61], 1
	s_mov_b64 s[58:59], 0
	v_cndmask_b32_e32 v19, v19, v9, vcc
	v_cndmask_b32_e32 v18, v18, v8, vcc
	v_cndmask_b32_e64 v5, v5, v9, s[26:27]
	v_cndmask_b32_e64 v4, v4, v8, s[26:27]
	s_mov_b64 vcc, s[28:29]
	s_cbranch_vccnz .LBB11_233
; %bb.234:                              ;   in Loop: Header=BB11_232 Depth=2
	v_sub_u32_e32 v0, v0, v11
	v_cmp_gt_i32_e32 vcc, 1, v0
	v_lshl_add_u64 v[4:5], v[4:5], 0, v[40:41]
	v_lshl_add_u64 v[18:19], v[18:19], 0, v[40:41]
	s_or_b64 s[56:57], vcc, s[56:57]
	v_lshl_add_u64 v[2:3], v[56:57], 0, v[2:3]
	s_andn2_b64 exec, exec, s[56:57]
	s_cbranch_execnz .LBB11_232
.LBB11_235:                             ;   in Loop: Header=BB11_81 Depth=1
	s_or_b64 exec, exec, s[30:31]
	s_branch .LBB11_265
.LBB11_236:                             ;   in Loop: Header=BB11_81 Depth=1
	s_cbranch_execz .LBB11_265
; %bb.237:                              ;   in Loop: Header=BB11_81 Depth=1
	s_mov_b64 s[26:27], -1
	s_and_saveexec_b64 s[28:29], s[14:15]
	s_cbranch_execz .LBB11_239
; %bb.238:                              ;   in Loop: Header=BB11_81 Depth=1
	ds_read_b32 v0, v0 offset:720
	s_waitcnt lgkmcnt(0)
	v_and_b32_e32 v0, 15, v0
	v_cmp_eq_u32_e32 vcc, 0, v0
	s_orn2_b64 s[26:27], vcc, exec
.LBB11_239:                             ;   in Loop: Header=BB11_81 Depth=1
	s_or_b64 exec, exec, s[28:29]
	s_and_saveexec_b64 s[28:29], s[14:15]
	s_cbranch_execz .LBB11_241
; %bb.240:                              ;   in Loop: Header=BB11_81 Depth=1
	ds_read_b32 v0, v0 offset:784
	s_waitcnt lgkmcnt(0)
	v_and_b32_e32 v0, 15, v0
	v_cmp_eq_u32_e32 vcc, 0, v0
	s_and_b64 vcc, s[26:27], vcc
	s_andn2_b64 s[26:27], s[26:27], exec
	s_and_b64 vcc, vcc, exec
	s_or_b64 s[26:27], s[26:27], vcc
.LBB11_241:                             ;   in Loop: Header=BB11_81 Depth=1
	s_or_b64 exec, exec, s[28:29]
	s_xor_b64 s[26:27], s[26:27], -1
	v_cndmask_b32_e64 v0, 0, 1, s[26:27]
	;;#ASMSTART
	;;#ASMEND
	s_mov_b64 s[30:31], -1
	v_cmp_ne_u32_e32 vcc, 0, v0
	v_mov_b32_e32 v0, 0
	v_mov_b32_e32 v6, v48
	;; [unrolled: 1-line block ×3, first 2 shown]
	v_accvgpr_read_b32 v4, a23
	s_cbranch_vccnz .LBB11_255
; %bb.242:                              ;   in Loop: Header=BB11_81 Depth=1
	v_ashrrev_i32_e32 v0, 31, v48
	v_lshrrev_b32_e32 v0, 20, v0
	v_add_u32_e32 v0, v48, v0
	v_ashrrev_i32_e32 v0, 12, v0
	v_accvgpr_read_b32 v1, a23
	v_mov_b32_e32 v22, v16
	v_sub_u32_e32 v16, v0, v1
	v_cmp_lt_i32_e32 vcc, 0, v16
	s_and_saveexec_b64 s[26:27], vcc
	s_cbranch_execz .LBB11_246
; %bb.243:                              ;   in Loop: Header=BB11_81 Depth=1
	s_trap 2
	ds_read_b64 v[2:3], v0
	s_mov_b64 s[28:29], 0
	s_waitcnt lgkmcnt(0)
	v_mov_b64_e32 v[4:5], v[2:3]
.LBB11_244:                             ;   Parent Loop BB11_81 Depth=1
                                        ; =>  This Inner Loop Header: Depth=2
	v_lshl_add_u64 v[18:19], v[24:25], 0, v[4:5]
	global_load_dwordx4 v[6:9], v[18:19], off nt
	global_load_dwordx4 v[28:31], v[18:19], off offset:1024 nt
	global_load_dwordx4 v[32:35], v[18:19], off offset:2048 nt
	;; [unrolled: 1-line block ×3, first 2 shown]
	v_sub_u32_e32 v16, v16, v50
	v_cmp_gt_i32_e32 vcc, 1, v16
	v_lshl_add_u64 v[18:19], v[24:25], 0, v[2:3]
	v_lshl_add_u64 v[4:5], v[4:5], 0, v[58:59]
	v_lshl_add_u64 v[2:3], v[2:3], 0, v[58:59]
	s_or_b64 s[28:29], vcc, s[28:29]
	s_waitcnt vmcnt(0)
	global_store_dwordx4 v[18:19], v[6:9], off nt
	global_store_dwordx4 v[18:19], v[28:31], off offset:1024 nt
	global_store_dwordx4 v[18:19], v[32:35], off offset:2048 nt
	;; [unrolled: 1-line block ×3, first 2 shown]
	s_andn2_b64 exec, exec, s[28:29]
	s_cbranch_execnz .LBB11_244
; %bb.245:                              ;   in Loop: Header=BB11_81 Depth=1
	s_or_b64 exec, exec, s[28:29]
	v_accvgpr_read_b32 v29, a19
	v_accvgpr_read_b32 v35, a25
	;; [unrolled: 1-line block ×8, first 2 shown]
	v_mov_b32_e32 v43, 1
	v_accvgpr_read_b32 v33, a20
.LBB11_246:                             ;   in Loop: Header=BB11_81 Depth=1
	s_or_b64 exec, exec, s[26:27]
	v_lshlrev_b32_e32 v8, 12, v0
	v_cmp_ne_u32_e32 vcc, v48, v8
	s_mov_b64 s[30:31], 0
	v_mov_b32_e32 v0, 0
                                        ; implicit-def: $vgpr6
                                        ; implicit-def: $vgpr7
                                        ; implicit-def: $vgpr4
	s_and_saveexec_b64 s[28:29], vcc
	s_cbranch_execz .LBB11_254
; %bb.247:                              ;   in Loop: Header=BB11_81 Depth=1
	v_lshlrev_b32_e32 v0, 6, v16
	v_accvgpr_read_b32 v1, a34
	v_sub_u32_e32 v0, v1, v0
	v_ashrrev_i32_e32 v3, 31, v0
	v_lshrrev_b32_e32 v3, 26, v3
	v_add_u32_e32 v3, v0, v3
	v_sub_u32_e32 v2, v48, v8
	v_ashrrev_i32_e32 v5, 6, v3
	v_and_b32_e32 v3, 0xffffffc0, v3
	v_sub_u32_e32 v16, v0, v3
	v_ashrrev_i32_e32 v3, 31, v2
	v_lshrrev_b32_e32 v3, 22, v3
	v_add_u32_e32 v3, v2, v3
	v_and_b32_e32 v17, 0xfffffc00, v3
	v_lshlrev_b32_e32 v0, 4, v16
	v_sub_u32_e32 v19, v2, v17
	v_lshl_add_u32 v4, v5, 10, v0
	v_ashrrev_i32_e32 v6, 10, v3
	v_cmp_lt_i32_e32 vcc, 15, v19
	v_sub_u32_e32 v0, v2, v4
	s_nop 0
	v_addc_co_u32_e64 v2, s[26:27], 0, v6, vcc
	v_sub_u32_e32 v18, v2, v5
	v_cmp_lt_i32_e64 s[26:27], 15, v0
	s_and_saveexec_b64 s[30:31], s[26:27]
	s_cbranch_execz .LBB11_251
; %bb.248:                              ;   in Loop: Header=BB11_81 Depth=1
	s_trap 2
	ds_read_b64 v[2:3], v0
	v_add_u32_e32 v4, v4, v8
	v_ashrrev_i32_e32 v5, 31, v4
	s_mov_b64 s[56:57], 0
.LBB11_249:                             ;   Parent Loop BB11_81 Depth=1
                                        ; =>  This Inner Loop Header: Depth=2
	s_waitcnt lgkmcnt(0)
	v_lshl_add_u64 v[6:7], v[2:3], 0, v[4:5]
	global_load_dwordx4 v[28:31], v[6:7], off nt
	v_sub_u32_e32 v0, v0, v33
	v_cmp_gt_i32_e64 s[26:27], 16, v0
	v_sub_u32_e32 v18, v18, v50
	v_lshl_add_u64 v[4:5], v[4:5], 0, v[60:61]
	s_or_b64 s[56:57], s[26:27], s[56:57]
	s_waitcnt vmcnt(0)
	global_store_dwordx4 v[6:7], v[28:31], off nt
	s_andn2_b64 exec, exec, s[56:57]
	s_cbranch_execnz .LBB11_249
; %bb.250:                              ;   in Loop: Header=BB11_81 Depth=1
	s_or_b64 exec, exec, s[56:57]
	v_accvgpr_read_b32 v29, a19
	v_accvgpr_read_b32 v31, a27
	;; [unrolled: 1-line block ×4, first 2 shown]
.LBB11_251:                             ;   in Loop: Header=BB11_81 Depth=1
	s_or_b64 exec, exec, s[30:31]
	v_and_b32_e32 v2, 15, v48
	v_cndmask_b32_e32 v6, v19, v2, vcc
	v_cmp_ne_u32_e64 s[26:27], 0, v6
	s_mov_b64 s[30:31], 0
	v_mov_b32_e32 v0, 0
                                        ; implicit-def: $vgpr7
                                        ; implicit-def: $vgpr4
	s_and_saveexec_b64 s[56:57], s[26:27]
	s_cbranch_execz .LBB11_253
; %bb.252:                              ;   in Loop: Header=BB11_81 Depth=1
	v_sub_u32_e32 v0, v19, v2
	v_cndmask_b32_e32 v0, 0, v0, vcc
	v_cmp_lt_i32_e32 vcc, 0, v18
	s_mov_b64 s[30:31], exec
	v_add3_u32 v0, v17, v8, v0
	v_cndmask_b32_e32 v2, 0, v50, vcc
	v_sub_u32_e32 v2, v2, v18
	v_lshl_add_u32 v7, v2, 6, v16
	v_ashrrev_i32_e32 v2, 31, v7
	v_lshrrev_b32_e32 v2, 26, v2
	v_add_u32_e32 v2, v7, v2
	v_ashrrev_i32_e32 v4, 6, v2
.LBB11_253:                             ;   in Loop: Header=BB11_81 Depth=1
	s_or_b64 exec, exec, s[56:57]
	s_and_b64 s[30:31], s[30:31], exec
.LBB11_254:                             ;   in Loop: Header=BB11_81 Depth=1
	s_or_b64 exec, exec, s[28:29]
	v_mov_b32_e32 v16, v22
.LBB11_255:                             ;   in Loop: Header=BB11_81 Depth=1
	s_and_saveexec_b64 s[26:27], s[30:31]
	s_cbranch_execz .LBB11_264
; %bb.256:                              ;   in Loop: Header=BB11_81 Depth=1
	v_ashrrev_i32_e32 v2, 31, v6
	v_lshrrev_b32_e32 v2, 22, v2
	v_add_u32_e32 v2, v6, v2
	v_mov_b32_e32 v44, v16
	v_ashrrev_i32_e32 v16, 10, v2
	v_sub_u32_e32 v8, v16, v4
	v_cmp_lt_i32_e32 vcc, 0, v8
	s_and_saveexec_b64 s[28:29], vcc
	s_cbranch_execz .LBB11_260
; %bb.257:                              ;   in Loop: Header=BB11_81 Depth=1
	v_ashrrev_i32_e32 v5, 31, v7
	s_trap 2
	ds_read_b64 v[2:3], v0
	v_lshrrev_b32_e32 v5, 26, v5
	v_add_u32_e32 v5, v7, v5
	v_and_b32_e32 v5, 0xffffffc0, v5
	v_sub_u32_e32 v5, v7, v5
	v_lshlrev_b32_e32 v4, 10, v4
	v_add3_u32 v4, v0, v5, v4
	v_ashrrev_i32_e32 v5, 31, v4
	s_mov_b64 s[30:31], 0
	s_waitcnt lgkmcnt(0)
	v_mov_b64_e32 v[18:19], v[2:3]
.LBB11_258:                             ;   Parent Loop BB11_81 Depth=1
                                        ; =>  This Inner Loop Header: Depth=2
	v_lshl_add_u64 v[22:23], v[4:5], 0, v[18:19]
	flat_load_ubyte v9, v[22:23] nt
	flat_load_ubyte v17, v[22:23] offset:64 nt
	flat_load_ubyte v28, v[22:23] offset:128 nt
	;; [unrolled: 1-line block ×15, first 2 shown]
	v_sub_u32_e32 v8, v8, v50
	v_cmp_gt_i32_e32 vcc, 1, v8
	v_lshl_add_u64 v[22:23], v[4:5], 0, v[2:3]
	v_lshl_add_u64 v[18:19], v[18:19], 0, v[60:61]
	;; [unrolled: 1-line block ×3, first 2 shown]
	s_or_b64 s[30:31], vcc, s[30:31]
	s_waitcnt vmcnt(0) lgkmcnt(0)
	flat_store_byte v[22:23], v9 nt
	flat_store_byte v[22:23], v17 offset:64 nt
	flat_store_byte v[22:23], v28 offset:128 nt
	;; [unrolled: 1-line block ×15, first 2 shown]
	s_andn2_b64 exec, exec, s[30:31]
	s_cbranch_execnz .LBB11_258
; %bb.259:                              ;   in Loop: Header=BB11_81 Depth=1
	s_or_b64 exec, exec, s[30:31]
	v_accvgpr_read_b32 v53, a7
	v_accvgpr_read_b32 v29, a19
	v_accvgpr_read_b32 v35, a25
	v_accvgpr_read_b32 v31, a27
	v_accvgpr_read_b32 v42, a4
	v_accvgpr_read_b32 v52, a6
	v_accvgpr_read_b32 v28, a18
	v_accvgpr_read_b32 v32, a22
	v_accvgpr_read_b32 v34, a24
	v_accvgpr_read_b32 v30, a26
	v_mov_b32_e32 v43, 1
	v_accvgpr_read_b32 v33, a20
	v_accvgpr_read_b32 v23, a35
.LBB11_260:                             ;   in Loop: Header=BB11_81 Depth=1
	s_or_b64 exec, exec, s[28:29]
	v_lshlrev_b32_e32 v2, 10, v16
	v_cmp_ne_u32_e32 vcc, v6, v2
	s_and_b64 s[28:29], exec, vcc
	v_mov_b32_e32 v16, v44
	s_mov_b64 exec, s[28:29]
	s_cbranch_execz .LBB11_264
; %bb.261:                              ;   in Loop: Header=BB11_81 Depth=1
	v_ashrrev_i32_e32 v3, 31, v7
	v_lshrrev_b32_e32 v3, 26, v3
	v_add_u32_e32 v3, v7, v3
	v_and_b32_e32 v3, 0xffffffc0, v3
	v_sub_u32_e32 v3, v7, v3
	v_lshlrev_b32_e32 v4, 6, v8
	v_sub_u32_e32 v3, v3, v4
	v_add_u32_e32 v4, v2, v3
	v_sub_u32_e32 v6, v6, v4
	v_cmp_lt_i32_e32 vcc, 0, v6
	s_and_b64 exec, exec, vcc
	s_cbranch_execz .LBB11_264
; %bb.262:                              ;   in Loop: Header=BB11_81 Depth=1
	s_trap 2
	ds_read_b64 v[2:3], v0
	v_add_u32_e32 v4, v4, v0
	v_ashrrev_i32_e32 v5, 31, v4
	s_mov_b64 s[28:29], 0
.LBB11_263:                             ;   Parent Loop BB11_81 Depth=1
                                        ; =>  This Inner Loop Header: Depth=2
	s_waitcnt lgkmcnt(0)
	v_lshl_add_u64 v[8:9], v[2:3], 0, v[4:5]
	flat_load_ubyte v0, v[8:9] nt
	v_sub_u32_e32 v6, v6, v11
	v_cmp_gt_i32_e32 vcc, 1, v6
	v_lshl_add_u64 v[4:5], v[4:5], 0, v[56:57]
	s_or_b64 s[28:29], vcc, s[28:29]
	s_waitcnt vmcnt(0) lgkmcnt(0)
	flat_store_byte v[8:9], v0 nt
	s_andn2_b64 exec, exec, s[28:29]
	s_cbranch_execnz .LBB11_263
.LBB11_264:                             ;   in Loop: Header=BB11_81 Depth=1
	s_or_b64 exec, exec, s[26:27]
.LBB11_265:                             ;   in Loop: Header=BB11_81 Depth=1
	v_cmp_lt_i32_e64 s[26:27], 0, v48
.LBB11_266:                             ;   in Loop: Header=BB11_81 Depth=1
	s_and_saveexec_b64 s[28:29], s[4:5]
	s_cbranch_execz .LBB11_333
; %bb.267:                              ;   in Loop: Header=BB11_81 Depth=1
	s_and_saveexec_b64 vcc, s[42:43]
	s_xor_b64 s[30:31], exec, vcc
	s_cbranch_execz .LBB11_330
; %bb.268:                              ;   in Loop: Header=BB11_81 Depth=1
	s_and_saveexec_b64 s[56:57], s[12:13]
	s_cbranch_execz .LBB11_329
; %bb.269:                              ;   in Loop: Header=BB11_81 Depth=1
	s_mov_b64 s[60:61], exec
	v_mbcnt_lo_u32_b32 v0, s60, 0
	v_mbcnt_hi_u32_b32 v0, s61, v0
	v_cmp_eq_u32_e32 vcc, 0, v0
	s_waitcnt lgkmcnt(0)
	s_and_saveexec_b64 s[58:59], vcc
	s_cbranch_execz .LBB11_271
; %bb.270:                              ;   in Loop: Header=BB11_81 Depth=1
	s_bcnt1_i32_b64 vcc_lo, s[60:61]
	v_mov_b32_e32 v48, vcc_lo
	ds_add_u64 v0, v[48:49]
	s_trap 2
.LBB11_271:                             ;   in Loop: Header=BB11_81 Depth=1
	s_or_b64 exec, exec, s[58:59]
	s_trap 2
	ds_read_b64 v[2:3], v0
	v_lshl_add_u64 v[14:15], v[14:15], 0, v[50:51]
	s_waitcnt lgkmcnt(0)
	v_cmp_lt_u64_e32 vcc, v[2:3], v[14:15]
	s_and_saveexec_b64 s[58:59], vcc
	s_cbranch_execz .LBB11_328
; %bb.272:                              ;   in Loop: Header=BB11_81 Depth=1
	s_mov_b32 s70, 0
	s_mov_b64 s[60:61], 0
                                        ; implicit-def: $sgpr62_sgpr63
                                        ; implicit-def: $sgpr64_sgpr65
	s_branch .LBB11_274
.LBB11_273:                             ;   in Loop: Header=BB11_274 Depth=2
	s_or_b64 exec, exec, s[68:69]
	s_and_b64 vcc, exec, vcc
	s_or_b64 s[60:61], vcc, s[60:61]
	s_andn2_b64 vcc, s[62:63], exec
	s_and_b64 s[62:63], s[64:65], exec
	s_or_b64 s[62:63], vcc, s[62:63]
	s_andn2_b64 exec, exec, s[60:61]
	s_cbranch_execz .LBB11_326
.LBB11_274:                             ;   Parent Loop BB11_81 Depth=1
                                        ; =>  This Inner Loop Header: Depth=2
	s_add_i32 s70, s70, 1
	s_cmpk_lg_i32 s70, 0x2710
	s_cselect_b64 s[66:67], -1, 0
	s_and_b64 vcc, exec, s[66:67]
                                        ; implicit-def: $sgpr68_sgpr69
	s_cbranch_vccnz .LBB11_276
; %bb.275:                              ;   in Loop: Header=BB11_274 Depth=2
	s_trap 2
	ds_read_b64 v[2:3], v0
	s_andn2_b64 s[66:67], s[66:67], exec
	s_mov_b32 s70, 0
	s_mov_b64 s[68:69], -1
	s_waitcnt vmcnt(0) lgkmcnt(0)
	flat_load_dword v0, v[2:3] sc0 sc1
	s_waitcnt vmcnt(0) lgkmcnt(0)
	buffer_inv sc0 sc1
	v_cmp_eq_u32_e32 vcc, 0, v0
	s_and_b64 vcc, vcc, exec
	s_or_b64 s[66:67], s[66:67], vcc
.LBB11_276:                             ;   in Loop: Header=BB11_274 Depth=2
	s_andn2_b64 s[64:65], s[64:65], exec
	s_and_b64 s[68:69], s[68:69], exec
	s_mov_b64 vcc, -1
	s_or_b64 s[64:65], s[64:65], s[68:69]
	s_and_saveexec_b64 s[68:69], s[66:67]
	s_cbranch_execz .LBB11_273
; %bb.277:                              ;   in Loop: Header=BB11_274 Depth=2
	s_sleep 1
	s_trap 2
	ds_read_b64 v[2:3], v0
	s_andn2_b64 s[64:65], s[64:65], exec
	s_waitcnt lgkmcnt(0)
	v_cmp_ge_u64_e32 vcc, v[2:3], v[14:15]
	s_orn2_b64 vcc, vcc, exec
	s_branch .LBB11_273
.LBB11_278:                             ;   in Loop: Header=BB11_81 Depth=1
	s_or_b64 exec, exec, s[62:63]
	s_and_saveexec_b64 vcc, s[64:65]
	s_xor_b64 vcc, exec, vcc
	s_cbranch_execz .LBB11_280
; %bb.279:                              ;   in Loop: Header=BB11_81 Depth=1
	ds_write_b32 v0, v43
	s_trap 2
.LBB11_280:                             ;   in Loop: Header=BB11_81 Depth=1
	s_or_b64 exec, exec, s[60:61]
	;;#ASMSTART
	s_wakeup
	;;#ASMEND
.LBB11_281:                             ;   in Loop: Header=BB11_81 Depth=1
	s_or_b64 exec, exec, s[58:59]
.LBB11_282:                             ;   in Loop: Header=BB11_81 Depth=1
	s_andn2_saveexec_b64 vcc, s[56:57]
	s_cbranch_execz .LBB11_284
; %bb.283:                              ;   in Loop: Header=BB11_81 Depth=1
	s_waitcnt lgkmcnt(0)
	s_barrier
.LBB11_284:                             ;   in Loop: Header=BB11_81 Depth=1
	s_or_b64 exec, exec, vcc
.LBB11_285:                             ;   in Loop: Header=BB11_81 Depth=1
	s_or_b64 exec, exec, s[26:27]
	s_trap 2
	s_waitcnt lgkmcnt(0)
	ds_read_b64 v[4:5], v0
	s_waitcnt lgkmcnt(0)
	v_readfirstlane_b32 s26, v4
	v_readfirstlane_b32 s27, v5
	s_cmp_eq_u64 s[26:27], 0
	s_cselect_b64 s[26:27], -1, 0
	s_or_b64 vcc, s[26:27], s[26:27]
	s_mov_b64 s[26:27], 0
	s_and_b64 vcc, exec, vcc
	s_cbranch_vccnz .LBB11_314
; %bb.286:                              ;   in Loop: Header=BB11_81 Depth=1
	s_mov_b64 s[26:27], -1
	s_and_saveexec_b64 s[56:57], s[14:15]
	s_cbranch_execz .LBB11_288
; %bb.287:                              ;   in Loop: Header=BB11_81 Depth=1
	ds_read_b32 v3, v0 offset:720
	s_waitcnt lgkmcnt(0)
	v_and_b32_e32 v3, 15, v3
	v_cmp_eq_u32_e32 vcc, 0, v3
	s_orn2_b64 s[26:27], vcc, exec
.LBB11_288:                             ;   in Loop: Header=BB11_81 Depth=1
	s_or_b64 exec, exec, s[56:57]
	s_and_saveexec_b64 s[56:57], s[18:19]
	s_cbranch_execz .LBB11_290
; %bb.289:                              ;   in Loop: Header=BB11_81 Depth=1
	ds_read_b32 v3, v0 offset:784
	s_waitcnt lgkmcnt(0)
	v_and_b32_e32 v3, 15, v3
	v_cmp_eq_u32_e32 vcc, 0, v3
	s_and_b64 vcc, s[26:27], vcc
	s_andn2_b64 s[26:27], s[26:27], exec
	s_and_b64 vcc, vcc, exec
	s_or_b64 s[26:27], s[26:27], vcc
.LBB11_290:                             ;   in Loop: Header=BB11_81 Depth=1
	s_or_b64 exec, exec, s[56:57]
	s_xor_b64 s[26:27], s[26:27], -1
	v_cmp_eq_u32_e32 vcc, 0, v0
	v_cndmask_b32_e64 v0, 0, 1, s[26:27]
	;;#ASMSTART
	;;#ASMEND
	v_mov_b32_e32 v6, 0
	v_cndmask_b32_e32 v3, 0, v2, vcc
	s_mov_b64 s[58:59], -1
	v_cmp_ne_u32_e32 vcc, 0, v0
	v_mov_b32_e32 v0, v3
	v_mov_b32_e32 v7, v42
	v_accvgpr_read_b32 v17, a23
	s_cbranch_vccz .LBB11_292
; %bb.291:                              ;   in Loop: Header=BB11_81 Depth=1
	s_and_saveexec_b64 s[26:27], s[58:59]
	s_cbranch_execnz .LBB11_305
	s_branch .LBB11_313
.LBB11_292:                             ;   in Loop: Header=BB11_81 Depth=1
	v_ashrrev_i32_e32 v0, 31, v3
	v_lshrrev_b32_e32 v0, 20, v0
	v_add_u32_e32 v0, v3, v0
	v_ashrrev_i32_e32 v0, 12, v0
	v_accvgpr_read_b32 v1, a23
	v_sub_u32_e32 v16, v0, v1
	v_cmp_lt_i32_e32 vcc, 0, v16
	s_and_saveexec_b64 s[26:27], vcc
	s_cbranch_execz .LBB11_296
; %bb.293:                              ;   in Loop: Header=BB11_81 Depth=1
	s_trap 2
	ds_read_b64 v[4:5], v0
	s_mov_b64 s[56:57], 0
	s_waitcnt lgkmcnt(0)
	v_mov_b64_e32 v[18:19], v[4:5]
.LBB11_294:                             ;   Parent Loop BB11_81 Depth=1
                                        ; =>  This Inner Loop Header: Depth=2
	v_lshl_add_u64 v[22:23], v[24:25], 0, v[18:19]
	global_load_dwordx4 v[6:9], v[22:23], off nt
	global_load_dwordx4 v[42:45], v[22:23], off offset:1024 nt
	global_load_dwordx4 v[32:35], v[22:23], off offset:2048 nt
	global_load_dwordx4 v[28:31], v[22:23], off offset:3072 nt
	v_sub_u32_e32 v16, v16, v50
	v_cmp_gt_i32_e32 vcc, 1, v16
	v_lshl_add_u64 v[22:23], v[24:25], 0, v[4:5]
	v_lshl_add_u64 v[18:19], v[18:19], 0, v[58:59]
	v_lshl_add_u64 v[4:5], v[4:5], 0, v[58:59]
	s_or_b64 s[56:57], vcc, s[56:57]
	s_waitcnt vmcnt(0)
	global_store_dwordx4 v[22:23], v[6:9], off nt
	global_store_dwordx4 v[22:23], v[42:45], off offset:1024 nt
	global_store_dwordx4 v[22:23], v[32:35], off offset:2048 nt
	;; [unrolled: 1-line block ×3, first 2 shown]
	s_andn2_b64 exec, exec, s[56:57]
	s_cbranch_execnz .LBB11_294
; %bb.295:                              ;   in Loop: Header=BB11_81 Depth=1
	s_or_b64 exec, exec, s[56:57]
	v_accvgpr_read_b32 v29, a19
	v_accvgpr_read_b32 v35, a25
	;; [unrolled: 1-line block ×8, first 2 shown]
	v_mov_b32_e32 v43, 1
	v_accvgpr_read_b32 v33, a20
	v_accvgpr_read_b32 v23, a35
.LBB11_296:                             ;   in Loop: Header=BB11_81 Depth=1
	s_or_b64 exec, exec, s[26:27]
	v_lshlrev_b32_e32 v8, 12, v0
	v_cmp_ne_u32_e32 vcc, v3, v8
	s_mov_b64 s[58:59], 0
	v_mov_b32_e32 v6, 0
                                        ; implicit-def: $vgpr0
                                        ; implicit-def: $vgpr7
                                        ; implicit-def: $vgpr17
	s_and_saveexec_b64 s[56:57], vcc
	s_cbranch_execz .LBB11_304
; %bb.297:                              ;   in Loop: Header=BB11_81 Depth=1
	v_lshlrev_b32_e32 v0, 6, v16
	v_accvgpr_read_b32 v1, a34
	v_sub_u32_e32 v0, v1, v0
	v_ashrrev_i32_e32 v5, 31, v0
	v_lshrrev_b32_e32 v5, 26, v5
	v_add_u32_e32 v5, v0, v5
	v_sub_u32_e32 v4, v3, v8
	v_ashrrev_i32_e32 v7, 6, v5
	v_and_b32_e32 v5, 0xffffffc0, v5
	v_sub_u32_e32 v16, v0, v5
	v_ashrrev_i32_e32 v5, 31, v4
	v_lshrrev_b32_e32 v5, 22, v5
	v_add_u32_e32 v5, v4, v5
	v_and_b32_e32 v22, 0xfffffc00, v5
	v_lshlrev_b32_e32 v0, 4, v16
	v_sub_u32_e32 v48, v4, v22
	v_lshl_add_u32 v6, v7, 10, v0
	v_ashrrev_i32_e32 v9, 10, v5
	v_cmp_lt_i32_e32 vcc, 15, v48
	v_sub_u32_e32 v0, v4, v6
	s_nop 0
	v_addc_co_u32_e64 v4, s[26:27], 0, v9, vcc
	v_sub_u32_e32 v23, v4, v7
	v_cmp_lt_i32_e64 s[26:27], 15, v0
	s_and_saveexec_b64 s[58:59], s[26:27]
	s_cbranch_execz .LBB11_301
; %bb.298:                              ;   in Loop: Header=BB11_81 Depth=1
	s_trap 2
	ds_read_b64 v[4:5], v0
	v_add_u32_e32 v18, v6, v8
	v_ashrrev_i32_e32 v19, 31, v18
	s_mov_b64 s[60:61], 0
.LBB11_299:                             ;   Parent Loop BB11_81 Depth=1
                                        ; =>  This Inner Loop Header: Depth=2
	s_waitcnt lgkmcnt(0)
	v_lshl_add_u64 v[6:7], v[4:5], 0, v[18:19]
	global_load_dwordx4 v[28:31], v[6:7], off nt
	v_sub_u32_e32 v0, v0, v33
	v_cmp_gt_i32_e64 s[26:27], 16, v0
	v_sub_u32_e32 v23, v23, v50
	v_lshl_add_u64 v[18:19], v[18:19], 0, v[60:61]
	s_or_b64 s[60:61], s[26:27], s[60:61]
	s_waitcnt vmcnt(0)
	global_store_dwordx4 v[6:7], v[28:31], off nt
	s_andn2_b64 exec, exec, s[60:61]
	s_cbranch_execnz .LBB11_299
; %bb.300:                              ;   in Loop: Header=BB11_81 Depth=1
	s_or_b64 exec, exec, s[60:61]
	v_accvgpr_read_b32 v29, a19
	v_accvgpr_read_b32 v31, a27
	;; [unrolled: 1-line block ×4, first 2 shown]
.LBB11_301:                             ;   in Loop: Header=BB11_81 Depth=1
	s_or_b64 exec, exec, s[58:59]
	v_and_b32_e32 v4, 15, v3
	v_cndmask_b32_e32 v0, v48, v4, vcc
	v_cmp_ne_u32_e64 s[26:27], 0, v0
	s_mov_b64 s[58:59], 0
	v_mov_b32_e32 v6, 0
                                        ; implicit-def: $vgpr7
                                        ; implicit-def: $vgpr17
	s_and_saveexec_b64 s[60:61], s[26:27]
	s_cbranch_execz .LBB11_303
; %bb.302:                              ;   in Loop: Header=BB11_81 Depth=1
	v_sub_u32_e32 v4, v48, v4
	v_cndmask_b32_e32 v4, 0, v4, vcc
	v_cmp_lt_i32_e32 vcc, 0, v23
	v_add3_u32 v6, v22, v8, v4
	s_mov_b64 s[58:59], exec
	v_cndmask_b32_e32 v4, 0, v50, vcc
	v_sub_u32_e32 v4, v4, v23
	v_lshl_add_u32 v7, v4, 6, v16
	v_ashrrev_i32_e32 v4, 31, v7
	v_lshrrev_b32_e32 v4, 26, v4
	v_add_u32_e32 v4, v7, v4
	v_ashrrev_i32_e32 v17, 6, v4
.LBB11_303:                             ;   in Loop: Header=BB11_81 Depth=1
	s_or_b64 exec, exec, s[60:61]
	s_and_b64 s[58:59], s[58:59], exec
	v_accvgpr_read_b32 v23, a35
.LBB11_304:                             ;   in Loop: Header=BB11_81 Depth=1
	s_or_b64 exec, exec, s[56:57]
	s_and_saveexec_b64 s[26:27], s[58:59]
	s_cbranch_execz .LBB11_313
.LBB11_305:                             ;   in Loop: Header=BB11_81 Depth=1
	v_ashrrev_i32_e32 v4, 31, v0
	v_lshrrev_b32_e32 v4, 22, v4
	v_add_u32_e32 v4, v0, v4
	v_ashrrev_i32_e32 v16, 10, v4
	v_sub_u32_e32 v8, v16, v17
	v_cmp_lt_i32_e32 vcc, 0, v8
	s_and_saveexec_b64 s[56:57], vcc
	s_cbranch_execz .LBB11_309
; %bb.306:                              ;   in Loop: Header=BB11_81 Depth=1
	v_ashrrev_i32_e32 v9, 31, v7
	s_trap 2
	ds_read_b64 v[4:5], v0
	v_lshrrev_b32_e32 v9, 26, v9
	v_add_u32_e32 v9, v7, v9
	v_and_b32_e32 v9, 0xffffffc0, v9
	v_sub_u32_e32 v9, v7, v9
	v_lshlrev_b32_e32 v17, 10, v17
	v_add3_u32 v18, v6, v9, v17
	v_ashrrev_i32_e32 v19, 31, v18
	s_mov_b64 s[58:59], 0
	s_waitcnt lgkmcnt(0)
	v_mov_b64_e32 v[22:23], v[4:5]
.LBB11_307:                             ;   Parent Loop BB11_81 Depth=1
                                        ; =>  This Inner Loop Header: Depth=2
	v_lshl_add_u64 v[28:29], v[18:19], 0, v[22:23]
	flat_load_ubyte v9, v[28:29] nt
	flat_load_ubyte v17, v[28:29] offset:64 nt
	flat_load_ubyte v30, v[28:29] offset:128 nt
	;; [unrolled: 1-line block ×15, first 2 shown]
	v_sub_u32_e32 v8, v8, v50
	v_cmp_gt_i32_e32 vcc, 1, v8
	v_lshl_add_u64 v[28:29], v[18:19], 0, v[4:5]
	v_lshl_add_u64 v[22:23], v[22:23], 0, v[60:61]
	;; [unrolled: 1-line block ×3, first 2 shown]
	s_or_b64 s[58:59], vcc, s[58:59]
	s_waitcnt vmcnt(0) lgkmcnt(0)
	flat_store_byte v[28:29], v9 nt
	flat_store_byte v[28:29], v17 offset:64 nt
	flat_store_byte v[28:29], v30 offset:128 nt
	;; [unrolled: 1-line block ×15, first 2 shown]
	s_andn2_b64 exec, exec, s[58:59]
	s_cbranch_execnz .LBB11_307
; %bb.308:                              ;   in Loop: Header=BB11_81 Depth=1
	s_or_b64 exec, exec, s[58:59]
	v_accvgpr_read_b32 v53, a7
	v_accvgpr_read_b32 v29, a19
	;; [unrolled: 1-line block ×10, first 2 shown]
	v_mov_b32_e32 v43, 1
	v_accvgpr_read_b32 v33, a20
	v_accvgpr_read_b32 v23, a35
.LBB11_309:                             ;   in Loop: Header=BB11_81 Depth=1
	s_or_b64 exec, exec, s[56:57]
	v_lshlrev_b32_e32 v4, 10, v16
	v_cmp_ne_u32_e32 vcc, v0, v4
	s_and_b64 exec, exec, vcc
	s_cbranch_execz .LBB11_313
; %bb.310:                              ;   in Loop: Header=BB11_81 Depth=1
	v_ashrrev_i32_e32 v5, 31, v7
	v_lshrrev_b32_e32 v5, 26, v5
	v_add_u32_e32 v5, v7, v5
	v_and_b32_e32 v5, 0xffffffc0, v5
	v_sub_u32_e32 v5, v7, v5
	v_lshlrev_b32_e32 v7, 6, v8
	v_sub_u32_e32 v5, v5, v7
	v_add_u32_e32 v7, v4, v5
	v_sub_u32_e32 v0, v0, v7
	v_cmp_lt_i32_e32 vcc, 0, v0
	s_and_b64 exec, exec, vcc
	s_cbranch_execz .LBB11_313
; %bb.311:                              ;   in Loop: Header=BB11_81 Depth=1
	s_trap 2
	ds_read_b64 v[4:5], v0
	v_add_u32_e32 v18, v7, v6
	v_ashrrev_i32_e32 v19, 31, v18
	s_mov_b64 s[56:57], 0
.LBB11_312:                             ;   Parent Loop BB11_81 Depth=1
                                        ; =>  This Inner Loop Header: Depth=2
	s_waitcnt lgkmcnt(0)
	v_lshl_add_u64 v[6:7], v[4:5], 0, v[18:19]
	flat_load_ubyte v8, v[6:7] nt
	v_sub_u32_e32 v0, v0, v11
	v_cmp_gt_i32_e32 vcc, 1, v0
	v_lshl_add_u64 v[18:19], v[18:19], 0, v[56:57]
	s_or_b64 s[56:57], vcc, s[56:57]
	s_waitcnt vmcnt(0) lgkmcnt(0)
	flat_store_byte v[6:7], v8 nt
	s_andn2_b64 exec, exec, s[56:57]
	s_cbranch_execnz .LBB11_312
.LBB11_313:                             ;   in Loop: Header=BB11_81 Depth=1
	s_or_b64 exec, exec, s[26:27]
	v_cmp_lt_i32_e64 s[26:27], 0, v3
.LBB11_314:                             ;   in Loop: Header=BB11_81 Depth=1
	s_and_saveexec_b64 s[56:57], s[4:5]
	s_cbranch_execz .LBB11_357
; %bb.315:                              ;   in Loop: Header=BB11_81 Depth=1
	s_and_saveexec_b64 vcc, s[42:43]
	s_xor_b64 s[58:59], exec, vcc
	s_cbranch_execz .LBB11_354
; %bb.316:                              ;   in Loop: Header=BB11_81 Depth=1
	s_and_saveexec_b64 s[60:61], s[12:13]
	s_cbranch_execz .LBB11_353
; %bb.317:                              ;   in Loop: Header=BB11_81 Depth=1
	s_mov_b64 s[64:65], exec
	v_mbcnt_lo_u32_b32 v0, s64, 0
	v_mbcnt_hi_u32_b32 v0, s65, v0
	v_cmp_eq_u32_e32 vcc, 0, v0
	s_waitcnt lgkmcnt(0)
	s_and_saveexec_b64 s[62:63], vcc
	s_cbranch_execz .LBB11_319
; %bb.318:                              ;   in Loop: Header=BB11_81 Depth=1
	s_bcnt1_i32_b64 vcc_lo, s[64:65]
	v_mov_b32_e32 v48, vcc_lo
	ds_add_u64 v0, v[48:49]
	s_trap 2
.LBB11_319:                             ;   in Loop: Header=BB11_81 Depth=1
	s_or_b64 exec, exec, s[62:63]
	s_trap 2
	ds_read_b64 v[4:5], v0
	v_lshl_add_u64 v[14:15], v[14:15], 0, v[50:51]
	s_waitcnt lgkmcnt(0)
	v_cmp_lt_u64_e32 vcc, v[4:5], v[14:15]
	s_and_saveexec_b64 s[62:63], vcc
	s_cbranch_execz .LBB11_352
; %bb.320:                              ;   in Loop: Header=BB11_81 Depth=1
	s_mov_b32 s80, 0
	s_mov_b64 s[64:65], 0
                                        ; implicit-def: $sgpr66_sgpr67
                                        ; implicit-def: $sgpr68_sgpr69
	s_branch .LBB11_322
.LBB11_321:                             ;   in Loop: Header=BB11_322 Depth=2
	s_or_b64 exec, exec, s[72:73]
	s_and_b64 vcc, exec, vcc
	s_or_b64 s[64:65], vcc, s[64:65]
	s_andn2_b64 vcc, s[66:67], exec
	s_and_b64 s[66:67], s[68:69], exec
	s_or_b64 s[66:67], vcc, s[66:67]
	s_andn2_b64 exec, exec, s[64:65]
	s_cbranch_execz .LBB11_350
.LBB11_322:                             ;   Parent Loop BB11_81 Depth=1
                                        ; =>  This Inner Loop Header: Depth=2
	s_add_i32 s80, s80, 1
	s_cmpk_lg_i32 s80, 0x2710
	s_cselect_b64 s[70:71], -1, 0
	s_and_b64 vcc, exec, s[70:71]
                                        ; implicit-def: $sgpr72_sgpr73
	s_cbranch_vccnz .LBB11_324
; %bb.323:                              ;   in Loop: Header=BB11_322 Depth=2
	s_trap 2
	ds_read_b64 v[4:5], v0
	s_andn2_b64 s[70:71], s[70:71], exec
	s_mov_b32 s80, 0
	s_mov_b64 s[72:73], -1
	s_waitcnt vmcnt(0) lgkmcnt(0)
	flat_load_dword v0, v[4:5] sc0 sc1
	s_waitcnt vmcnt(0) lgkmcnt(0)
	buffer_inv sc0 sc1
	v_cmp_eq_u32_e32 vcc, 0, v0
	s_and_b64 vcc, vcc, exec
	s_or_b64 s[70:71], s[70:71], vcc
.LBB11_324:                             ;   in Loop: Header=BB11_322 Depth=2
	s_andn2_b64 s[68:69], s[68:69], exec
	s_and_b64 s[72:73], s[72:73], exec
	s_mov_b64 vcc, -1
	s_or_b64 s[68:69], s[68:69], s[72:73]
	s_and_saveexec_b64 s[72:73], s[70:71]
	s_cbranch_execz .LBB11_321
; %bb.325:                              ;   in Loop: Header=BB11_322 Depth=2
	s_sleep 1
	s_trap 2
	ds_read_b64 v[4:5], v0
	s_andn2_b64 s[68:69], s[68:69], exec
	s_waitcnt lgkmcnt(0)
	v_cmp_ge_u64_e32 vcc, v[4:5], v[14:15]
	s_orn2_b64 vcc, vcc, exec
	s_branch .LBB11_321
.LBB11_326:                             ;   in Loop: Header=BB11_81 Depth=1
	s_or_b64 exec, exec, s[60:61]
	s_and_saveexec_b64 vcc, s[62:63]
	s_xor_b64 vcc, exec, vcc
	s_cbranch_execz .LBB11_328
; %bb.327:                              ;   in Loop: Header=BB11_81 Depth=1
	ds_write_b32 v0, v43
	s_trap 2
.LBB11_328:                             ;   in Loop: Header=BB11_81 Depth=1
	s_or_b64 exec, exec, s[58:59]
	;;#ASMSTART
	s_wakeup
	;;#ASMEND
.LBB11_329:                             ;   in Loop: Header=BB11_81 Depth=1
	s_or_b64 exec, exec, s[56:57]
.LBB11_330:                             ;   in Loop: Header=BB11_81 Depth=1
	s_andn2_saveexec_b64 vcc, s[30:31]
	s_cbranch_execz .LBB11_332
; %bb.331:                              ;   in Loop: Header=BB11_81 Depth=1
	s_waitcnt lgkmcnt(0)
	s_barrier
.LBB11_332:                             ;   in Loop: Header=BB11_81 Depth=1
	s_or_b64 exec, exec, vcc
.LBB11_333:                             ;   in Loop: Header=BB11_81 Depth=1
	s_or_b64 exec, exec, s[28:29]
	v_and_b32_e32 v0, 16, v62
	s_and_saveexec_b64 s[28:29], s[20:21]
	s_xor_b64 s[28:29], exec, s[28:29]
	s_cbranch_execz .LBB11_338
; %bb.334:                              ;   in Loop: Header=BB11_81 Depth=1
	v_and_b32_e32 v2, 16, v62
	v_cmp_ne_u32_e32 vcc, 0, v2
	v_and_b32_e32 v0, 16, v62
	s_and_b64 vcc, vcc, s[26:27]
	s_and_saveexec_b64 s[26:27], vcc
	s_cbranch_execz .LBB11_336
; %bb.335:                              ;   in Loop: Header=BB11_81 Depth=1
	v_mov_b32_e32 v0, 1
	buffer_wbl2 sc1
	s_waitcnt vmcnt(0) lgkmcnt(0)
	buffer_inv sc1
.LBB11_336:                             ;   in Loop: Header=BB11_81 Depth=1
	s_or_b64 exec, exec, s[26:27]
	s_andn2_saveexec_b64 s[26:27], s[28:29]
	s_cbranch_execnz .LBB11_339
.LBB11_337:                             ;   in Loop: Header=BB11_81 Depth=1
	s_or_b64 exec, exec, s[26:27]
	v_cmp_ne_u32_e32 vcc, 0, v0
	s_and_saveexec_b64 s[26:27], vcc
	s_cbranch_execnz .LBB11_381
	s_branch .LBB11_384
.LBB11_338:                             ;   in Loop: Header=BB11_81 Depth=1
	s_andn2_saveexec_b64 s[26:27], s[28:29]
	s_cbranch_execz .LBB11_337
.LBB11_339:                             ;   in Loop: Header=BB11_81 Depth=1
	s_and_saveexec_b64 s[28:29], s[42:43]
	s_xor_b64 s[28:29], exec, s[28:29]
	s_cbranch_execz .LBB11_378
; %bb.340:                              ;   in Loop: Header=BB11_81 Depth=1
	s_and_saveexec_b64 s[30:31], s[12:13]
	s_cbranch_execz .LBB11_377
; %bb.341:                              ;   in Loop: Header=BB11_81 Depth=1
	s_mov_b64 s[58:59], exec
	v_mbcnt_lo_u32_b32 v2, s58, 0
	v_mbcnt_hi_u32_b32 v2, s59, v2
	v_cmp_eq_u32_e32 vcc, 0, v2
	;;#ASMSTART
	s_waitcnt lgkmcnt(0) vmcnt(0)
	;;#ASMEND
	s_and_saveexec_b64 s[56:57], vcc
	s_cbranch_execz .LBB11_343
; %bb.342:                              ;   in Loop: Header=BB11_81 Depth=1
	s_bcnt1_i32_b64 vcc_lo, s[58:59]
	v_mov_b32_e32 v48, vcc_lo
	ds_add_u64 v0, v[48:49]
	s_trap 2
.LBB11_343:                             ;   in Loop: Header=BB11_81 Depth=1
	s_or_b64 exec, exec, s[56:57]
	s_trap 2
	ds_read_b64 v[2:3], v0
	v_lshl_add_u64 v[14:15], v[14:15], 0, v[50:51]
	s_waitcnt lgkmcnt(0)
	v_cmp_lt_u64_e32 vcc, v[2:3], v[14:15]
	s_and_saveexec_b64 s[56:57], vcc
	s_cbranch_execz .LBB11_376
; %bb.344:                              ;   in Loop: Header=BB11_81 Depth=1
	s_mov_b32 s68, 0
	s_mov_b64 s[58:59], 0
                                        ; implicit-def: $sgpr60_sgpr61
                                        ; implicit-def: $sgpr62_sgpr63
	s_branch .LBB11_346
.LBB11_345:                             ;   in Loop: Header=BB11_346 Depth=2
	s_or_b64 exec, exec, s[66:67]
	s_and_b64 vcc, exec, vcc
	s_or_b64 s[58:59], vcc, s[58:59]
	s_andn2_b64 vcc, s[60:61], exec
	s_and_b64 s[60:61], s[62:63], exec
	s_or_b64 s[60:61], vcc, s[60:61]
	s_andn2_b64 exec, exec, s[58:59]
	s_cbranch_execz .LBB11_374
.LBB11_346:                             ;   Parent Loop BB11_81 Depth=1
                                        ; =>  This Inner Loop Header: Depth=2
	s_add_i32 s68, s68, 1
	s_cmpk_lg_i32 s68, 0x2710
	s_cselect_b64 s[64:65], -1, 0
	s_and_b64 vcc, exec, s[64:65]
                                        ; implicit-def: $sgpr66_sgpr67
	s_cbranch_vccnz .LBB11_348
; %bb.347:                              ;   in Loop: Header=BB11_346 Depth=2
	s_trap 2
	ds_read_b64 v[2:3], v0
	s_andn2_b64 s[64:65], s[64:65], exec
	s_mov_b32 s68, 0
	s_mov_b64 s[66:67], -1
	s_waitcnt vmcnt(0) lgkmcnt(0)
	flat_load_dword v2, v[2:3] sc0 sc1
	s_waitcnt vmcnt(0) lgkmcnt(0)
	buffer_inv sc0 sc1
	v_cmp_eq_u32_e32 vcc, 0, v2
	s_and_b64 vcc, vcc, exec
	s_or_b64 s[64:65], s[64:65], vcc
.LBB11_348:                             ;   in Loop: Header=BB11_346 Depth=2
	s_andn2_b64 s[62:63], s[62:63], exec
	s_and_b64 s[66:67], s[66:67], exec
	s_mov_b64 vcc, -1
	s_or_b64 s[62:63], s[62:63], s[66:67]
	s_and_saveexec_b64 s[66:67], s[64:65]
	s_cbranch_execz .LBB11_345
; %bb.349:                              ;   in Loop: Header=BB11_346 Depth=2
	s_sleep 1
	s_trap 2
	ds_read_b64 v[2:3], v0
	s_andn2_b64 s[62:63], s[62:63], exec
	s_waitcnt lgkmcnt(0)
	v_cmp_ge_u64_e32 vcc, v[2:3], v[14:15]
	s_orn2_b64 vcc, vcc, exec
	s_branch .LBB11_345
.LBB11_350:                             ;   in Loop: Header=BB11_81 Depth=1
	s_or_b64 exec, exec, s[64:65]
	s_and_saveexec_b64 vcc, s[66:67]
	s_xor_b64 vcc, exec, vcc
	s_cbranch_execz .LBB11_352
; %bb.351:                              ;   in Loop: Header=BB11_81 Depth=1
	ds_write_b32 v0, v43
	s_trap 2
.LBB11_352:                             ;   in Loop: Header=BB11_81 Depth=1
	s_or_b64 exec, exec, s[62:63]
	;;#ASMSTART
	s_wakeup
	;;#ASMEND
.LBB11_353:                             ;   in Loop: Header=BB11_81 Depth=1
	s_or_b64 exec, exec, s[60:61]
.LBB11_354:                             ;   in Loop: Header=BB11_81 Depth=1
	s_andn2_saveexec_b64 vcc, s[58:59]
	s_cbranch_execz .LBB11_356
; %bb.355:                              ;   in Loop: Header=BB11_81 Depth=1
	s_waitcnt lgkmcnt(0)
	s_barrier
.LBB11_356:                             ;   in Loop: Header=BB11_81 Depth=1
	s_or_b64 exec, exec, vcc
.LBB11_357:                             ;   in Loop: Header=BB11_81 Depth=1
	s_or_b64 exec, exec, s[56:57]
	v_and_b32_e32 v0, 16, v62
	s_and_saveexec_b64 vcc, s[20:21]
	s_xor_b64 s[56:57], exec, vcc
	s_cbranch_execz .LBB11_362
; %bb.358:                              ;   in Loop: Header=BB11_81 Depth=1
	v_and_b32_e32 v3, 16, v62
	v_cmp_ne_u32_e32 vcc, 0, v3
	v_and_b32_e32 v0, 16, v62
	s_and_b64 vcc, vcc, s[26:27]
	s_and_saveexec_b64 s[26:27], vcc
	s_cbranch_execz .LBB11_360
; %bb.359:                              ;   in Loop: Header=BB11_81 Depth=1
	v_mov_b32_e32 v0, 1
	buffer_wbl2 sc1
	s_waitcnt vmcnt(0) lgkmcnt(0)
	buffer_inv sc1
.LBB11_360:                             ;   in Loop: Header=BB11_81 Depth=1
	s_or_b64 exec, exec, s[26:27]
	s_andn2_saveexec_b64 s[26:27], s[56:57]
	s_cbranch_execnz .LBB11_363
.LBB11_361:                             ;   in Loop: Header=BB11_81 Depth=1
	s_or_b64 exec, exec, s[26:27]
	v_cmp_ne_u32_e32 vcc, 0, v0
	s_and_saveexec_b64 s[26:27], vcc
	s_cbranch_execnz .LBB11_427
	s_branch .LBB11_430
.LBB11_362:                             ;   in Loop: Header=BB11_81 Depth=1
	s_andn2_saveexec_b64 s[26:27], s[56:57]
	s_cbranch_execz .LBB11_361
.LBB11_363:                             ;   in Loop: Header=BB11_81 Depth=1
	s_and_saveexec_b64 vcc, s[42:43]
	s_xor_b64 s[56:57], exec, vcc
	s_cbranch_execz .LBB11_424
; %bb.364:                              ;   in Loop: Header=BB11_81 Depth=1
	s_and_saveexec_b64 s[58:59], s[12:13]
	s_cbranch_execz .LBB11_423
; %bb.365:                              ;   in Loop: Header=BB11_81 Depth=1
	s_mov_b64 s[62:63], exec
	v_mbcnt_lo_u32_b32 v3, s62, 0
	v_mbcnt_hi_u32_b32 v3, s63, v3
	v_cmp_eq_u32_e32 vcc, 0, v3
	;;#ASMSTART
	s_waitcnt lgkmcnt(0) vmcnt(0)
	;;#ASMEND
	s_and_saveexec_b64 s[60:61], vcc
	s_cbranch_execz .LBB11_367
; %bb.366:                              ;   in Loop: Header=BB11_81 Depth=1
	s_bcnt1_i32_b64 vcc_lo, s[62:63]
	v_mov_b32_e32 v48, vcc_lo
	ds_add_u64 v0, v[48:49]
	s_trap 2
.LBB11_367:                             ;   in Loop: Header=BB11_81 Depth=1
	s_or_b64 exec, exec, s[60:61]
	s_trap 2
	ds_read_b64 v[4:5], v0
	v_lshl_add_u64 v[14:15], v[14:15], 0, v[50:51]
	s_waitcnt lgkmcnt(0)
	v_cmp_lt_u64_e32 vcc, v[4:5], v[14:15]
	s_and_saveexec_b64 s[60:61], vcc
	s_cbranch_execz .LBB11_422
; %bb.368:                              ;   in Loop: Header=BB11_81 Depth=1
	s_mov_b32 s72, 0
	s_mov_b64 s[62:63], 0
                                        ; implicit-def: $sgpr64_sgpr65
                                        ; implicit-def: $sgpr66_sgpr67
	s_branch .LBB11_370
.LBB11_369:                             ;   in Loop: Header=BB11_370 Depth=2
	s_or_b64 exec, exec, s[70:71]
	s_and_b64 vcc, exec, vcc
	s_or_b64 s[62:63], vcc, s[62:63]
	s_andn2_b64 vcc, s[64:65], exec
	s_and_b64 s[64:65], s[66:67], exec
	s_or_b64 s[64:65], vcc, s[64:65]
	s_andn2_b64 exec, exec, s[62:63]
	s_cbranch_execz .LBB11_420
.LBB11_370:                             ;   Parent Loop BB11_81 Depth=1
                                        ; =>  This Inner Loop Header: Depth=2
	s_add_i32 s72, s72, 1
	s_cmpk_lg_i32 s72, 0x2710
	s_cselect_b64 s[68:69], -1, 0
	s_and_b64 vcc, exec, s[68:69]
                                        ; implicit-def: $sgpr70_sgpr71
	s_cbranch_vccnz .LBB11_372
; %bb.371:                              ;   in Loop: Header=BB11_370 Depth=2
	s_trap 2
	ds_read_b64 v[4:5], v0
	s_andn2_b64 s[68:69], s[68:69], exec
	s_mov_b32 s72, 0
	s_mov_b64 s[70:71], -1
	s_waitcnt vmcnt(0) lgkmcnt(0)
	flat_load_dword v3, v[4:5] sc0 sc1
	s_waitcnt vmcnt(0) lgkmcnt(0)
	buffer_inv sc0 sc1
	v_cmp_eq_u32_e32 vcc, 0, v3
	s_and_b64 vcc, vcc, exec
	s_or_b64 s[68:69], s[68:69], vcc
.LBB11_372:                             ;   in Loop: Header=BB11_370 Depth=2
	s_andn2_b64 s[66:67], s[66:67], exec
	s_and_b64 s[70:71], s[70:71], exec
	s_mov_b64 vcc, -1
	s_or_b64 s[66:67], s[66:67], s[70:71]
	s_and_saveexec_b64 s[70:71], s[68:69]
	s_cbranch_execz .LBB11_369
; %bb.373:                              ;   in Loop: Header=BB11_370 Depth=2
	s_sleep 1
	s_trap 2
	ds_read_b64 v[4:5], v0
	s_andn2_b64 s[66:67], s[66:67], exec
	s_waitcnt lgkmcnt(0)
	v_cmp_ge_u64_e32 vcc, v[4:5], v[14:15]
	s_orn2_b64 vcc, vcc, exec
	s_branch .LBB11_369
.LBB11_374:                             ;   in Loop: Header=BB11_81 Depth=1
	s_or_b64 exec, exec, s[58:59]
	s_and_saveexec_b64 vcc, s[60:61]
	s_xor_b64 vcc, exec, vcc
	s_cbranch_execz .LBB11_376
; %bb.375:                              ;   in Loop: Header=BB11_81 Depth=1
	ds_write_b32 v0, v43
	s_trap 2
.LBB11_376:                             ;   in Loop: Header=BB11_81 Depth=1
	s_or_b64 exec, exec, s[56:57]
	;;#ASMSTART
	s_wakeup
	;;#ASMEND
.LBB11_377:                             ;   in Loop: Header=BB11_81 Depth=1
	s_or_b64 exec, exec, s[30:31]
.LBB11_378:                             ;   in Loop: Header=BB11_81 Depth=1
	s_andn2_saveexec_b64 s[28:29], s[28:29]
	s_cbranch_execz .LBB11_380
; %bb.379:                              ;   in Loop: Header=BB11_81 Depth=1
	;;#ASMSTART
	s_waitcnt lgkmcnt(0) vmcnt(0)
	;;#ASMEND
	s_barrier
.LBB11_380:                             ;   in Loop: Header=BB11_81 Depth=1
	s_or_b64 exec, exec, s[28:29]
	s_or_b64 exec, exec, s[26:27]
	v_cmp_ne_u32_e32 vcc, 0, v0
	s_and_saveexec_b64 s[26:27], vcc
	s_cbranch_execz .LBB11_384
.LBB11_381:                             ;   in Loop: Header=BB11_81 Depth=1
	s_and_saveexec_b64 s[28:29], s[10:11]
	s_cbranch_execz .LBB11_383
; %bb.382:                              ;   in Loop: Header=BB11_81 Depth=1
	flat_store_dword v[30:31], v43 sc0 sc1
.LBB11_383:                             ;   in Loop: Header=BB11_81 Depth=1
	s_or_b64 exec, exec, s[28:29]
	v_lshl_add_u64 v[38:39], v[38:39], 0, 4
	flat_store_dwordx2 v[26:27], v[38:39] sc0 sc1
.LBB11_384:                             ;   in Loop: Header=BB11_81 Depth=1
	s_or_b64 exec, exec, s[26:27]
	v_mov_b32_e32 v0, v16
.LBB11_385:                             ;   in Loop: Header=BB11_81 Depth=1
	s_or_b64 exec, exec, s[54:55]
	s_mov_b64 s[26:27], 0
	s_mov_b64 vcc, 0
	s_and_saveexec_b64 s[28:29], s[22:23]
	s_cbranch_execz .LBB11_522
; %bb.386:                              ;   in Loop: Header=BB11_81 Depth=1
	v_and_b32_e32 v2, 8, v62
	v_cmp_ne_u32_e32 vcc, 0, v2
	s_mov_b64 s[30:31], -1
	v_lshl_add_u64 v[4:5], v[38:39], 0, 4
	s_and_saveexec_b64 s[26:27], vcc
	s_cbranch_execz .LBB11_398
; %bb.387:                              ;   in Loop: Header=BB11_81 Depth=1
	v_lshl_add_u64 v[6:7], v[36:37], 0, 8
	v_lshl_add_u64 v[2:3], v[38:39], 0, 4
	v_cmp_lt_u64_e32 vcc, v[6:7], v[2:3]
	v_mov_b32_e32 v6, 1
	s_and_saveexec_b64 s[30:31], vcc
	s_cbranch_execz .LBB11_397
; %bb.388:                              ;   in Loop: Header=BB11_81 Depth=1
	s_mov_b64 s[54:55], 0
	v_mov_b32_e32 v6, 0
                                        ; implicit-def: $sgpr56_sgpr57
	s_branch .LBB11_392
.LBB11_389:                             ;   in Loop: Header=BB11_392 Depth=2
	s_or_b64 exec, exec, s[64:65]
	v_mov_b32_e32 v7, 0
	s_orn2_b64 s[62:63], s[62:63], exec
.LBB11_390:                             ;   in Loop: Header=BB11_392 Depth=2
	s_or_b64 exec, exec, s[60:61]
	s_andn2_b64 vcc, s[56:57], exec
	s_and_b64 s[56:57], s[62:63], exec
	s_or_b64 s[56:57], vcc, s[56:57]
	v_mov_b32_e32 v6, v7
.LBB11_391:                             ;   in Loop: Header=BB11_392 Depth=2
	s_or_b64 exec, exec, s[58:59]
	s_waitcnt vmcnt(0) lgkmcnt(0)
	v_lshl_add_u64 v[8:9], v[36:37], 0, 8
	v_cmp_ge_u64_e32 vcc, v[8:9], v[2:3]
	s_xor_b64 s[58:59], s[56:57], -1
	s_or_b64 vcc, s[58:59], vcc
	s_and_b64 vcc, exec, vcc
	s_or_b64 s[54:55], vcc, s[54:55]
	s_andn2_b64 exec, exec, s[54:55]
	s_cbranch_execz .LBB11_396
.LBB11_392:                             ;   Parent Loop BB11_81 Depth=1
                                        ; =>  This Inner Loop Header: Depth=2
	s_sleep 1
	flat_load_dwordx2 v[36:37], v[26:27] sc0 sc1
	v_and_b32_e32 v7, 64, v62
	v_cmp_eq_u32_e32 vcc, 0, v7
	s_andn2_b64 s[56:57], s[56:57], exec
	s_and_saveexec_b64 s[58:59], vcc
	s_cbranch_execz .LBB11_391
; %bb.393:                              ;   in Loop: Header=BB11_392 Depth=2
	v_add_u32_e32 v7, 1, v6
	v_cmp_lt_i32_e32 vcc, s76, v6
	s_mov_b64 s[62:63], -1
	s_and_saveexec_b64 s[60:61], vcc
	s_cbranch_execz .LBB11_390
; %bb.394:                              ;   in Loop: Header=BB11_392 Depth=2
	s_trap 2
	ds_read_b64 v[6:7], v0
	s_waitcnt vmcnt(0) lgkmcnt(0)
	flat_load_dword v6, v[6:7] sc0 sc1
	s_waitcnt vmcnt(0) lgkmcnt(0)
	buffer_inv sc0 sc1
	v_cmp_ne_u32_e32 vcc, 0, v6
	s_and_saveexec_b64 s[64:65], vcc
	s_cbranch_execz .LBB11_389
; %bb.395:                              ;   in Loop: Header=BB11_392 Depth=2
	v_or_b32_e32 v62, 64, v62
	s_xor_b64 s[62:63], exec, -1
	ds_write_b32 v0, v6
	s_trap 2
	s_branch .LBB11_389
.LBB11_396:                             ;   in Loop: Header=BB11_81 Depth=1
	s_or_b64 exec, exec, s[54:55]
	v_and_b32_e32 v6, 8, v62
.LBB11_397:                             ;   in Loop: Header=BB11_81 Depth=1
	s_or_b64 exec, exec, s[30:31]
	v_cmp_eq_u32_e32 vcc, 0, v6
	s_orn2_b64 s[30:31], vcc, exec
	;;#ASMSTART
	s_wakeup
	;;#ASMEND
.LBB11_398:                             ;   in Loop: Header=BB11_81 Depth=1
	s_or_b64 exec, exec, s[26:27]
	v_sub_u32_e32 v0, v23, v0
	s_xor_b64 s[26:27], s[30:31], -1
	v_min_i32_e32 v2, v16, v0
	s_and_saveexec_b64 s[30:31], s[26:27]
	s_cbranch_execz .LBB11_408
; %bb.399:                              ;   in Loop: Header=BB11_81 Depth=1
	v_and_b32_e32 v0, 0x100, v62
	v_cmp_ne_u32_e32 vcc, 0, v0
	v_and_b32_e32 v0, 7, v38
	s_mov_b64 s[26:27], -1
                                        ; implicit-def: $vgpr18_vgpr19
	s_and_saveexec_b64 s[54:55], vcc
	s_cbranch_execz .LBB11_403
; %bb.400:                              ;   in Loop: Header=BB11_81 Depth=1
	v_mad_u64_u32 v[22:23], s[26:27], v0, 24, v[28:29]
	flat_load_dword v6, v[22:23]
	v_ashrrev_i32_e32 v3, 31, v2
	flat_store_dwordx2 v[22:23], v[2:3] offset:8
                                        ; implicit-def: $vgpr18_vgpr19
	s_waitcnt vmcnt(0) lgkmcnt(0)
	v_cmp_ne_u32_e32 vcc, 1, v6
	v_cmp_eq_u32_e64 s[26:27], 1, v6
	s_and_saveexec_b64 s[56:57], s[26:27]
	s_cbranch_execz .LBB11_402
; %bb.401:                              ;   in Loop: Header=BB11_81 Depth=1
	flat_load_dword v18, v[22:23] offset:4 sc0 sc1
	s_waitcnt vmcnt(0) lgkmcnt(0)
	v_ashrrev_i32_e32 v19, 31, v18
.LBB11_402:                             ;   in Loop: Header=BB11_81 Depth=1
	s_or_b64 exec, exec, s[56:57]
	s_orn2_b64 s[26:27], vcc, exec
	v_accvgpr_read_b32 v23, a35
.LBB11_403:                             ;   in Loop: Header=BB11_81 Depth=1
	s_or_b64 exec, exec, s[54:55]
	s_and_saveexec_b64 vcc, s[26:27]
; %bb.404:                              ;   in Loop: Header=BB11_81 Depth=1
	v_mad_i64_i32 v[18:19], s[26:27], v0, v32, 0
; %bb.405:                              ;   in Loop: Header=BB11_81 Depth=1
	s_or_b64 exec, exec, vcc
	v_lshl_add_u64 v[6:7], v[34:35], 0, v[18:19]
	ds_write_b64 v0, v[6:7] offset:792
	v_and_b32_e32 v0, 0x2000, v62
	v_cmp_ne_u32_e32 vcc, 0, v0
	s_and_saveexec_b64 s[26:27], vcc
	s_cbranch_execz .LBB11_407
; %bb.406:                              ;   in Loop: Header=BB11_81 Depth=1
	ds_read_b64 v[6:7], v0 offset:584
	s_waitcnt lgkmcnt(0)
	v_lshl_add_u64 v[6:7], v[6:7], 0, 1
	ds_write_b64 v0, v[6:7] offset:584
.LBB11_407:                             ;   in Loop: Header=BB11_81 Depth=1
	s_or_b64 exec, exec, s[26:27]
	v_mov_b64_e32 v[38:39], v[4:5]
.LBB11_408:                             ;   in Loop: Header=BB11_81 Depth=1
	s_or_b64 exec, exec, s[30:31]
	s_and_saveexec_b64 s[26:27], s[4:5]
	s_cbranch_execz .LBB11_473
; %bb.409:                              ;   in Loop: Header=BB11_81 Depth=1
	s_and_saveexec_b64 vcc, s[42:43]
	s_xor_b64 s[30:31], exec, vcc
	s_cbranch_execz .LBB11_470
; %bb.410:                              ;   in Loop: Header=BB11_81 Depth=1
	s_and_saveexec_b64 s[54:55], s[12:13]
	s_cbranch_execz .LBB11_469
; %bb.411:                              ;   in Loop: Header=BB11_81 Depth=1
	s_mov_b64 s[58:59], exec
	v_mbcnt_lo_u32_b32 v0, s58, 0
	v_mbcnt_hi_u32_b32 v0, s59, v0
	v_cmp_eq_u32_e32 vcc, 0, v0
	s_waitcnt lgkmcnt(0)
	s_and_saveexec_b64 s[56:57], vcc
	s_cbranch_execz .LBB11_413
; %bb.412:                              ;   in Loop: Header=BB11_81 Depth=1
	s_bcnt1_i32_b64 vcc_lo, s[58:59]
	v_mov_b32_e32 v48, vcc_lo
	ds_add_u64 v0, v[48:49]
	s_trap 2
.LBB11_413:                             ;   in Loop: Header=BB11_81 Depth=1
	s_or_b64 exec, exec, s[56:57]
	s_trap 2
	ds_read_b64 v[4:5], v0
	v_lshl_add_u64 v[14:15], v[14:15], 0, v[50:51]
	s_waitcnt lgkmcnt(0)
	v_cmp_lt_u64_e32 vcc, v[4:5], v[14:15]
	s_and_saveexec_b64 s[56:57], vcc
	s_cbranch_execz .LBB11_468
; %bb.414:                              ;   in Loop: Header=BB11_81 Depth=1
	s_mov_b32 s68, 0
	s_mov_b64 s[58:59], 0
                                        ; implicit-def: $sgpr60_sgpr61
                                        ; implicit-def: $sgpr62_sgpr63
	s_branch .LBB11_416
.LBB11_415:                             ;   in Loop: Header=BB11_416 Depth=2
	s_or_b64 exec, exec, s[66:67]
	s_and_b64 vcc, exec, vcc
	s_or_b64 s[58:59], vcc, s[58:59]
	s_andn2_b64 vcc, s[60:61], exec
	s_and_b64 s[60:61], s[62:63], exec
	s_or_b64 s[60:61], vcc, s[60:61]
	s_andn2_b64 exec, exec, s[58:59]
	s_cbranch_execz .LBB11_466
.LBB11_416:                             ;   Parent Loop BB11_81 Depth=1
                                        ; =>  This Inner Loop Header: Depth=2
	s_add_i32 s68, s68, 1
	s_cmpk_lg_i32 s68, 0x2710
	s_cselect_b64 s[64:65], -1, 0
	s_and_b64 vcc, exec, s[64:65]
                                        ; implicit-def: $sgpr66_sgpr67
	s_cbranch_vccnz .LBB11_418
; %bb.417:                              ;   in Loop: Header=BB11_416 Depth=2
	s_trap 2
	ds_read_b64 v[4:5], v0
	s_andn2_b64 s[64:65], s[64:65], exec
	s_mov_b32 s68, 0
	s_mov_b64 s[66:67], -1
	s_waitcnt vmcnt(0) lgkmcnt(0)
	flat_load_dword v0, v[4:5] sc0 sc1
	s_waitcnt vmcnt(0) lgkmcnt(0)
	buffer_inv sc0 sc1
	v_cmp_eq_u32_e32 vcc, 0, v0
	s_and_b64 vcc, vcc, exec
	s_or_b64 s[64:65], s[64:65], vcc
.LBB11_418:                             ;   in Loop: Header=BB11_416 Depth=2
	s_andn2_b64 s[62:63], s[62:63], exec
	s_and_b64 s[66:67], s[66:67], exec
	s_mov_b64 vcc, -1
	s_or_b64 s[62:63], s[62:63], s[66:67]
	s_and_saveexec_b64 s[66:67], s[64:65]
	s_cbranch_execz .LBB11_415
; %bb.419:                              ;   in Loop: Header=BB11_416 Depth=2
	s_sleep 1
	s_trap 2
	ds_read_b64 v[4:5], v0
	s_andn2_b64 s[62:63], s[62:63], exec
	s_waitcnt lgkmcnt(0)
	v_cmp_ge_u64_e32 vcc, v[4:5], v[14:15]
	s_orn2_b64 vcc, vcc, exec
	s_branch .LBB11_415
.LBB11_420:                             ;   in Loop: Header=BB11_81 Depth=1
	s_or_b64 exec, exec, s[62:63]
	s_and_saveexec_b64 vcc, s[64:65]
	s_xor_b64 vcc, exec, vcc
	s_cbranch_execz .LBB11_422
; %bb.421:                              ;   in Loop: Header=BB11_81 Depth=1
	ds_write_b32 v0, v43
	s_trap 2
.LBB11_422:                             ;   in Loop: Header=BB11_81 Depth=1
	s_or_b64 exec, exec, s[60:61]
	;;#ASMSTART
	s_wakeup
	;;#ASMEND
.LBB11_423:                             ;   in Loop: Header=BB11_81 Depth=1
	s_or_b64 exec, exec, s[58:59]
.LBB11_424:                             ;   in Loop: Header=BB11_81 Depth=1
	s_andn2_saveexec_b64 vcc, s[56:57]
	s_cbranch_execz .LBB11_426
; %bb.425:                              ;   in Loop: Header=BB11_81 Depth=1
	;;#ASMSTART
	s_waitcnt lgkmcnt(0) vmcnt(0)
	;;#ASMEND
	s_barrier
.LBB11_426:                             ;   in Loop: Header=BB11_81 Depth=1
	s_or_b64 exec, exec, vcc
	s_or_b64 exec, exec, s[26:27]
	v_cmp_ne_u32_e32 vcc, 0, v0
	s_and_saveexec_b64 s[26:27], vcc
	s_cbranch_execz .LBB11_430
.LBB11_427:                             ;   in Loop: Header=BB11_81 Depth=1
	s_and_saveexec_b64 vcc, s[10:11]
	s_cbranch_execz .LBB11_429
; %bb.428:                              ;   in Loop: Header=BB11_81 Depth=1
	flat_store_dword v[30:31], v43 sc0 sc1
.LBB11_429:                             ;   in Loop: Header=BB11_81 Depth=1
	s_or_b64 exec, exec, vcc
	v_lshl_add_u64 v[38:39], v[38:39], 0, 4
	flat_store_dwordx2 v[26:27], v[38:39] sc0 sc1
.LBB11_430:                             ;   in Loop: Header=BB11_81 Depth=1
	s_or_b64 exec, exec, s[26:27]
	v_mov_b32_e32 v0, v2
.LBB11_431:                             ;   in Loop: Header=BB11_81 Depth=1
	s_or_b64 exec, exec, s[54:55]
	s_mov_b64 s[26:27], s[30:31]
	s_mov_b64 vcc, s[28:29]
	s_and_saveexec_b64 s[54:55], s[22:23]
	s_cbranch_execz .LBB11_536
; %bb.432:                              ;   in Loop: Header=BB11_81 Depth=1
	v_and_b32_e32 v3, 8, v62
	v_cmp_ne_u32_e32 vcc, 0, v3
	s_mov_b64 s[56:57], -1
	v_lshl_add_u64 v[4:5], v[38:39], 0, 4
	s_and_saveexec_b64 s[26:27], vcc
	s_cbranch_execz .LBB11_444
; %bb.433:                              ;   in Loop: Header=BB11_81 Depth=1
	v_lshl_add_u64 v[6:7], v[36:37], 0, 8
	v_lshl_add_u64 v[18:19], v[38:39], 0, 4
	v_cmp_lt_u64_e32 vcc, v[6:7], v[18:19]
	v_mov_b32_e32 v3, 1
	s_and_saveexec_b64 s[56:57], vcc
	s_cbranch_execz .LBB11_443
; %bb.434:                              ;   in Loop: Header=BB11_81 Depth=1
	s_mov_b64 s[58:59], 0
	v_mov_b32_e32 v3, 0
                                        ; implicit-def: $sgpr60_sgpr61
	s_branch .LBB11_438
.LBB11_435:                             ;   in Loop: Header=BB11_438 Depth=2
	s_or_b64 exec, exec, s[68:69]
	v_mov_b32_e32 v6, 0
	s_orn2_b64 s[66:67], s[66:67], exec
.LBB11_436:                             ;   in Loop: Header=BB11_438 Depth=2
	s_or_b64 exec, exec, s[64:65]
	s_andn2_b64 vcc, s[60:61], exec
	s_and_b64 s[60:61], s[66:67], exec
	s_or_b64 s[60:61], vcc, s[60:61]
	v_mov_b32_e32 v3, v6
.LBB11_437:                             ;   in Loop: Header=BB11_438 Depth=2
	s_or_b64 exec, exec, s[62:63]
	s_waitcnt vmcnt(0) lgkmcnt(0)
	v_lshl_add_u64 v[6:7], v[36:37], 0, 8
	v_cmp_ge_u64_e32 vcc, v[6:7], v[18:19]
	s_xor_b64 s[62:63], s[60:61], -1
	s_or_b64 vcc, s[62:63], vcc
	s_and_b64 vcc, exec, vcc
	s_or_b64 s[58:59], vcc, s[58:59]
	s_andn2_b64 exec, exec, s[58:59]
	s_cbranch_execz .LBB11_442
.LBB11_438:                             ;   Parent Loop BB11_81 Depth=1
                                        ; =>  This Inner Loop Header: Depth=2
	s_sleep 1
	flat_load_dwordx2 v[36:37], v[26:27] sc0 sc1
	v_and_b32_e32 v6, 64, v62
	v_cmp_eq_u32_e32 vcc, 0, v6
	s_andn2_b64 s[60:61], s[60:61], exec
	s_and_saveexec_b64 s[62:63], vcc
	s_cbranch_execz .LBB11_437
; %bb.439:                              ;   in Loop: Header=BB11_438 Depth=2
	v_add_u32_e32 v6, 1, v3
	v_cmp_lt_i32_e32 vcc, s76, v3
	s_mov_b64 s[66:67], -1
	s_and_saveexec_b64 s[64:65], vcc
	s_cbranch_execz .LBB11_436
; %bb.440:                              ;   in Loop: Header=BB11_438 Depth=2
	s_trap 2
	ds_read_b64 v[6:7], v0
	s_waitcnt vmcnt(0) lgkmcnt(0)
	flat_load_dword v3, v[6:7] sc0 sc1
	s_waitcnt vmcnt(0) lgkmcnt(0)
	buffer_inv sc0 sc1
	v_cmp_ne_u32_e32 vcc, 0, v3
	s_and_saveexec_b64 s[68:69], vcc
	s_cbranch_execz .LBB11_435
; %bb.441:                              ;   in Loop: Header=BB11_438 Depth=2
	v_or_b32_e32 v62, 64, v62
	s_xor_b64 s[66:67], exec, -1
	ds_write_b32 v0, v3
	s_trap 2
	s_branch .LBB11_435
.LBB11_442:                             ;   in Loop: Header=BB11_81 Depth=1
	s_or_b64 exec, exec, s[58:59]
	v_and_b32_e32 v3, 8, v62
.LBB11_443:                             ;   in Loop: Header=BB11_81 Depth=1
	s_or_b64 exec, exec, s[56:57]
	v_cmp_eq_u32_e32 vcc, 0, v3
	s_orn2_b64 s[56:57], vcc, exec
	;;#ASMSTART
	s_wakeup
	;;#ASMEND
.LBB11_444:                             ;   in Loop: Header=BB11_81 Depth=1
	s_or_b64 exec, exec, s[26:27]
	v_sub_u32_e32 v0, v23, v0
	s_xor_b64 s[26:27], s[56:57], -1
	v_min_i32_e32 v2, v2, v0
	s_and_saveexec_b64 s[56:57], s[26:27]
	s_cbranch_execz .LBB11_454
; %bb.445:                              ;   in Loop: Header=BB11_81 Depth=1
	v_and_b32_e32 v0, 0x100, v62
	v_cmp_ne_u32_e32 vcc, 0, v0
	v_and_b32_e32 v0, 7, v38
	s_mov_b64 s[26:27], -1
                                        ; implicit-def: $vgpr18_vgpr19
	s_and_saveexec_b64 s[58:59], vcc
	s_cbranch_execz .LBB11_449
; %bb.446:                              ;   in Loop: Header=BB11_81 Depth=1
	v_mad_u64_u32 v[22:23], s[26:27], v0, 24, v[28:29]
	flat_load_dword v6, v[22:23]
	v_ashrrev_i32_e32 v3, 31, v2
	flat_store_dwordx2 v[22:23], v[2:3] offset:8
                                        ; implicit-def: $vgpr18_vgpr19
	s_waitcnt vmcnt(0) lgkmcnt(0)
	v_cmp_ne_u32_e32 vcc, 1, v6
	v_cmp_eq_u32_e64 s[26:27], 1, v6
	s_and_saveexec_b64 s[60:61], s[26:27]
	s_cbranch_execz .LBB11_448
; %bb.447:                              ;   in Loop: Header=BB11_81 Depth=1
	flat_load_dword v18, v[22:23] offset:4 sc0 sc1
	s_waitcnt vmcnt(0) lgkmcnt(0)
	v_ashrrev_i32_e32 v19, 31, v18
.LBB11_448:                             ;   in Loop: Header=BB11_81 Depth=1
	s_or_b64 exec, exec, s[60:61]
	s_orn2_b64 s[26:27], vcc, exec
	v_accvgpr_read_b32 v23, a35
.LBB11_449:                             ;   in Loop: Header=BB11_81 Depth=1
	s_or_b64 exec, exec, s[58:59]
	s_and_saveexec_b64 vcc, s[26:27]
; %bb.450:                              ;   in Loop: Header=BB11_81 Depth=1
	v_mad_i64_i32 v[18:19], s[26:27], v0, v32, 0
; %bb.451:                              ;   in Loop: Header=BB11_81 Depth=1
	s_or_b64 exec, exec, vcc
	v_lshl_add_u64 v[6:7], v[34:35], 0, v[18:19]
	ds_write_b64 v0, v[6:7] offset:784
	v_and_b32_e32 v0, 0x2000, v62
	v_cmp_ne_u32_e32 vcc, 0, v0
	s_and_saveexec_b64 s[26:27], vcc
	s_cbranch_execz .LBB11_453
; %bb.452:                              ;   in Loop: Header=BB11_81 Depth=1
	ds_read_b64 v[6:7], v0 offset:584
	s_waitcnt lgkmcnt(0)
	v_lshl_add_u64 v[6:7], v[6:7], 0, 1
	ds_write_b64 v0, v[6:7] offset:584
.LBB11_453:                             ;   in Loop: Header=BB11_81 Depth=1
	s_or_b64 exec, exec, s[26:27]
	v_mov_b64_e32 v[38:39], v[4:5]
.LBB11_454:                             ;   in Loop: Header=BB11_81 Depth=1
	s_or_b64 exec, exec, s[56:57]
	s_and_saveexec_b64 s[26:27], s[4:5]
	s_cbranch_execz .LBB11_496
; %bb.455:                              ;   in Loop: Header=BB11_81 Depth=1
	s_and_saveexec_b64 vcc, s[42:43]
	s_xor_b64 s[56:57], exec, vcc
	s_cbranch_execz .LBB11_493
; %bb.456:                              ;   in Loop: Header=BB11_81 Depth=1
	s_and_saveexec_b64 s[58:59], s[12:13]
	s_cbranch_execz .LBB11_492
; %bb.457:                              ;   in Loop: Header=BB11_81 Depth=1
	s_mov_b64 s[62:63], exec
	v_mbcnt_lo_u32_b32 v0, s62, 0
	v_mbcnt_hi_u32_b32 v0, s63, v0
	v_cmp_eq_u32_e32 vcc, 0, v0
	s_waitcnt lgkmcnt(0)
	s_and_saveexec_b64 s[60:61], vcc
	s_cbranch_execz .LBB11_459
; %bb.458:                              ;   in Loop: Header=BB11_81 Depth=1
	s_bcnt1_i32_b64 vcc_lo, s[62:63]
	v_mov_b32_e32 v48, vcc_lo
	ds_add_u64 v0, v[48:49]
	s_trap 2
.LBB11_459:                             ;   in Loop: Header=BB11_81 Depth=1
	s_or_b64 exec, exec, s[60:61]
	s_trap 2
	ds_read_b64 v[4:5], v0
	v_lshl_add_u64 v[14:15], v[14:15], 0, v[50:51]
	s_waitcnt lgkmcnt(0)
	v_cmp_lt_u64_e32 vcc, v[4:5], v[14:15]
	s_and_saveexec_b64 s[60:61], vcc
	s_cbranch_execz .LBB11_491
; %bb.460:                              ;   in Loop: Header=BB11_81 Depth=1
	s_mov_b32 s72, 0
	s_mov_b64 s[62:63], 0
                                        ; implicit-def: $sgpr64_sgpr65
                                        ; implicit-def: $sgpr66_sgpr67
	s_branch .LBB11_462
.LBB11_461:                             ;   in Loop: Header=BB11_462 Depth=2
	s_or_b64 exec, exec, s[70:71]
	s_and_b64 vcc, exec, vcc
	s_or_b64 s[62:63], vcc, s[62:63]
	s_andn2_b64 vcc, s[64:65], exec
	s_and_b64 s[64:65], s[66:67], exec
	s_or_b64 s[64:65], vcc, s[64:65]
	s_andn2_b64 exec, exec, s[62:63]
	s_cbranch_execz .LBB11_489
.LBB11_462:                             ;   Parent Loop BB11_81 Depth=1
                                        ; =>  This Inner Loop Header: Depth=2
	s_add_i32 s72, s72, 1
	s_cmpk_lg_i32 s72, 0x2710
	s_cselect_b64 s[68:69], -1, 0
	s_and_b64 vcc, exec, s[68:69]
                                        ; implicit-def: $sgpr70_sgpr71
	s_cbranch_vccnz .LBB11_464
; %bb.463:                              ;   in Loop: Header=BB11_462 Depth=2
	s_trap 2
	ds_read_b64 v[4:5], v0
	s_andn2_b64 s[68:69], s[68:69], exec
	s_mov_b32 s72, 0
	s_mov_b64 s[70:71], -1
	s_waitcnt vmcnt(0) lgkmcnt(0)
	flat_load_dword v0, v[4:5] sc0 sc1
	s_waitcnt vmcnt(0) lgkmcnt(0)
	buffer_inv sc0 sc1
	v_cmp_eq_u32_e32 vcc, 0, v0
	s_and_b64 vcc, vcc, exec
	s_or_b64 s[68:69], s[68:69], vcc
.LBB11_464:                             ;   in Loop: Header=BB11_462 Depth=2
	s_andn2_b64 s[66:67], s[66:67], exec
	s_and_b64 s[70:71], s[70:71], exec
	s_mov_b64 vcc, -1
	s_or_b64 s[66:67], s[66:67], s[70:71]
	s_and_saveexec_b64 s[70:71], s[68:69]
	s_cbranch_execz .LBB11_461
; %bb.465:                              ;   in Loop: Header=BB11_462 Depth=2
	s_sleep 1
	s_trap 2
	ds_read_b64 v[4:5], v0
	s_andn2_b64 s[66:67], s[66:67], exec
	s_waitcnt lgkmcnt(0)
	v_cmp_ge_u64_e32 vcc, v[4:5], v[14:15]
	s_orn2_b64 vcc, vcc, exec
	s_branch .LBB11_461
.LBB11_466:                             ;   in Loop: Header=BB11_81 Depth=1
	s_or_b64 exec, exec, s[58:59]
	s_and_saveexec_b64 vcc, s[60:61]
	s_xor_b64 vcc, exec, vcc
	s_cbranch_execz .LBB11_468
; %bb.467:                              ;   in Loop: Header=BB11_81 Depth=1
	ds_write_b32 v0, v43
	s_trap 2
.LBB11_468:                             ;   in Loop: Header=BB11_81 Depth=1
	s_or_b64 exec, exec, s[56:57]
	;;#ASMSTART
	s_wakeup
	;;#ASMEND
.LBB11_469:                             ;   in Loop: Header=BB11_81 Depth=1
	s_or_b64 exec, exec, s[54:55]
.LBB11_470:                             ;   in Loop: Header=BB11_81 Depth=1
	s_andn2_saveexec_b64 vcc, s[30:31]
	s_cbranch_execz .LBB11_472
; %bb.471:                              ;   in Loop: Header=BB11_81 Depth=1
	s_waitcnt lgkmcnt(0)
	s_barrier
.LBB11_472:                             ;   in Loop: Header=BB11_81 Depth=1
	s_or_b64 exec, exec, vcc
.LBB11_473:                             ;   in Loop: Header=BB11_81 Depth=1
	s_or_b64 exec, exec, s[26:27]
	v_and_b32_e32 v0, 16, v62
	s_and_saveexec_b64 s[26:27], s[20:21]
	s_xor_b64 s[26:27], exec, s[26:27]
	s_cbranch_execz .LBB11_477
; %bb.474:                              ;   in Loop: Header=BB11_81 Depth=1
	s_trap 2
	ds_read_b32 v3, v0
	v_cmp_lt_i32_e32 vcc, 0, v2
	v_and_b32_e32 v2, 16, v62
	v_and_b32_e32 v0, 16, v62
	s_waitcnt lgkmcnt(0)
	v_readfirstlane_b32 s30, v3
	s_cmp_eq_u32 s30, 0
	s_cselect_b64 s[30:31], -1, 0
	s_and_b64 s[30:31], vcc, s[30:31]
	v_cmp_ne_u32_e32 vcc, 0, v2
	s_and_b64 s[30:31], vcc, s[30:31]
	s_and_saveexec_b64 vcc, s[30:31]
	s_cbranch_execz .LBB11_476
; %bb.475:                              ;   in Loop: Header=BB11_81 Depth=1
	v_mov_b32_e32 v0, 1
	buffer_wbl2 sc1
	s_waitcnt vmcnt(0)
	buffer_inv sc1
.LBB11_476:                             ;   in Loop: Header=BB11_81 Depth=1
	s_or_b64 exec, exec, vcc
.LBB11_477:                             ;   in Loop: Header=BB11_81 Depth=1
	s_andn2_saveexec_b64 s[26:27], s[26:27]
	s_cbranch_execz .LBB11_519
; %bb.478:                              ;   in Loop: Header=BB11_81 Depth=1
	s_and_saveexec_b64 vcc, s[42:43]
	s_xor_b64 s[30:31], exec, vcc
	s_cbranch_execz .LBB11_516
; %bb.479:                              ;   in Loop: Header=BB11_81 Depth=1
	s_and_saveexec_b64 s[54:55], s[12:13]
	s_cbranch_execz .LBB11_515
; %bb.480:                              ;   in Loop: Header=BB11_81 Depth=1
	s_mov_b64 s[58:59], exec
	v_mbcnt_lo_u32_b32 v2, s58, 0
	v_mbcnt_hi_u32_b32 v2, s59, v2
	v_cmp_eq_u32_e32 vcc, 0, v2
	;;#ASMSTART
	s_waitcnt lgkmcnt(0) vmcnt(0)
	;;#ASMEND
	s_and_saveexec_b64 s[56:57], vcc
	s_cbranch_execz .LBB11_482
; %bb.481:                              ;   in Loop: Header=BB11_81 Depth=1
	s_bcnt1_i32_b64 vcc_lo, s[58:59]
	v_mov_b32_e32 v48, vcc_lo
	ds_add_u64 v0, v[48:49]
	s_trap 2
.LBB11_482:                             ;   in Loop: Header=BB11_81 Depth=1
	s_or_b64 exec, exec, s[56:57]
	s_trap 2
	ds_read_b64 v[2:3], v0
	v_lshl_add_u64 v[14:15], v[14:15], 0, v[50:51]
	s_waitcnt lgkmcnt(0)
	v_cmp_lt_u64_e32 vcc, v[2:3], v[14:15]
	s_and_saveexec_b64 s[56:57], vcc
	s_cbranch_execz .LBB11_514
; %bb.483:                              ;   in Loop: Header=BB11_81 Depth=1
	s_mov_b32 s68, 0
	s_mov_b64 s[58:59], 0
                                        ; implicit-def: $sgpr60_sgpr61
                                        ; implicit-def: $sgpr62_sgpr63
	s_branch .LBB11_485
.LBB11_484:                             ;   in Loop: Header=BB11_485 Depth=2
	s_or_b64 exec, exec, s[66:67]
	s_and_b64 vcc, exec, vcc
	s_or_b64 s[58:59], vcc, s[58:59]
	s_andn2_b64 vcc, s[60:61], exec
	s_and_b64 s[60:61], s[62:63], exec
	s_or_b64 s[60:61], vcc, s[60:61]
	s_andn2_b64 exec, exec, s[58:59]
	s_cbranch_execz .LBB11_512
.LBB11_485:                             ;   Parent Loop BB11_81 Depth=1
                                        ; =>  This Inner Loop Header: Depth=2
	s_add_i32 s68, s68, 1
	s_cmpk_lg_i32 s68, 0x2710
	s_cselect_b64 s[64:65], -1, 0
	s_and_b64 vcc, exec, s[64:65]
                                        ; implicit-def: $sgpr66_sgpr67
	s_cbranch_vccnz .LBB11_487
; %bb.486:                              ;   in Loop: Header=BB11_485 Depth=2
	s_trap 2
	ds_read_b64 v[2:3], v0
	s_andn2_b64 s[64:65], s[64:65], exec
	s_mov_b32 s68, 0
	s_mov_b64 s[66:67], -1
	s_waitcnt vmcnt(0) lgkmcnt(0)
	flat_load_dword v2, v[2:3] sc0 sc1
	s_waitcnt vmcnt(0) lgkmcnt(0)
	buffer_inv sc0 sc1
	v_cmp_eq_u32_e32 vcc, 0, v2
	s_and_b64 vcc, vcc, exec
	s_or_b64 s[64:65], s[64:65], vcc
.LBB11_487:                             ;   in Loop: Header=BB11_485 Depth=2
	s_andn2_b64 s[62:63], s[62:63], exec
	s_and_b64 s[66:67], s[66:67], exec
	s_mov_b64 vcc, -1
	s_or_b64 s[62:63], s[62:63], s[66:67]
	s_and_saveexec_b64 s[66:67], s[64:65]
	s_cbranch_execz .LBB11_484
; %bb.488:                              ;   in Loop: Header=BB11_485 Depth=2
	s_sleep 1
	s_trap 2
	ds_read_b64 v[2:3], v0
	s_andn2_b64 s[62:63], s[62:63], exec
	s_waitcnt lgkmcnt(0)
	v_cmp_ge_u64_e32 vcc, v[2:3], v[14:15]
	s_orn2_b64 vcc, vcc, exec
	s_branch .LBB11_484
.LBB11_489:                             ;   in Loop: Header=BB11_81 Depth=1
	s_or_b64 exec, exec, s[62:63]
	s_and_saveexec_b64 vcc, s[64:65]
	s_xor_b64 vcc, exec, vcc
	s_cbranch_execz .LBB11_491
; %bb.490:                              ;   in Loop: Header=BB11_81 Depth=1
	ds_write_b32 v0, v43
	s_trap 2
.LBB11_491:                             ;   in Loop: Header=BB11_81 Depth=1
	s_or_b64 exec, exec, s[60:61]
	;;#ASMSTART
	s_wakeup
	;;#ASMEND
.LBB11_492:                             ;   in Loop: Header=BB11_81 Depth=1
	s_or_b64 exec, exec, s[58:59]
.LBB11_493:                             ;   in Loop: Header=BB11_81 Depth=1
	s_andn2_saveexec_b64 vcc, s[56:57]
	s_cbranch_execz .LBB11_495
; %bb.494:                              ;   in Loop: Header=BB11_81 Depth=1
	s_waitcnt lgkmcnt(0)
	s_barrier
.LBB11_495:                             ;   in Loop: Header=BB11_81 Depth=1
	s_or_b64 exec, exec, vcc
.LBB11_496:                             ;   in Loop: Header=BB11_81 Depth=1
	s_or_b64 exec, exec, s[26:27]
	v_and_b32_e32 v0, 16, v62
	s_and_saveexec_b64 s[26:27], s[20:21]
	s_xor_b64 s[26:27], exec, s[26:27]
	s_cbranch_execz .LBB11_500
; %bb.497:                              ;   in Loop: Header=BB11_81 Depth=1
	s_trap 2
	ds_read_b32 v3, v0
	v_cmp_lt_i32_e32 vcc, 0, v2
	v_and_b32_e32 v2, 16, v62
	v_and_b32_e32 v0, 16, v62
	s_waitcnt lgkmcnt(0)
	v_readfirstlane_b32 s56, v3
	s_cmp_eq_u32 s56, 0
	s_cselect_b64 s[56:57], -1, 0
	s_and_b64 s[56:57], vcc, s[56:57]
	v_cmp_ne_u32_e32 vcc, 0, v2
	s_and_b64 s[56:57], vcc, s[56:57]
	s_and_saveexec_b64 vcc, s[56:57]
	s_cbranch_execz .LBB11_499
; %bb.498:                              ;   in Loop: Header=BB11_81 Depth=1
	v_mov_b32_e32 v0, 1
	buffer_wbl2 sc1
	s_waitcnt vmcnt(0)
	buffer_inv sc1
.LBB11_499:                             ;   in Loop: Header=BB11_81 Depth=1
	s_or_b64 exec, exec, vcc
.LBB11_500:                             ;   in Loop: Header=BB11_81 Depth=1
	s_andn2_saveexec_b64 s[26:27], s[26:27]
	s_cbranch_execz .LBB11_533
; %bb.501:                              ;   in Loop: Header=BB11_81 Depth=1
	s_and_saveexec_b64 vcc, s[42:43]
	s_xor_b64 s[56:57], exec, vcc
	s_cbranch_execz .LBB11_530
; %bb.502:                              ;   in Loop: Header=BB11_81 Depth=1
	s_and_saveexec_b64 s[58:59], s[12:13]
	s_cbranch_execz .LBB11_529
; %bb.503:                              ;   in Loop: Header=BB11_81 Depth=1
	s_mov_b64 s[62:63], exec
	v_mbcnt_lo_u32_b32 v2, s62, 0
	v_mbcnt_hi_u32_b32 v2, s63, v2
	v_cmp_eq_u32_e32 vcc, 0, v2
	;;#ASMSTART
	s_waitcnt lgkmcnt(0) vmcnt(0)
	;;#ASMEND
	s_and_saveexec_b64 s[60:61], vcc
	s_cbranch_execz .LBB11_505
; %bb.504:                              ;   in Loop: Header=BB11_81 Depth=1
	s_bcnt1_i32_b64 vcc_lo, s[62:63]
	v_mov_b32_e32 v48, vcc_lo
	ds_add_u64 v0, v[48:49]
	s_trap 2
.LBB11_505:                             ;   in Loop: Header=BB11_81 Depth=1
	s_or_b64 exec, exec, s[60:61]
	s_trap 2
	ds_read_b64 v[2:3], v0
	v_lshl_add_u64 v[14:15], v[14:15], 0, v[50:51]
	s_waitcnt lgkmcnt(0)
	v_cmp_lt_u64_e32 vcc, v[2:3], v[14:15]
	s_and_saveexec_b64 s[60:61], vcc
	s_cbranch_execz .LBB11_528
; %bb.506:                              ;   in Loop: Header=BB11_81 Depth=1
	s_mov_b32 s72, 0
	s_mov_b64 s[62:63], 0
                                        ; implicit-def: $sgpr64_sgpr65
                                        ; implicit-def: $sgpr66_sgpr67
	s_branch .LBB11_508
.LBB11_507:                             ;   in Loop: Header=BB11_508 Depth=2
	s_or_b64 exec, exec, s[70:71]
	s_and_b64 vcc, exec, vcc
	s_or_b64 s[62:63], vcc, s[62:63]
	s_andn2_b64 vcc, s[64:65], exec
	s_and_b64 s[64:65], s[66:67], exec
	s_or_b64 s[64:65], vcc, s[64:65]
	s_andn2_b64 exec, exec, s[62:63]
	s_cbranch_execz .LBB11_526
.LBB11_508:                             ;   Parent Loop BB11_81 Depth=1
                                        ; =>  This Inner Loop Header: Depth=2
	s_add_i32 s72, s72, 1
	s_cmpk_lg_i32 s72, 0x2710
	s_cselect_b64 s[68:69], -1, 0
	s_and_b64 vcc, exec, s[68:69]
                                        ; implicit-def: $sgpr70_sgpr71
	s_cbranch_vccnz .LBB11_510
; %bb.509:                              ;   in Loop: Header=BB11_508 Depth=2
	s_trap 2
	ds_read_b64 v[2:3], v0
	s_andn2_b64 s[68:69], s[68:69], exec
	s_mov_b32 s72, 0
	s_mov_b64 s[70:71], -1
	s_waitcnt vmcnt(0) lgkmcnt(0)
	flat_load_dword v2, v[2:3] sc0 sc1
	s_waitcnt vmcnt(0) lgkmcnt(0)
	buffer_inv sc0 sc1
	v_cmp_eq_u32_e32 vcc, 0, v2
	s_and_b64 vcc, vcc, exec
	s_or_b64 s[68:69], s[68:69], vcc
.LBB11_510:                             ;   in Loop: Header=BB11_508 Depth=2
	s_andn2_b64 s[66:67], s[66:67], exec
	s_and_b64 s[70:71], s[70:71], exec
	s_mov_b64 vcc, -1
	s_or_b64 s[66:67], s[66:67], s[70:71]
	s_and_saveexec_b64 s[70:71], s[68:69]
	s_cbranch_execz .LBB11_507
; %bb.511:                              ;   in Loop: Header=BB11_508 Depth=2
	s_sleep 1
	s_trap 2
	ds_read_b64 v[2:3], v0
	s_andn2_b64 s[66:67], s[66:67], exec
	s_waitcnt lgkmcnt(0)
	v_cmp_ge_u64_e32 vcc, v[2:3], v[14:15]
	s_orn2_b64 vcc, vcc, exec
	s_branch .LBB11_507
.LBB11_512:                             ;   in Loop: Header=BB11_81 Depth=1
	s_or_b64 exec, exec, s[58:59]
	s_and_saveexec_b64 vcc, s[60:61]
	s_xor_b64 vcc, exec, vcc
	s_cbranch_execz .LBB11_514
; %bb.513:                              ;   in Loop: Header=BB11_81 Depth=1
	ds_write_b32 v0, v43
	s_trap 2
.LBB11_514:                             ;   in Loop: Header=BB11_81 Depth=1
	s_or_b64 exec, exec, s[56:57]
	;;#ASMSTART
	s_wakeup
	;;#ASMEND
.LBB11_515:                             ;   in Loop: Header=BB11_81 Depth=1
	s_or_b64 exec, exec, s[54:55]
.LBB11_516:                             ;   in Loop: Header=BB11_81 Depth=1
	s_andn2_saveexec_b64 vcc, s[30:31]
	s_cbranch_execz .LBB11_518
; %bb.517:                              ;   in Loop: Header=BB11_81 Depth=1
	;;#ASMSTART
	s_waitcnt lgkmcnt(0) vmcnt(0)
	;;#ASMEND
	s_barrier
.LBB11_518:                             ;   in Loop: Header=BB11_81 Depth=1
	s_or_b64 exec, exec, vcc
.LBB11_519:                             ;   in Loop: Header=BB11_81 Depth=1
	s_or_b64 exec, exec, s[26:27]
	v_cmp_ne_u32_e32 vcc, 0, v0
	s_mov_b64 s[26:27], 0
	s_mov_b64 s[30:31], 0
	s_and_saveexec_b64 s[54:55], vcc
	s_xor_b64 vcc, exec, s[54:55]
; %bb.520:                              ;   in Loop: Header=BB11_81 Depth=1
	s_and_b64 s[30:31], s[6:7], exec
	s_and_b64 s[26:27], s[10:11], exec
; %bb.521:                              ;   in Loop: Header=BB11_81 Depth=1
	s_or_b64 exec, exec, vcc
	s_and_b64 vcc, s[30:31], exec
	s_and_b64 s[26:27], s[26:27], exec
.LBB11_522:                             ;   in Loop: Header=BB11_81 Depth=1
	s_or_b64 exec, exec, s[28:29]
	s_and_b64 s[28:29], vcc, exec
	s_and_b64 s[30:31], s[26:27], exec
	s_andn2_saveexec_b64 s[52:53], s[52:53]
	s_cbranch_execnz .LBB11_89
.LBB11_523:                             ;   in Loop: Header=BB11_81 Depth=1
	s_or_b64 exec, exec, s[52:53]
	s_and_saveexec_b64 s[26:27], s[30:31]
	s_cbranch_execz .LBB11_537
.LBB11_524:                             ;   in Loop: Header=BB11_81 Depth=1
	s_or_b64 s[28:29], s[28:29], exec
	flat_store_dword v[30:31], v43 sc0 sc1
	s_or_b64 exec, exec, s[26:27]
	s_and_saveexec_b64 s[26:27], s[28:29]
	s_cbranch_execnz .LBB11_538
.LBB11_525:                             ;   in Loop: Header=BB11_81 Depth=1
	s_or_b64 exec, exec, s[26:27]
	s_andn2_b64 vcc, exec, s[48:49]
	s_cbranch_vccz .LBB11_539
	s_branch .LBB11_789
.LBB11_526:                             ;   in Loop: Header=BB11_81 Depth=1
	s_or_b64 exec, exec, s[62:63]
	s_and_saveexec_b64 vcc, s[64:65]
	s_xor_b64 vcc, exec, vcc
	s_cbranch_execz .LBB11_528
; %bb.527:                              ;   in Loop: Header=BB11_81 Depth=1
	ds_write_b32 v0, v43
	s_trap 2
.LBB11_528:                             ;   in Loop: Header=BB11_81 Depth=1
	s_or_b64 exec, exec, s[60:61]
	;;#ASMSTART
	s_wakeup
	;;#ASMEND
.LBB11_529:                             ;   in Loop: Header=BB11_81 Depth=1
	s_or_b64 exec, exec, s[58:59]
.LBB11_530:                             ;   in Loop: Header=BB11_81 Depth=1
	s_andn2_saveexec_b64 vcc, s[56:57]
	s_cbranch_execz .LBB11_532
; %bb.531:                              ;   in Loop: Header=BB11_81 Depth=1
	;;#ASMSTART
	s_waitcnt lgkmcnt(0) vmcnt(0)
	;;#ASMEND
	s_barrier
.LBB11_532:                             ;   in Loop: Header=BB11_81 Depth=1
	s_or_b64 exec, exec, vcc
.LBB11_533:                             ;   in Loop: Header=BB11_81 Depth=1
	s_or_b64 exec, exec, s[26:27]
	v_cmp_ne_u32_e32 vcc, 0, v0
	s_mov_b64 s[26:27], s[30:31]
	s_mov_b64 s[56:57], s[28:29]
	s_and_saveexec_b64 s[58:59], vcc
; %bb.534:                              ;   in Loop: Header=BB11_81 Depth=1
	s_andn2_b64 s[26:27], s[28:29], exec
	s_and_b64 vcc, s[6:7], exec
	s_or_b64 s[56:57], s[26:27], vcc
	s_andn2_b64 s[26:27], s[30:31], exec
	s_and_b64 vcc, s[10:11], exec
	s_or_b64 s[26:27], s[26:27], vcc
; %bb.535:                              ;   in Loop: Header=BB11_81 Depth=1
	s_or_b64 exec, exec, s[58:59]
	s_andn2_b64 vcc, s[28:29], exec
	s_and_b64 s[56:57], s[56:57], exec
	s_or_b64 vcc, vcc, s[56:57]
	s_andn2_b64 s[56:57], s[30:31], exec
	s_and_b64 s[26:27], s[26:27], exec
	s_or_b64 s[26:27], s[56:57], s[26:27]
.LBB11_536:                             ;   in Loop: Header=BB11_81 Depth=1
	s_or_b64 exec, exec, s[54:55]
	s_andn2_b64 s[28:29], s[28:29], exec
	s_and_b64 vcc, vcc, exec
	s_or_b64 s[28:29], s[28:29], vcc
	s_andn2_b64 vcc, s[30:31], exec
	s_and_b64 s[26:27], s[26:27], exec
	s_or_b64 s[30:31], vcc, s[26:27]
	s_or_b64 exec, exec, s[52:53]
	s_and_saveexec_b64 s[26:27], s[30:31]
	s_cbranch_execnz .LBB11_524
.LBB11_537:                             ;   in Loop: Header=BB11_81 Depth=1
	s_or_b64 exec, exec, s[26:27]
	s_and_saveexec_b64 s[26:27], s[28:29]
	s_cbranch_execz .LBB11_525
.LBB11_538:                             ;   in Loop: Header=BB11_81 Depth=1
	v_lshl_add_u64 v[38:39], v[38:39], 0, 4
	flat_store_dwordx2 v[26:27], v[38:39] sc0 sc1
	s_or_b64 exec, exec, s[26:27]
	s_andn2_b64 vcc, exec, s[48:49]
	s_cbranch_vccnz .LBB11_789
.LBB11_539:                             ;   in Loop: Header=BB11_81 Depth=1
	v_min_i32_e32 v44, v10, v23
	v_ashrrev_i32_e32 v45, 31, v44
	s_mov_b32 s68, 1
	v_mov_b32_e32 v4, 0
	v_mov_b32_e32 v0, v10
	s_and_saveexec_b64 s[52:53], s[24:25]
	s_cbranch_execnz .LBB11_613
.LBB11_540:                             ;   in Loop: Header=BB11_81 Depth=1
	s_or_b64 exec, exec, s[52:53]
	s_and_saveexec_b64 s[28:29], s[22:23]
	s_cbranch_execz .LBB11_788
.LBB11_541:                             ;   in Loop: Header=BB11_81 Depth=1
	v_and_b32_e32 v1, 12, v62
	v_cmp_ne_u32_e32 vcc, 0, v1
	s_mov_b64 s[30:31], -1
	s_and_saveexec_b64 s[26:27], vcc
	s_cbranch_execz .LBB11_553
; %bb.542:                              ;   in Loop: Header=BB11_81 Depth=1
	v_and_b32_e32 v48, 8, v62
	v_lshl_add_u64 v[6:7], v[36:37], 0, v[48:49]
	v_lshl_add_u64 v[2:3], v[38:39], 0, 4
	v_cmp_lt_u64_e32 vcc, v[6:7], v[2:3]
	v_mov_b32_e32 v5, 1
	s_and_saveexec_b64 s[30:31], vcc
	s_cbranch_execz .LBB11_552
; %bb.543:                              ;   in Loop: Header=BB11_81 Depth=1
	s_mov_b64 s[52:53], 0
	v_mov_b32_e32 v5, 0
                                        ; implicit-def: $sgpr54_sgpr55
	s_branch .LBB11_547
.LBB11_544:                             ;   in Loop: Header=BB11_547 Depth=2
	s_or_b64 exec, exec, s[62:63]
	v_mov_b32_e32 v6, 0
	s_orn2_b64 s[60:61], s[60:61], exec
.LBB11_545:                             ;   in Loop: Header=BB11_547 Depth=2
	s_or_b64 exec, exec, s[58:59]
	s_andn2_b64 vcc, s[54:55], exec
	s_and_b64 s[54:55], s[60:61], exec
	s_or_b64 s[54:55], vcc, s[54:55]
	v_mov_b32_e32 v5, v6
.LBB11_546:                             ;   in Loop: Header=BB11_547 Depth=2
	s_or_b64 exec, exec, s[56:57]
	s_waitcnt vmcnt(0) lgkmcnt(0)
	v_lshl_add_u64 v[6:7], v[36:37], 0, v[48:49]
	v_cmp_ge_u64_e32 vcc, v[6:7], v[2:3]
	s_xor_b64 s[56:57], s[54:55], -1
	s_or_b64 vcc, s[56:57], vcc
	s_and_b64 vcc, exec, vcc
	s_or_b64 s[52:53], vcc, s[52:53]
	s_andn2_b64 exec, exec, s[52:53]
	s_cbranch_execz .LBB11_551
.LBB11_547:                             ;   Parent Loop BB11_81 Depth=1
                                        ; =>  This Inner Loop Header: Depth=2
	s_sleep 1
	flat_load_dwordx2 v[36:37], v[26:27] sc0 sc1
	v_and_b32_e32 v1, 64, v62
	v_cmp_eq_u32_e32 vcc, 0, v1
	s_andn2_b64 s[54:55], s[54:55], exec
	s_and_saveexec_b64 s[56:57], vcc
	s_cbranch_execz .LBB11_546
; %bb.548:                              ;   in Loop: Header=BB11_547 Depth=2
	v_add_u32_e32 v6, 1, v5
	v_cmp_lt_i32_e32 vcc, s76, v5
	s_mov_b64 s[60:61], -1
	s_and_saveexec_b64 s[58:59], vcc
	s_cbranch_execz .LBB11_545
; %bb.549:                              ;   in Loop: Header=BB11_547 Depth=2
	s_trap 2
	ds_read_b64 v[6:7], v0
	s_waitcnt vmcnt(0) lgkmcnt(0)
	flat_load_dword v5, v[6:7] sc0 sc1
	s_waitcnt vmcnt(0) lgkmcnt(0)
	buffer_inv sc0 sc1
	v_cmp_ne_u32_e32 vcc, 0, v5
	s_and_saveexec_b64 s[62:63], vcc
	s_cbranch_execz .LBB11_544
; %bb.550:                              ;   in Loop: Header=BB11_547 Depth=2
	v_or_b32_e32 v62, 64, v62
	s_xor_b64 s[60:61], exec, -1
	ds_write_b32 v0, v5
	s_trap 2
	s_branch .LBB11_544
.LBB11_551:                             ;   in Loop: Header=BB11_81 Depth=1
	s_or_b64 exec, exec, s[52:53]
	v_and_b32_e32 v5, 12, v62
.LBB11_552:                             ;   in Loop: Header=BB11_81 Depth=1
	s_or_b64 exec, exec, s[30:31]
	v_cmp_eq_u32_e32 vcc, 0, v5
	s_orn2_b64 s[30:31], vcc, exec
	;;#ASMSTART
	s_wakeup
	;;#ASMEND
.LBB11_553:                             ;   in Loop: Header=BB11_81 Depth=1
	s_or_b64 exec, exec, s[26:27]
	v_sub_u32_e32 v1, v23, v4
	s_xor_b64 s[26:27], s[30:31], -1
	v_min_i32_e32 v2, v0, v1
	s_and_saveexec_b64 s[30:31], s[26:27]
	s_cbranch_execz .LBB11_577
; %bb.554:                              ;   in Loop: Header=BB11_81 Depth=1
	v_and_b32_e32 v0, 0x108, v62
	v_cmp_ne_u32_e32 vcc, s77, v0
	v_and_b32_e32 v4, 7, v38
	s_and_saveexec_b64 s[26:27], vcc
	s_xor_b64 s[26:27], exec, s[26:27]
	s_andn2_saveexec_b64 s[26:27], s[26:27]
	s_cbranch_execz .LBB11_556
; %bb.555:                              ;   in Loop: Header=BB11_81 Depth=1
	v_mad_u64_u32 v[6:7], vcc, v4, 24, v[28:29]
	v_ashrrev_i32_e32 v3, 31, v2
	flat_store_dwordx2 v[6:7], v[2:3] offset:8
.LBB11_556:                             ;   in Loop: Header=BB11_81 Depth=1
	s_or_b64 exec, exec, s[26:27]
	v_and_b32_e32 v0, 0x100, v62
	v_cmp_ne_u32_e32 vcc, 0, v0
	s_mov_b64 s[26:27], -1
                                        ; implicit-def: $vgpr18_vgpr19
	s_and_saveexec_b64 s[52:53], vcc
	s_cbranch_execz .LBB11_560
; %bb.557:                              ;   in Loop: Header=BB11_81 Depth=1
	v_mad_u64_u32 v[22:23], s[26:27], v4, 24, v[28:29]
	v_mov_b32_e32 v0, v23
	v_mad_u64_u32 v[6:7], s[26:27], v49, 24, v[0:1]
	v_mov_b32_e32 v23, v6
	flat_load_dword v0, v[22:23]
                                        ; implicit-def: $vgpr18_vgpr19
	s_waitcnt vmcnt(0) lgkmcnt(0)
	v_cmp_ne_u32_e32 vcc, 1, v0
	v_cmp_eq_u32_e64 s[26:27], 1, v0
	s_and_saveexec_b64 s[54:55], s[26:27]
	s_cbranch_execz .LBB11_559
; %bb.558:                              ;   in Loop: Header=BB11_81 Depth=1
	flat_load_dword v18, v[22:23] offset:4 sc0 sc1
	s_waitcnt vmcnt(0) lgkmcnt(0)
	v_ashrrev_i32_e32 v19, 31, v18
.LBB11_559:                             ;   in Loop: Header=BB11_81 Depth=1
	s_or_b64 exec, exec, s[54:55]
	s_orn2_b64 s[26:27], vcc, exec
	v_accvgpr_read_b32 v23, a35
.LBB11_560:                             ;   in Loop: Header=BB11_81 Depth=1
	s_or_b64 exec, exec, s[52:53]
	s_and_saveexec_b64 vcc, s[26:27]
; %bb.561:                              ;   in Loop: Header=BB11_81 Depth=1
	v_accvgpr_read_b32 v1, a21
	v_mul_lo_u32 v0, v49, v32
	v_mul_lo_u32 v1, v4, v1
	v_mad_u64_u32 v[18:19], s[26:27], v4, v32, 0
	v_add3_u32 v19, v19, v1, v0
; %bb.562:                              ;   in Loop: Header=BB11_81 Depth=1
	s_or_b64 exec, exec, vcc
	v_lshl_add_u64 v[4:5], v[34:35], 0, v[18:19]
	s_trap 2
	ds_write_b64 v0, v[4:5]
	v_and_b32_e32 v0, 0x2000, v62
	v_cmp_ne_u32_e32 vcc, 0, v0
	s_and_saveexec_b64 s[26:27], vcc
	s_cbranch_execz .LBB11_564
; %bb.563:                              ;   in Loop: Header=BB11_81 Depth=1
	ds_read_b64 v[4:5], v0 offset:584
	s_waitcnt lgkmcnt(0)
	v_lshl_add_u64 v[4:5], v[4:5], 0, 1
	ds_write_b64 v0, v[4:5] offset:584
.LBB11_564:                             ;   in Loop: Header=BB11_81 Depth=1
	s_or_b64 exec, exec, s[26:27]
	v_lshl_add_u64 v[38:39], v[38:39], 0, 4
	s_or_b64 exec, exec, s[30:31]
	s_and_saveexec_b64 s[26:27], s[4:5]
	s_cbranch_execnz .LBB11_578
.LBB11_565:                             ;   in Loop: Header=BB11_81 Depth=1
	s_or_b64 exec, exec, s[26:27]
                                        ; implicit-def: $vgpr0
	s_and_saveexec_b64 s[26:27], s[50:51]
	s_xor_b64 s[26:27], exec, s[26:27]
	s_cbranch_execz .LBB11_603
.LBB11_566:                             ;   in Loop: Header=BB11_81 Depth=1
	s_and_saveexec_b64 vcc, s[42:43]
	s_xor_b64 s[30:31], exec, vcc
	s_cbranch_execz .LBB11_593
; %bb.567:                              ;   in Loop: Header=BB11_81 Depth=1
	s_and_saveexec_b64 s[52:53], s[12:13]
	s_cbranch_execz .LBB11_592
; %bb.568:                              ;   in Loop: Header=BB11_81 Depth=1
	s_mov_b64 s[56:57], exec
	v_mbcnt_lo_u32_b32 v0, s56, 0
	v_mbcnt_hi_u32_b32 v0, s57, v0
	v_cmp_eq_u32_e32 vcc, 0, v0
	;;#ASMSTART
	s_waitcnt lgkmcnt(0) vmcnt(0)
	;;#ASMEND
	s_and_saveexec_b64 s[54:55], vcc
	s_cbranch_execz .LBB11_570
; %bb.569:                              ;   in Loop: Header=BB11_81 Depth=1
	s_bcnt1_i32_b64 vcc_lo, s[56:57]
	v_mov_b32_e32 v48, vcc_lo
	ds_add_u64 v0, v[48:49]
	s_trap 2
.LBB11_570:                             ;   in Loop: Header=BB11_81 Depth=1
	s_or_b64 exec, exec, s[54:55]
	s_trap 2
	ds_read_b64 v[2:3], v0
	v_lshl_add_u64 v[14:15], v[14:15], 0, v[50:51]
	s_waitcnt lgkmcnt(0)
	v_cmp_lt_u64_e32 vcc, v[2:3], v[14:15]
	s_and_saveexec_b64 s[54:55], vcc
	s_cbranch_execz .LBB11_591
; %bb.571:                              ;   in Loop: Header=BB11_81 Depth=1
	s_mov_b32 s66, 0
	s_mov_b64 s[56:57], 0
                                        ; implicit-def: $sgpr58_sgpr59
                                        ; implicit-def: $sgpr60_sgpr61
	s_branch .LBB11_573
.LBB11_572:                             ;   in Loop: Header=BB11_573 Depth=2
	s_or_b64 exec, exec, s[64:65]
	s_and_b64 vcc, exec, vcc
	s_or_b64 s[56:57], vcc, s[56:57]
	s_andn2_b64 vcc, s[58:59], exec
	s_and_b64 s[58:59], s[60:61], exec
	s_or_b64 s[58:59], vcc, s[58:59]
	s_andn2_b64 exec, exec, s[56:57]
	s_cbranch_execz .LBB11_589
.LBB11_573:                             ;   Parent Loop BB11_81 Depth=1
                                        ; =>  This Inner Loop Header: Depth=2
	s_add_i32 s66, s66, 1
	s_cmpk_lg_i32 s66, 0x2710
	s_cselect_b64 s[62:63], -1, 0
	s_and_b64 vcc, exec, s[62:63]
                                        ; implicit-def: $sgpr64_sgpr65
	s_cbranch_vccnz .LBB11_575
; %bb.574:                              ;   in Loop: Header=BB11_573 Depth=2
	s_trap 2
	ds_read_b64 v[2:3], v0
	s_andn2_b64 s[62:63], s[62:63], exec
	s_mov_b32 s66, 0
	s_mov_b64 s[64:65], -1
	s_waitcnt vmcnt(0) lgkmcnt(0)
	flat_load_dword v0, v[2:3] sc0 sc1
	s_waitcnt vmcnt(0) lgkmcnt(0)
	buffer_inv sc0 sc1
	v_cmp_eq_u32_e32 vcc, 0, v0
	s_and_b64 vcc, vcc, exec
	s_or_b64 s[62:63], s[62:63], vcc
.LBB11_575:                             ;   in Loop: Header=BB11_573 Depth=2
	s_andn2_b64 s[60:61], s[60:61], exec
	s_and_b64 s[64:65], s[64:65], exec
	s_mov_b64 vcc, -1
	s_or_b64 s[60:61], s[60:61], s[64:65]
	s_and_saveexec_b64 s[64:65], s[62:63]
	s_cbranch_execz .LBB11_572
; %bb.576:                              ;   in Loop: Header=BB11_573 Depth=2
	s_sleep 1
	s_trap 2
	ds_read_b64 v[2:3], v0
	s_andn2_b64 s[60:61], s[60:61], exec
	s_waitcnt lgkmcnt(0)
	v_cmp_ge_u64_e32 vcc, v[2:3], v[14:15]
	s_orn2_b64 vcc, vcc, exec
	s_branch .LBB11_572
.LBB11_577:                             ;   in Loop: Header=BB11_81 Depth=1
	s_or_b64 exec, exec, s[30:31]
	s_and_saveexec_b64 s[26:27], s[4:5]
	s_cbranch_execz .LBB11_565
.LBB11_578:                             ;   in Loop: Header=BB11_81 Depth=1
	s_and_saveexec_b64 vcc, s[42:43]
	s_xor_b64 s[30:31], exec, vcc
	s_cbranch_execz .LBB11_600
; %bb.579:                              ;   in Loop: Header=BB11_81 Depth=1
	s_and_saveexec_b64 s[52:53], s[12:13]
	s_cbranch_execz .LBB11_599
; %bb.580:                              ;   in Loop: Header=BB11_81 Depth=1
	s_mov_b64 s[56:57], exec
	v_mbcnt_lo_u32_b32 v0, s56, 0
	v_mbcnt_hi_u32_b32 v0, s57, v0
	v_cmp_eq_u32_e32 vcc, 0, v0
	s_waitcnt lgkmcnt(0)
	s_and_saveexec_b64 s[54:55], vcc
	s_cbranch_execz .LBB11_582
; %bb.581:                              ;   in Loop: Header=BB11_81 Depth=1
	s_bcnt1_i32_b64 vcc_lo, s[56:57]
	v_mov_b32_e32 v48, vcc_lo
	ds_add_u64 v0, v[48:49]
	s_trap 2
.LBB11_582:                             ;   in Loop: Header=BB11_81 Depth=1
	s_or_b64 exec, exec, s[54:55]
	s_trap 2
	ds_read_b64 v[4:5], v0
	v_lshl_add_u64 v[14:15], v[14:15], 0, v[50:51]
	s_waitcnt lgkmcnt(0)
	v_cmp_lt_u64_e32 vcc, v[4:5], v[14:15]
	s_and_saveexec_b64 s[54:55], vcc
	s_cbranch_execz .LBB11_598
; %bb.583:                              ;   in Loop: Header=BB11_81 Depth=1
	s_mov_b32 s66, 0
	s_mov_b64 s[56:57], 0
                                        ; implicit-def: $sgpr58_sgpr59
                                        ; implicit-def: $sgpr60_sgpr61
	s_branch .LBB11_585
.LBB11_584:                             ;   in Loop: Header=BB11_585 Depth=2
	s_or_b64 exec, exec, s[64:65]
	s_and_b64 vcc, exec, vcc
	s_or_b64 s[56:57], vcc, s[56:57]
	s_andn2_b64 vcc, s[58:59], exec
	s_and_b64 s[58:59], s[60:61], exec
	s_or_b64 s[58:59], vcc, s[58:59]
	s_andn2_b64 exec, exec, s[56:57]
	s_cbranch_execz .LBB11_596
.LBB11_585:                             ;   Parent Loop BB11_81 Depth=1
                                        ; =>  This Inner Loop Header: Depth=2
	s_add_i32 s66, s66, 1
	s_cmpk_lg_i32 s66, 0x2710
	s_cselect_b64 s[62:63], -1, 0
	s_and_b64 vcc, exec, s[62:63]
                                        ; implicit-def: $sgpr64_sgpr65
	s_cbranch_vccnz .LBB11_587
; %bb.586:                              ;   in Loop: Header=BB11_585 Depth=2
	s_trap 2
	ds_read_b64 v[4:5], v0
	s_andn2_b64 s[62:63], s[62:63], exec
	s_mov_b32 s66, 0
	s_mov_b64 s[64:65], -1
	s_waitcnt vmcnt(0) lgkmcnt(0)
	flat_load_dword v0, v[4:5] sc0 sc1
	s_waitcnt vmcnt(0) lgkmcnt(0)
	buffer_inv sc0 sc1
	v_cmp_eq_u32_e32 vcc, 0, v0
	s_and_b64 vcc, vcc, exec
	s_or_b64 s[62:63], s[62:63], vcc
.LBB11_587:                             ;   in Loop: Header=BB11_585 Depth=2
	s_andn2_b64 s[60:61], s[60:61], exec
	s_and_b64 s[64:65], s[64:65], exec
	s_mov_b64 vcc, -1
	s_or_b64 s[60:61], s[60:61], s[64:65]
	s_and_saveexec_b64 s[64:65], s[62:63]
	s_cbranch_execz .LBB11_584
; %bb.588:                              ;   in Loop: Header=BB11_585 Depth=2
	s_sleep 1
	s_trap 2
	ds_read_b64 v[4:5], v0
	s_andn2_b64 s[60:61], s[60:61], exec
	s_waitcnt lgkmcnt(0)
	v_cmp_ge_u64_e32 vcc, v[4:5], v[14:15]
	s_orn2_b64 vcc, vcc, exec
	s_branch .LBB11_584
.LBB11_589:                             ;   in Loop: Header=BB11_81 Depth=1
	s_or_b64 exec, exec, s[56:57]
	s_and_saveexec_b64 vcc, s[58:59]
	s_xor_b64 vcc, exec, vcc
	s_cbranch_execz .LBB11_591
; %bb.590:                              ;   in Loop: Header=BB11_81 Depth=1
	ds_write_b32 v0, v43
	s_trap 2
.LBB11_591:                             ;   in Loop: Header=BB11_81 Depth=1
	s_or_b64 exec, exec, s[54:55]
	;;#ASMSTART
	s_wakeup
	;;#ASMEND
.LBB11_592:                             ;   in Loop: Header=BB11_81 Depth=1
	s_or_b64 exec, exec, s[52:53]
.LBB11_593:                             ;   in Loop: Header=BB11_81 Depth=1
	s_andn2_saveexec_b64 vcc, s[30:31]
	s_cbranch_execz .LBB11_595
; %bb.594:                              ;   in Loop: Header=BB11_81 Depth=1
	;;#ASMSTART
	s_waitcnt lgkmcnt(0) vmcnt(0)
	;;#ASMEND
	s_barrier
.LBB11_595:                             ;   in Loop: Header=BB11_81 Depth=1
	s_or_b64 exec, exec, vcc
	v_and_b32_e32 v0, 16, v62
                                        ; implicit-def: $vgpr2
	s_andn2_saveexec_b64 s[26:27], s[26:27]
	s_cbranch_execz .LBB11_607
	s_branch .LBB11_604
.LBB11_596:                             ;   in Loop: Header=BB11_81 Depth=1
	s_or_b64 exec, exec, s[56:57]
	s_and_saveexec_b64 vcc, s[58:59]
	s_xor_b64 vcc, exec, vcc
	s_cbranch_execz .LBB11_598
; %bb.597:                              ;   in Loop: Header=BB11_81 Depth=1
	ds_write_b32 v0, v43
	s_trap 2
.LBB11_598:                             ;   in Loop: Header=BB11_81 Depth=1
	s_or_b64 exec, exec, s[54:55]
	;;#ASMSTART
	s_wakeup
	;;#ASMEND
.LBB11_599:                             ;   in Loop: Header=BB11_81 Depth=1
	s_or_b64 exec, exec, s[52:53]
.LBB11_600:                             ;   in Loop: Header=BB11_81 Depth=1
	s_andn2_saveexec_b64 vcc, s[30:31]
	s_cbranch_execz .LBB11_602
; %bb.601:                              ;   in Loop: Header=BB11_81 Depth=1
	s_waitcnt lgkmcnt(0)
	s_barrier
.LBB11_602:                             ;   in Loop: Header=BB11_81 Depth=1
	s_or_b64 exec, exec, vcc
	s_or_b64 exec, exec, s[26:27]
                                        ; implicit-def: $vgpr0
	s_and_saveexec_b64 s[26:27], s[50:51]
	s_xor_b64 s[26:27], exec, s[26:27]
	s_cbranch_execnz .LBB11_566
.LBB11_603:                             ;   in Loop: Header=BB11_81 Depth=1
	s_andn2_saveexec_b64 s[26:27], s[26:27]
	s_cbranch_execz .LBB11_607
.LBB11_604:                             ;   in Loop: Header=BB11_81 Depth=1
	s_trap 2
	ds_read_b32 v1, v0
	v_cmp_lt_i32_e32 vcc, 0, v2
	v_and_b32_e32 v2, 16, v62
	v_and_b32_e32 v0, 16, v62
	s_waitcnt lgkmcnt(0)
	v_readfirstlane_b32 s30, v1
	s_cmp_eq_u32 s30, 0
	s_cselect_b64 s[30:31], -1, 0
	s_and_b64 s[30:31], vcc, s[30:31]
	v_cmp_ne_u32_e32 vcc, 0, v2
	s_and_b64 s[30:31], vcc, s[30:31]
	s_and_saveexec_b64 vcc, s[30:31]
	s_cbranch_execz .LBB11_606
; %bb.605:                              ;   in Loop: Header=BB11_81 Depth=1
	v_mov_b32_e32 v0, 1
	buffer_wbl2 sc1
	s_waitcnt vmcnt(0)
	buffer_inv sc1
.LBB11_606:                             ;   in Loop: Header=BB11_81 Depth=1
	s_or_b64 exec, exec, vcc
.LBB11_607:                             ;   in Loop: Header=BB11_81 Depth=1
	s_or_b64 exec, exec, s[26:27]
	v_cmp_ne_u32_e32 vcc, 0, v0
	s_xor_b64 s[26:27], s[6:7], -1
	s_and_b64 vcc, vcc, s[26:27]
	s_and_saveexec_b64 s[26:27], vcc
	s_cbranch_execz .LBB11_609
; %bb.608:                              ;   in Loop: Header=BB11_81 Depth=1
	flat_store_dword v[30:31], v43 sc0 sc1
.LBB11_609:                             ;   in Loop: Header=BB11_81 Depth=1
	s_or_b64 exec, exec, s[26:27]
	v_and_b32_e32 v0, 48, v62
	v_cmp_ne_u32_e32 vcc, 0, v0
	s_and_saveexec_b64 s[26:27], vcc
	s_cbranch_execz .LBB11_611
; %bb.610:                              ;   in Loop: Header=BB11_81 Depth=1
	v_lshl_add_u64 v[38:39], v[38:39], 0, 4
	flat_store_dwordx2 v[26:27], v[38:39] sc0 sc1
.LBB11_611:                             ;   in Loop: Header=BB11_81 Depth=1
	s_or_b64 exec, exec, s[26:27]
	s_or_b64 exec, exec, s[28:29]
	s_add_i32 s26, s68, 1
	s_cmp_eq_u32 s68, s79
	s_cbranch_scc1 .LBB11_789
.LBB11_612:                             ;   in Loop: Header=BB11_81 Depth=1
	s_mov_b32 s68, s26
	v_mov_b32_e32 v4, 0
	v_mov_b32_e32 v0, v10
	s_and_saveexec_b64 s[52:53], s[24:25]
	s_cbranch_execz .LBB11_540
.LBB11_613:                             ;   in Loop: Header=BB11_81 Depth=1
	s_and_saveexec_b64 s[26:27], s[0:1]
	s_cbranch_execz .LBB11_615
; %bb.614:                              ;   in Loop: Header=BB11_81 Depth=1
	s_sub_i32 s28, s74, s68
	s_ashr_i32 s29, s28, 31
	s_lshl_b64 s[28:29], s[28:29], 2
	v_lshl_add_u64 v[2:3], v[52:53], 0, s[28:29]
	flat_load_dword v0, v[2:3]
	s_trap 2
	v_accvgpr_read_b32 v6, a38
	v_accvgpr_read_b32 v7, a39
	s_waitcnt vmcnt(0) lgkmcnt(0)
	ds_read_b128 v[2:5], v0
	v_ashrrev_i32_e32 v8, 31, v0
	v_mul_lo_u32 v9, v21, v0
	v_mad_u64_u32 v[6:7], s[28:29], v20, v0, v[6:7]
	v_mul_lo_u32 v0, v20, v8
	v_add3_u32 v7, v9, v7, v0
	s_waitcnt lgkmcnt(0)
	v_lshl_add_u64 v[2:3], v[2:3], 0, v[6:7]
	v_lshl_add_u64 v[6:7], v[4:5], 0, v[6:7]
	v_cmp_ne_u64_e32 vcc, 0, v[4:5]
	ds_write_b64 v0, v[2:3]
	s_nop 0
	v_cndmask_b32_e32 v3, 0, v7, vcc
	v_cndmask_b32_e32 v2, 0, v6, vcc
	ds_write_b64 v0, v[2:3]
.LBB11_615:                             ;   in Loop: Header=BB11_81 Depth=1
	s_or_b64 exec, exec, s[26:27]
	v_and_b32_e32 v0, 12, v62
	v_cmp_ne_u32_e32 vcc, 0, v0
	s_mov_b64 s[28:29], -1
	s_and_saveexec_b64 s[26:27], vcc
	s_cbranch_execz .LBB11_625
; %bb.616:                              ;   in Loop: Header=BB11_81 Depth=1
	v_and_b32_e32 v48, 8, v62
	v_lshl_add_u64 v[4:5], v[36:37], 0, v[48:49]
	v_lshl_add_u64 v[2:3], v[38:39], 0, 4
	v_cmp_lt_u64_e32 vcc, v[4:5], v[2:3]
	v_mov_b32_e32 v0, 1
	s_and_saveexec_b64 s[28:29], vcc
	s_cbranch_execz .LBB11_638
; %bb.617:                              ;   in Loop: Header=BB11_81 Depth=1
	s_mov_b64 s[30:31], 0
	v_mov_b32_e32 v0, 0
                                        ; implicit-def: $sgpr54_sgpr55
	s_branch .LBB11_621
.LBB11_618:                             ;   in Loop: Header=BB11_621 Depth=2
	s_or_b64 exec, exec, s[62:63]
	v_mov_b32_e32 v4, 0
	s_orn2_b64 s[60:61], s[60:61], exec
.LBB11_619:                             ;   in Loop: Header=BB11_621 Depth=2
	s_or_b64 exec, exec, s[58:59]
	s_andn2_b64 vcc, s[54:55], exec
	s_and_b64 s[54:55], s[60:61], exec
	s_or_b64 s[54:55], vcc, s[54:55]
	v_mov_b32_e32 v0, v4
.LBB11_620:                             ;   in Loop: Header=BB11_621 Depth=2
	s_or_b64 exec, exec, s[56:57]
	s_waitcnt vmcnt(0) lgkmcnt(0)
	v_lshl_add_u64 v[4:5], v[36:37], 0, v[48:49]
	v_cmp_ge_u64_e32 vcc, v[4:5], v[2:3]
	s_xor_b64 s[56:57], s[54:55], -1
	s_or_b64 vcc, s[56:57], vcc
	s_and_b64 vcc, exec, vcc
	s_or_b64 s[30:31], vcc, s[30:31]
	s_andn2_b64 exec, exec, s[30:31]
	s_cbranch_execz .LBB11_637
.LBB11_621:                             ;   Parent Loop BB11_81 Depth=1
                                        ; =>  This Inner Loop Header: Depth=2
	s_sleep 1
	flat_load_dwordx2 v[36:37], v[26:27] sc0 sc1
	v_and_b32_e32 v4, 64, v62
	v_cmp_eq_u32_e32 vcc, 0, v4
	s_andn2_b64 s[54:55], s[54:55], exec
	s_and_saveexec_b64 s[56:57], vcc
	s_cbranch_execz .LBB11_620
; %bb.622:                              ;   in Loop: Header=BB11_621 Depth=2
	v_add_u32_e32 v4, 1, v0
	v_cmp_lt_i32_e32 vcc, s76, v0
	s_mov_b64 s[60:61], -1
	s_and_saveexec_b64 s[58:59], vcc
	s_cbranch_execz .LBB11_619
; %bb.623:                              ;   in Loop: Header=BB11_621 Depth=2
	s_trap 2
	ds_read_b64 v[4:5], v0
	s_waitcnt vmcnt(0) lgkmcnt(0)
	flat_load_dword v0, v[4:5] sc0 sc1
	s_waitcnt vmcnt(0) lgkmcnt(0)
	buffer_inv sc0 sc1
	v_cmp_ne_u32_e32 vcc, 0, v0
	s_and_saveexec_b64 s[62:63], vcc
	s_cbranch_execz .LBB11_618
; %bb.624:                              ;   in Loop: Header=BB11_621 Depth=2
	v_or_b32_e32 v62, 64, v62
	s_xor_b64 s[60:61], exec, -1
	ds_write_b32 v0, v0
	s_trap 2
	s_branch .LBB11_618
.LBB11_625:                             ;   in Loop: Header=BB11_81 Depth=1
	s_or_b64 exec, exec, s[26:27]
	s_xor_b64 s[26:27], s[28:29], -1
	s_and_saveexec_b64 s[28:29], s[26:27]
	s_cbranch_execz .LBB11_639
.LBB11_626:                             ;   in Loop: Header=BB11_81 Depth=1
	v_and_b32_e32 v0, 0x108, v62
	v_cmp_ne_u32_e32 vcc, s77, v0
	v_and_b32_e32 v2, 7, v38
	s_and_saveexec_b64 s[26:27], vcc
	s_xor_b64 s[26:27], exec, s[26:27]
	s_andn2_saveexec_b64 s[26:27], s[26:27]
	s_cbranch_execz .LBB11_628
; %bb.627:                              ;   in Loop: Header=BB11_81 Depth=1
	v_mad_u64_u32 v[4:5], vcc, v2, 24, v[28:29]
	flat_store_dwordx2 v[4:5], v[44:45] offset:8
.LBB11_628:                             ;   in Loop: Header=BB11_81 Depth=1
	s_or_b64 exec, exec, s[26:27]
	v_and_b32_e32 v0, 0x100, v62
	v_cmp_ne_u32_e32 vcc, 0, v0
	s_mov_b64 s[26:27], -1
                                        ; implicit-def: $vgpr4_vgpr5
	s_and_saveexec_b64 s[30:31], vcc
	s_cbranch_execz .LBB11_632
; %bb.629:                              ;   in Loop: Header=BB11_81 Depth=1
	v_mad_u64_u32 v[18:19], s[26:27], v2, 24, v[28:29]
	v_mov_b32_e32 v0, v19
	v_mad_u64_u32 v[4:5], s[26:27], v49, 24, v[0:1]
	v_mov_b32_e32 v19, v4
	flat_load_dword v0, v[18:19]
                                        ; implicit-def: $vgpr4_vgpr5
	s_waitcnt vmcnt(0) lgkmcnt(0)
	v_cmp_ne_u32_e32 vcc, 1, v0
	v_cmp_eq_u32_e64 s[26:27], 1, v0
	s_and_saveexec_b64 s[54:55], s[26:27]
	s_cbranch_execz .LBB11_631
; %bb.630:                              ;   in Loop: Header=BB11_81 Depth=1
	flat_load_dword v4, v[18:19] offset:4 sc0 sc1
	s_waitcnt vmcnt(0) lgkmcnt(0)
	v_ashrrev_i32_e32 v5, 31, v4
.LBB11_631:                             ;   in Loop: Header=BB11_81 Depth=1
	s_or_b64 exec, exec, s[54:55]
	s_orn2_b64 s[26:27], vcc, exec
.LBB11_632:                             ;   in Loop: Header=BB11_81 Depth=1
	s_or_b64 exec, exec, s[30:31]
	s_and_saveexec_b64 vcc, s[26:27]
; %bb.633:                              ;   in Loop: Header=BB11_81 Depth=1
	v_accvgpr_read_b32 v1, a21
	v_mul_lo_u32 v0, v49, v32
	v_mul_lo_u32 v3, v2, v1
	v_mad_u64_u32 v[4:5], s[26:27], v2, v32, 0
	v_add3_u32 v5, v5, v3, v0
; %bb.634:                              ;   in Loop: Header=BB11_81 Depth=1
	s_or_b64 exec, exec, vcc
	v_lshl_add_u64 v[2:3], v[34:35], 0, v[4:5]
	s_trap 2
	ds_write_b64 v0, v[2:3]
	v_and_b32_e32 v0, 0x2000, v62
	v_cmp_ne_u32_e32 vcc, 0, v0
	s_and_saveexec_b64 s[26:27], vcc
	s_cbranch_execz .LBB11_636
; %bb.635:                              ;   in Loop: Header=BB11_81 Depth=1
	ds_read_b64 v[2:3], v0 offset:584
	s_waitcnt lgkmcnt(0)
	v_lshl_add_u64 v[2:3], v[2:3], 0, 1
	ds_write_b64 v0, v[2:3] offset:584
.LBB11_636:                             ;   in Loop: Header=BB11_81 Depth=1
	s_or_b64 exec, exec, s[26:27]
	v_lshl_add_u64 v[38:39], v[38:39], 0, 4
	s_or_b64 exec, exec, s[28:29]
	s_and_saveexec_b64 s[26:27], s[4:5]
	s_cbranch_execz .LBB11_658
	s_branch .LBB11_640
.LBB11_637:                             ;   in Loop: Header=BB11_81 Depth=1
	s_or_b64 exec, exec, s[30:31]
	v_and_b32_e32 v0, 12, v62
.LBB11_638:                             ;   in Loop: Header=BB11_81 Depth=1
	s_or_b64 exec, exec, s[28:29]
	v_cmp_eq_u32_e32 vcc, 0, v0
	s_orn2_b64 s[28:29], vcc, exec
	;;#ASMSTART
	s_wakeup
	;;#ASMEND
	s_or_b64 exec, exec, s[26:27]
	s_xor_b64 s[26:27], s[28:29], -1
	s_and_saveexec_b64 s[28:29], s[26:27]
	s_cbranch_execnz .LBB11_626
.LBB11_639:                             ;   in Loop: Header=BB11_81 Depth=1
	s_or_b64 exec, exec, s[28:29]
	s_and_saveexec_b64 s[26:27], s[4:5]
	s_cbranch_execz .LBB11_658
.LBB11_640:                             ;   in Loop: Header=BB11_81 Depth=1
	s_and_saveexec_b64 s[28:29], s[42:43]
	s_xor_b64 s[28:29], exec, s[28:29]
	s_cbranch_execz .LBB11_655
; %bb.641:                              ;   in Loop: Header=BB11_81 Depth=1
	s_and_saveexec_b64 s[30:31], s[12:13]
	s_cbranch_execz .LBB11_654
; %bb.642:                              ;   in Loop: Header=BB11_81 Depth=1
	s_mov_b64 s[56:57], exec
	v_mbcnt_lo_u32_b32 v0, s56, 0
	v_mbcnt_hi_u32_b32 v0, s57, v0
	v_cmp_eq_u32_e32 vcc, 0, v0
	s_waitcnt lgkmcnt(0)
	s_and_saveexec_b64 s[54:55], vcc
	s_cbranch_execz .LBB11_644
; %bb.643:                              ;   in Loop: Header=BB11_81 Depth=1
	s_bcnt1_i32_b64 vcc_lo, s[56:57]
	v_mov_b32_e32 v48, vcc_lo
	ds_add_u64 v0, v[48:49]
	s_trap 2
.LBB11_644:                             ;   in Loop: Header=BB11_81 Depth=1
	s_or_b64 exec, exec, s[54:55]
	s_trap 2
	ds_read_b64 v[2:3], v0
	v_lshl_add_u64 v[14:15], v[14:15], 0, v[50:51]
	s_waitcnt lgkmcnt(0)
	v_cmp_lt_u64_e32 vcc, v[2:3], v[14:15]
	s_and_saveexec_b64 s[54:55], vcc
	s_cbranch_execz .LBB11_653
; %bb.645:                              ;   in Loop: Header=BB11_81 Depth=1
	s_mov_b32 s66, 0
	s_mov_b64 s[56:57], 0
                                        ; implicit-def: $sgpr58_sgpr59
                                        ; implicit-def: $sgpr60_sgpr61
	s_branch .LBB11_647
.LBB11_646:                             ;   in Loop: Header=BB11_647 Depth=2
	s_or_b64 exec, exec, s[64:65]
	s_and_b64 vcc, exec, vcc
	s_or_b64 s[56:57], vcc, s[56:57]
	s_andn2_b64 vcc, s[58:59], exec
	s_and_b64 s[58:59], s[60:61], exec
	s_or_b64 s[58:59], vcc, s[58:59]
	s_andn2_b64 exec, exec, s[56:57]
	s_cbranch_execz .LBB11_651
.LBB11_647:                             ;   Parent Loop BB11_81 Depth=1
                                        ; =>  This Inner Loop Header: Depth=2
	s_add_i32 s66, s66, 1
	s_cmpk_lg_i32 s66, 0x2710
	s_cselect_b64 s[62:63], -1, 0
	s_and_b64 vcc, exec, s[62:63]
                                        ; implicit-def: $sgpr64_sgpr65
	s_cbranch_vccnz .LBB11_649
; %bb.648:                              ;   in Loop: Header=BB11_647 Depth=2
	s_trap 2
	ds_read_b64 v[2:3], v0
	s_andn2_b64 s[62:63], s[62:63], exec
	s_mov_b32 s66, 0
	s_mov_b64 s[64:65], -1
	s_waitcnt vmcnt(0) lgkmcnt(0)
	flat_load_dword v0, v[2:3] sc0 sc1
	s_waitcnt vmcnt(0) lgkmcnt(0)
	buffer_inv sc0 sc1
	v_cmp_eq_u32_e32 vcc, 0, v0
	s_and_b64 vcc, vcc, exec
	s_or_b64 s[62:63], s[62:63], vcc
.LBB11_649:                             ;   in Loop: Header=BB11_647 Depth=2
	s_andn2_b64 s[60:61], s[60:61], exec
	s_and_b64 s[64:65], s[64:65], exec
	s_mov_b64 vcc, -1
	s_or_b64 s[60:61], s[60:61], s[64:65]
	s_and_saveexec_b64 s[64:65], s[62:63]
	s_cbranch_execz .LBB11_646
; %bb.650:                              ;   in Loop: Header=BB11_647 Depth=2
	s_sleep 1
	s_trap 2
	ds_read_b64 v[2:3], v0
	s_andn2_b64 s[60:61], s[60:61], exec
	s_waitcnt lgkmcnt(0)
	v_cmp_ge_u64_e32 vcc, v[2:3], v[14:15]
	s_orn2_b64 vcc, vcc, exec
	s_branch .LBB11_646
.LBB11_651:                             ;   in Loop: Header=BB11_81 Depth=1
	s_or_b64 exec, exec, s[56:57]
	s_and_saveexec_b64 vcc, s[58:59]
	s_xor_b64 vcc, exec, vcc
	s_cbranch_execz .LBB11_653
; %bb.652:                              ;   in Loop: Header=BB11_81 Depth=1
	ds_write_b32 v0, v43
	s_trap 2
.LBB11_653:                             ;   in Loop: Header=BB11_81 Depth=1
	s_or_b64 exec, exec, s[54:55]
	;;#ASMSTART
	s_wakeup
	;;#ASMEND
.LBB11_654:                             ;   in Loop: Header=BB11_81 Depth=1
	s_or_b64 exec, exec, s[30:31]
.LBB11_655:                             ;   in Loop: Header=BB11_81 Depth=1
	s_andn2_saveexec_b64 s[28:29], s[28:29]
	s_cbranch_execz .LBB11_657
; %bb.656:                              ;   in Loop: Header=BB11_81 Depth=1
	s_waitcnt lgkmcnt(0)
	s_barrier
.LBB11_657:                             ;   in Loop: Header=BB11_81 Depth=1
	s_or_b64 exec, exec, s[28:29]
.LBB11_658:                             ;   in Loop: Header=BB11_81 Depth=1
	s_or_b64 exec, exec, s[26:27]
	s_trap 2
	ds_read_b32 v0, v0
	v_and_b32_e32 v2, 0x4000, v62
	v_cmp_ne_u32_e32 vcc, 0, v2
	s_xor_b64 s[26:27], s[2:3], -1
	s_and_b64 s[28:29], s[26:27], vcc
	s_and_saveexec_b64 s[26:27], s[28:29]
	s_cbranch_execz .LBB11_677
; %bb.659:                              ;   in Loop: Header=BB11_81 Depth=1
	s_and_saveexec_b64 s[28:29], s[42:43]
	s_xor_b64 s[28:29], exec, s[28:29]
	s_cbranch_execz .LBB11_674
; %bb.660:                              ;   in Loop: Header=BB11_81 Depth=1
	s_and_saveexec_b64 s[30:31], s[12:13]
	s_cbranch_execz .LBB11_673
; %bb.661:                              ;   in Loop: Header=BB11_81 Depth=1
	s_mov_b64 s[56:57], exec
	v_mbcnt_lo_u32_b32 v2, s56, 0
	v_mbcnt_hi_u32_b32 v2, s57, v2
	v_cmp_eq_u32_e32 vcc, 0, v2
	s_waitcnt lgkmcnt(0)
	s_and_saveexec_b64 s[54:55], vcc
	s_cbranch_execz .LBB11_663
; %bb.662:                              ;   in Loop: Header=BB11_81 Depth=1
	s_bcnt1_i32_b64 vcc_lo, s[56:57]
	v_mov_b32_e32 v48, vcc_lo
	ds_add_u64 v0, v[48:49]
	s_trap 2
.LBB11_663:                             ;   in Loop: Header=BB11_81 Depth=1
	s_or_b64 exec, exec, s[54:55]
	s_trap 2
	ds_read_b64 v[2:3], v0
	v_lshl_add_u64 v[14:15], v[14:15], 0, v[50:51]
	s_waitcnt lgkmcnt(0)
	v_cmp_lt_u64_e32 vcc, v[2:3], v[14:15]
	s_and_saveexec_b64 s[54:55], vcc
	s_cbranch_execz .LBB11_672
; %bb.664:                              ;   in Loop: Header=BB11_81 Depth=1
	s_mov_b32 s66, 0
	s_mov_b64 s[56:57], 0
                                        ; implicit-def: $sgpr58_sgpr59
                                        ; implicit-def: $sgpr60_sgpr61
	s_branch .LBB11_666
.LBB11_665:                             ;   in Loop: Header=BB11_666 Depth=2
	s_or_b64 exec, exec, s[64:65]
	s_and_b64 vcc, exec, vcc
	s_or_b64 s[56:57], vcc, s[56:57]
	s_andn2_b64 vcc, s[58:59], exec
	s_and_b64 s[58:59], s[60:61], exec
	s_or_b64 s[58:59], vcc, s[58:59]
	s_andn2_b64 exec, exec, s[56:57]
	s_cbranch_execz .LBB11_670
.LBB11_666:                             ;   Parent Loop BB11_81 Depth=1
                                        ; =>  This Inner Loop Header: Depth=2
	s_add_i32 s66, s66, 1
	s_cmpk_lg_i32 s66, 0x2710
	s_cselect_b64 s[62:63], -1, 0
	s_and_b64 vcc, exec, s[62:63]
                                        ; implicit-def: $sgpr64_sgpr65
	s_cbranch_vccnz .LBB11_668
; %bb.667:                              ;   in Loop: Header=BB11_666 Depth=2
	s_trap 2
	ds_read_b64 v[2:3], v0
	s_andn2_b64 s[62:63], s[62:63], exec
	s_mov_b32 s66, 0
	s_mov_b64 s[64:65], -1
	s_waitcnt vmcnt(0) lgkmcnt(0)
	flat_load_dword v2, v[2:3] sc0 sc1
	s_waitcnt vmcnt(0) lgkmcnt(0)
	buffer_inv sc0 sc1
	v_cmp_eq_u32_e32 vcc, 0, v2
	s_and_b64 vcc, vcc, exec
	s_or_b64 s[62:63], s[62:63], vcc
.LBB11_668:                             ;   in Loop: Header=BB11_666 Depth=2
	s_andn2_b64 s[60:61], s[60:61], exec
	s_and_b64 s[64:65], s[64:65], exec
	s_mov_b64 vcc, -1
	s_or_b64 s[60:61], s[60:61], s[64:65]
	s_and_saveexec_b64 s[64:65], s[62:63]
	s_cbranch_execz .LBB11_665
; %bb.669:                              ;   in Loop: Header=BB11_666 Depth=2
	s_sleep 1
	s_trap 2
	ds_read_b64 v[2:3], v0
	s_andn2_b64 s[60:61], s[60:61], exec
	s_waitcnt lgkmcnt(0)
	v_cmp_ge_u64_e32 vcc, v[2:3], v[14:15]
	s_orn2_b64 vcc, vcc, exec
	s_branch .LBB11_665
.LBB11_670:                             ;   in Loop: Header=BB11_81 Depth=1
	s_or_b64 exec, exec, s[56:57]
	s_and_saveexec_b64 vcc, s[58:59]
	s_xor_b64 vcc, exec, vcc
	s_cbranch_execz .LBB11_672
; %bb.671:                              ;   in Loop: Header=BB11_81 Depth=1
	ds_write_b32 v0, v43
	s_trap 2
.LBB11_672:                             ;   in Loop: Header=BB11_81 Depth=1
	s_or_b64 exec, exec, s[54:55]
	;;#ASMSTART
	s_wakeup
	;;#ASMEND
.LBB11_673:                             ;   in Loop: Header=BB11_81 Depth=1
	s_or_b64 exec, exec, s[30:31]
.LBB11_674:                             ;   in Loop: Header=BB11_81 Depth=1
	s_andn2_saveexec_b64 s[28:29], s[28:29]
	s_cbranch_execz .LBB11_676
; %bb.675:                              ;   in Loop: Header=BB11_81 Depth=1
	s_waitcnt lgkmcnt(0)
	s_barrier
.LBB11_676:                             ;   in Loop: Header=BB11_81 Depth=1
	s_or_b64 exec, exec, s[28:29]
.LBB11_677:                             ;   in Loop: Header=BB11_81 Depth=1
	s_or_b64 exec, exec, s[26:27]
	s_trap 2
	s_waitcnt lgkmcnt(0)
	ds_read_b64 v[2:3], v0
	s_waitcnt lgkmcnt(0)
	v_readfirstlane_b32 s26, v2
	v_readfirstlane_b32 s27, v3
	s_cmp_eq_u64 s[26:27], 0
	s_cselect_b64 s[26:27], -1, 0
	s_or_b64 s[28:29], s[26:27], s[26:27]
	s_mov_b64 s[26:27], 0
	s_and_b64 vcc, exec, s[28:29]
	s_cbranch_vccnz .LBB11_685
; %bb.678:                              ;   in Loop: Header=BB11_81 Depth=1
	s_trap 2
	ds_read_b64 v[2:3], v0
	v_cmp_eq_u32_e64 s[26:27], 0, v0
	s_waitcnt lgkmcnt(0)
	v_cmp_ne_u64_e32 vcc, 0, v[2:3]
	v_cndmask_b32_e64 v48, 0, v44, s[26:27]
	s_cbranch_vccz .LBB11_690
; %bb.679:                              ;   in Loop: Header=BB11_81 Depth=1
	s_mov_b64 s[28:29], -1
	s_and_saveexec_b64 s[26:27], s[18:19]
	s_cbranch_execz .LBB11_681
; %bb.680:                              ;   in Loop: Header=BB11_81 Depth=1
	ds_read_b32 v0, v0 offset:720
	s_waitcnt lgkmcnt(0)
	v_and_b32_e32 v0, 15, v0
	v_cmp_eq_u32_e32 vcc, 0, v0
	s_orn2_b64 s[28:29], vcc, exec
.LBB11_681:                             ;   in Loop: Header=BB11_81 Depth=1
	s_or_b64 exec, exec, s[26:27]
	s_and_saveexec_b64 s[26:27], s[16:17]
	s_cbranch_execz .LBB11_683
; %bb.682:                              ;   in Loop: Header=BB11_81 Depth=1
	ds_read_b32 v0, v0 offset:784
	s_waitcnt lgkmcnt(0)
	v_and_b32_e32 v0, 15, v0
	v_cmp_eq_u32_e32 vcc, 0, v0
	s_and_b64 vcc, s[28:29], vcc
	s_andn2_b64 s[28:29], s[28:29], exec
	s_and_b64 vcc, vcc, exec
	s_or_b64 s[28:29], s[28:29], vcc
.LBB11_683:                             ;   in Loop: Header=BB11_81 Depth=1
	s_or_b64 exec, exec, s[26:27]
	s_xor_b64 s[28:29], s[28:29], -1
	v_cndmask_b32_e64 v0, 0, 1, s[28:29]
	;;#ASMSTART
	;;#ASMEND
	s_mov_b64 s[26:27], -1
	v_cmp_ne_u32_e32 vcc, 0, v0
	v_mov_b32_e32 v54, 0
	v_mov_b32_e32 v55, v48
	;; [unrolled: 1-line block ×3, first 2 shown]
	v_accvgpr_read_b32 v2, a23
	s_cbranch_vccz .LBB11_691
; %bb.684:                              ;   in Loop: Header=BB11_81 Depth=1
	s_and_saveexec_b64 s[30:31], s[26:27]
	s_cbranch_execnz .LBB11_706
	s_branch .LBB11_716
.LBB11_685:                             ;   in Loop: Header=BB11_81 Depth=1
	s_and_saveexec_b64 s[28:29], s[4:5]
	s_cbranch_execnz .LBB11_746
.LBB11_686:                             ;   in Loop: Header=BB11_81 Depth=1
	s_or_b64 exec, exec, s[28:29]
                                        ; implicit-def: $vgpr0
	s_and_saveexec_b64 s[28:29], s[20:21]
	s_xor_b64 s[28:29], exec, s[28:29]
	s_cbranch_execz .LBB11_764
.LBB11_687:                             ;   in Loop: Header=BB11_81 Depth=1
	v_and_b32_e32 v1, 16, v62
	v_cmp_ne_u32_e32 vcc, 0, v1
	v_and_b32_e32 v0, 16, v62
	s_and_b64 vcc, vcc, s[26:27]
	s_and_saveexec_b64 s[26:27], vcc
	s_cbranch_execz .LBB11_689
; %bb.688:                              ;   in Loop: Header=BB11_81 Depth=1
	v_mov_b32_e32 v0, 1
	buffer_wbl2 sc1
	s_waitcnt vmcnt(0) lgkmcnt(0)
	buffer_inv sc1
.LBB11_689:                             ;   in Loop: Header=BB11_81 Depth=1
	s_or_b64 exec, exec, s[26:27]
	s_andn2_saveexec_b64 s[26:27], s[28:29]
	s_cbranch_execz .LBB11_783
	s_branch .LBB11_765
.LBB11_690:                             ;   in Loop: Header=BB11_81 Depth=1
	s_cbranch_execnz .LBB11_717
	s_branch .LBB11_745
.LBB11_691:                             ;   in Loop: Header=BB11_81 Depth=1
	v_ashrrev_i32_e32 v0, 31, v48
	v_lshrrev_b32_e32 v0, 21, v0
	v_add_u32_e32 v0, v48, v0
	v_ashrrev_i32_e32 v0, 11, v0
	v_accvgpr_read_b32 v1, a23
	v_sub_u32_e32 v7, v0, v1
	v_cmp_lt_i32_e32 vcc, 0, v7
	s_and_saveexec_b64 s[26:27], vcc
	s_cbranch_execz .LBB11_695
; %bb.692:                              ;   in Loop: Header=BB11_81 Depth=1
	s_trap 2
	ds_read_b64 v[2:3], v0
	ds_read_b128 v[16:19], v0
	v_accvgpr_read_b32 v8, a36
	v_accvgpr_read_b32 v9, a37
	s_mov_b64 s[28:29], 0
	s_waitcnt lgkmcnt(0)
	v_lshl_add_u64 v[2:3], v[2:3], 0, v[8:9]
	v_lshl_add_u64 v[4:5], v[16:17], 0, v[8:9]
	;; [unrolled: 1-line block ×3, first 2 shown]
.LBB11_693:                             ;   Parent Loop BB11_81 Depth=1
                                        ; =>  This Inner Loop Header: Depth=2
	global_load_dwordx4 v[28:31], v[2:3], off nt
	global_load_dwordx4 v[32:35], v[2:3], off offset:1024 nt
	v_sub_u32_e32 v7, v7, v50
	v_cmp_gt_i32_e32 vcc, 1, v7
	v_lshl_add_u64 v[2:3], v[2:3], 0, v[46:47]
	s_or_b64 s[28:29], vcc, s[28:29]
	s_waitcnt vmcnt(0)
	global_store_dwordx4 v[4:5], v[28:31], off nt
	global_store_dwordx4 v[4:5], v[32:35], off offset:1024 nt
	global_store_dwordx4 v[18:19], v[28:31], off nt
	global_store_dwordx4 v[18:19], v[32:35], off offset:1024 nt
	v_lshl_add_u64 v[4:5], v[4:5], 0, v[46:47]
	v_lshl_add_u64 v[18:19], v[18:19], 0, v[46:47]
	s_andn2_b64 exec, exec, s[28:29]
	s_cbranch_execnz .LBB11_693
; %bb.694:                              ;   in Loop: Header=BB11_81 Depth=1
	s_or_b64 exec, exec, s[28:29]
	v_accvgpr_read_b32 v29, a19
	v_accvgpr_read_b32 v35, a25
	;; [unrolled: 1-line block ×8, first 2 shown]
.LBB11_695:                             ;   in Loop: Header=BB11_81 Depth=1
	s_or_b64 exec, exec, s[26:27]
	v_lshlrev_b32_e32 v6, 11, v0
	v_cmp_ne_u32_e32 vcc, v48, v6
	s_mov_b64 s[26:27], 0
	v_mov_b32_e32 v54, 0
                                        ; implicit-def: $vgpr55
                                        ; implicit-def: $vgpr0
                                        ; implicit-def: $vgpr2
	s_and_saveexec_b64 s[54:55], vcc
	s_cbranch_execz .LBB11_705
; %bb.696:                              ;   in Loop: Header=BB11_81 Depth=1
	v_lshlrev_b32_e32 v0, 6, v7
	v_accvgpr_read_b32 v1, a34
	v_sub_u32_e32 v0, v1, v0
	v_sub_u32_e32 v3, v48, v6
	v_ashrrev_i32_e32 v2, 31, v0
	v_lshrrev_b32_e32 v2, 26, v2
	v_ashrrev_i32_e32 v5, 31, v3
	v_add_u32_e32 v2, v0, v2
	v_lshrrev_b32_e32 v5, 22, v5
	v_ashrrev_i32_e32 v4, 6, v2
	v_and_b32_e32 v2, 0xffffffc0, v2
	v_add_u32_e32 v5, v3, v5
	v_sub_u32_e32 v7, v0, v2
	v_and_b32_e32 v8, 0xfffffc00, v5
	v_lshlrev_b32_e32 v0, 4, v7
	v_sub_u32_e32 v17, v3, v8
	v_lshl_add_u32 v2, v4, 10, v0
	v_ashrrev_i32_e32 v9, 10, v5
	v_cmp_lt_i32_e64 s[26:27], 15, v17
	v_sub_u32_e32 v0, v3, v2
	s_nop 0
	v_addc_co_u32_e64 v3, vcc, 0, v9, s[26:27]
	v_sub_u32_e32 v16, v3, v4
	v_cmp_lt_i32_e32 vcc, 15, v0
	s_and_saveexec_b64 s[56:57], vcc
	s_cbranch_execz .LBB11_702
; %bb.697:                              ;   in Loop: Header=BB11_81 Depth=1
	s_trap 2
	ds_read_b64 v[4:5], v0
	ds_read_b128 v[28:31], v0
	v_add_u32_e32 v2, v2, v6
	v_ashrrev_i32_e32 v3, 31, v2
	s_mov_b64 s[58:59], 0
	s_waitcnt lgkmcnt(0)
	v_lshl_add_u64 v[22:23], v[4:5], 0, v[2:3]
	v_lshl_add_u64 v[54:55], v[28:29], 0, v[2:3]
	;; [unrolled: 1-line block ×3, first 2 shown]
.LBB11_698:                             ;   Parent Loop BB11_81 Depth=1
                                        ; =>  This Loop Header: Depth=2
                                        ;       Child Loop BB11_699 Depth 3
	global_load_dwordx4 v[2:5], v[22:23], off nt
	s_mov_b64 s[62:63], -1
	s_mov_b64 s[60:61], 0
	s_waitcnt vmcnt(0)
.LBB11_699:                             ;   Parent Loop BB11_81 Depth=1
                                        ;     Parent Loop BB11_698 Depth=2
                                        ; =>    This Inner Loop Header: Depth=3
	s_cmp_eq_u32 s60, 0
	s_cselect_b64 s[28:29], -1, 0
	s_cmp_eq_u32 s60, 1
	s_cselect_b64 s[30:31], -1, 0
	v_cndmask_b32_e64 v9, 0, 1, s[62:63]
	v_cndmask_b32_e64 v29, v55, v19, s[30:31]
	;; [unrolled: 1-line block ×3, first 2 shown]
	v_cmp_ne_u32_e32 vcc, 1, v9
	global_store_dwordx4 v[28:29], v[2:5], off nt
	v_lshl_add_u64 v[28:29], v[28:29], 0, s[44:45]
	s_mov_b64 s[62:63], 0
	s_mov_b64 s[60:61], 1
	s_and_b64 vcc, exec, vcc
	v_cndmask_b32_e64 v19, v19, v29, s[30:31]
	v_cndmask_b32_e64 v18, v18, v28, s[30:31]
	;; [unrolled: 1-line block ×4, first 2 shown]
	s_cbranch_vccz .LBB11_699
; %bb.700:                              ;   in Loop: Header=BB11_698 Depth=2
	v_accvgpr_read_b32 v2, a30
	v_sub_u32_e32 v0, v0, v33
	v_accvgpr_read_b32 v3, a31
	v_cmp_gt_i32_e32 vcc, 16, v0
	v_lshl_add_u64 v[54:55], v[54:55], 0, v[2:3]
	v_lshl_add_u64 v[18:19], v[18:19], 0, v[2:3]
	;; [unrolled: 1-line block ×3, first 2 shown]
	s_or_b64 s[58:59], vcc, s[58:59]
	v_sub_u32_e32 v16, v16, v50
	s_andn2_b64 exec, exec, s[58:59]
	s_cbranch_execnz .LBB11_698
; %bb.701:                              ;   in Loop: Header=BB11_81 Depth=1
	s_or_b64 exec, exec, s[58:59]
	v_accvgpr_read_b32 v29, a19
	v_accvgpr_read_b32 v31, a27
	;; [unrolled: 1-line block ×5, first 2 shown]
.LBB11_702:                             ;   in Loop: Header=BB11_81 Depth=1
	s_or_b64 exec, exec, s[56:57]
	v_and_b32_e32 v3, 15, v48
	v_cndmask_b32_e64 v55, v17, v3, s[26:27]
	v_cmp_ne_u32_e32 vcc, 0, v55
	s_mov_b64 s[28:29], 0
	v_mov_b32_e32 v54, 0
                                        ; implicit-def: $vgpr0
                                        ; implicit-def: $vgpr2
	s_and_saveexec_b64 s[30:31], vcc
	s_cbranch_execz .LBB11_704
; %bb.703:                              ;   in Loop: Header=BB11_81 Depth=1
	v_sub_u32_e32 v0, v17, v3
	v_cndmask_b32_e64 v0, 0, v0, s[26:27]
	v_cmp_lt_i32_e32 vcc, 0, v16
	v_add3_u32 v54, v8, v6, v0
	s_mov_b64 s[28:29], exec
	v_cndmask_b32_e32 v0, 0, v50, vcc
	v_sub_u32_e32 v0, v0, v16
	v_lshl_add_u32 v0, v0, 6, v7
	v_ashrrev_i32_e32 v2, 31, v0
	v_lshrrev_b32_e32 v2, 26, v2
	v_add_u32_e32 v2, v0, v2
	v_ashrrev_i32_e32 v2, 6, v2
.LBB11_704:                             ;   in Loop: Header=BB11_81 Depth=1
	s_or_b64 exec, exec, s[30:31]
	s_and_b64 s[26:27], s[28:29], exec
.LBB11_705:                             ;   in Loop: Header=BB11_81 Depth=1
	s_or_b64 exec, exec, s[54:55]
	s_and_saveexec_b64 s[30:31], s[26:27]
	s_cbranch_execz .LBB11_716
.LBB11_706:                             ;   in Loop: Header=BB11_81 Depth=1
	v_ashrrev_i32_e32 v3, 31, v55
	v_lshrrev_b32_e32 v3, 22, v3
	v_add_u32_e32 v3, v55, v3
	v_ashrrev_i32_e32 v8, 10, v3
	v_sub_u32_e32 v6, v8, v2
	v_ashrrev_i32_e32 v3, 31, v0
	v_cmp_lt_i32_e32 vcc, 0, v6
	v_lshrrev_b32_e32 v7, 26, v3
	s_and_saveexec_b64 s[26:27], vcc
	s_cbranch_execz .LBB11_710
; %bb.707:                              ;   in Loop: Header=BB11_81 Depth=1
	s_trap 2
	v_add_u32_e32 v3, v0, v7
	ds_read_b64 v[22:23], v0
	ds_read_b128 v[16:19], v0
	v_and_b32_e32 v3, 0xffffffc0, v3
	v_sub_u32_e32 v3, v0, v3
	v_lshlrev_b32_e32 v2, 10, v2
	v_add3_u32 v28, v54, v3, v2
	v_ashrrev_i32_e32 v29, 31, v28
	s_waitcnt lgkmcnt(0)
	v_lshl_add_u64 v[2:3], v[16:17], 0, v[28:29]
	v_lshl_add_u64 v[16:17], v[22:23], 0, s[46:47]
	;; [unrolled: 1-line block ×4, first 2 shown]
	s_mov_b64 s[28:29], 0
.LBB11_708:                             ;   Parent Loop BB11_81 Depth=1
                                        ; =>  This Inner Loop Header: Depth=2
	v_add_co_u32_e32 v18, vcc, 0xfffffc40, v22
	flat_load_ubyte v16, v[22:23] nt
	s_nop 0
	v_addc_co_u32_e32 v19, vcc, -1, v23, vcc
	v_add_co_u32_e32 v28, vcc, 0xfffffc80, v22
	flat_load_ubyte v9, v[18:19] nt
	s_nop 0
	v_addc_co_u32_e32 v29, vcc, -1, v23, vcc
	;; [unrolled: 4-line block ×15, first 2 shown]
	flat_load_ubyte v18, v[18:19] nt
	v_sub_u32_e32 v6, v6, v50
	v_cmp_gt_i32_e32 vcc, 1, v6
	s_or_b64 s[28:29], vcc, s[28:29]
	v_lshl_add_u64 v[22:23], v[22:23], 0, v[60:61]
	s_waitcnt vmcnt(0) lgkmcnt(0)
	flat_store_byte v[2:3], v16 offset:960 nt
	flat_store_byte v[2:3], v9 nt
	flat_store_byte v[2:3], v17 offset:64 nt
	flat_store_byte v[2:3], v30 offset:128 nt
	;; [unrolled: 1-line block ×14, first 2 shown]
	flat_store_byte v[4:5], v9 nt
	flat_store_byte v[4:5], v17 offset:64 nt
	flat_store_byte v[4:5], v30 offset:128 nt
	;; [unrolled: 1-line block ×15, first 2 shown]
	v_lshl_add_u64 v[2:3], v[2:3], 0, v[60:61]
	v_lshl_add_u64 v[4:5], v[4:5], 0, v[60:61]
	s_andn2_b64 exec, exec, s[28:29]
	s_cbranch_execnz .LBB11_708
; %bb.709:                              ;   in Loop: Header=BB11_81 Depth=1
	s_or_b64 exec, exec, s[28:29]
	v_accvgpr_read_b32 v53, a7
	v_accvgpr_read_b32 v29, a19
	;; [unrolled: 1-line block ×10, first 2 shown]
	v_mov_b32_e32 v43, 1
	v_accvgpr_read_b32 v33, a20
	v_accvgpr_read_b32 v23, a35
.LBB11_710:                             ;   in Loop: Header=BB11_81 Depth=1
	s_or_b64 exec, exec, s[26:27]
	v_lshlrev_b32_e32 v2, 10, v8
	v_cmp_ne_u32_e32 vcc, v55, v2
	s_and_b64 exec, exec, vcc
	s_cbranch_execz .LBB11_716
; %bb.711:                              ;   in Loop: Header=BB11_81 Depth=1
	v_add_u32_e32 v1, v0, v7
	v_and_b32_e32 v1, 0xffffffc0, v1
	v_sub_u32_e32 v0, v0, v1
	v_lshlrev_b32_e32 v1, 6, v6
	v_sub_u32_e32 v0, v0, v1
	v_add_u32_e32 v2, v2, v0
	v_sub_u32_e32 v0, v55, v2
	v_cmp_lt_i32_e32 vcc, 0, v0
	s_and_b64 exec, exec, vcc
	s_cbranch_execz .LBB11_716
; %bb.712:                              ;   in Loop: Header=BB11_81 Depth=1
	s_trap 2
	ds_read_b64 v[8:9], v0
	ds_read_b128 v[4:7], v0
	v_add_u32_e32 v16, v2, v54
	v_ashrrev_i32_e32 v17, 31, v16
	s_mov_b64 s[54:55], 0
	s_waitcnt lgkmcnt(0)
	v_lshl_add_u64 v[2:3], v[8:9], 0, v[16:17]
	v_lshl_add_u64 v[4:5], v[4:5], 0, v[16:17]
	;; [unrolled: 1-line block ×3, first 2 shown]
.LBB11_713:                             ;   Parent Loop BB11_81 Depth=1
                                        ; =>  This Loop Header: Depth=2
                                        ;       Child Loop BB11_714 Depth 3
	flat_load_ubyte v6, v[2:3] nt
	s_mov_b64 s[56:57], -1
	s_mov_b64 s[58:59], 0
	s_waitcnt vmcnt(0)
.LBB11_714:                             ;   Parent Loop BB11_81 Depth=1
                                        ;     Parent Loop BB11_713 Depth=2
                                        ; =>    This Inner Loop Header: Depth=3
	s_cmp_eq_u32 s58, 1
	s_cselect_b64 vcc, -1, 0
	v_cndmask_b32_e32 v9, v5, v19, vcc
	s_cmp_eq_u32 s58, 0
	v_cndmask_b32_e32 v8, v4, v18, vcc
	s_waitcnt lgkmcnt(0)
	flat_store_byte v[8:9], v6 nt
	v_lshl_add_u64 v[8:9], v[8:9], 0, 64
	s_cselect_b64 s[26:27], -1, 0
	s_and_b64 s[28:29], exec, s[56:57]
	s_mov_b64 s[58:59], 1
	s_mov_b64 s[56:57], 0
	v_cndmask_b32_e32 v19, v19, v9, vcc
	v_cndmask_b32_e32 v18, v18, v8, vcc
	v_cndmask_b32_e64 v5, v5, v9, s[26:27]
	v_cndmask_b32_e64 v4, v4, v8, s[26:27]
	s_mov_b64 vcc, s[28:29]
	s_cbranch_vccnz .LBB11_714
; %bb.715:                              ;   in Loop: Header=BB11_713 Depth=2
	v_sub_u32_e32 v0, v0, v11
	v_cmp_gt_i32_e32 vcc, 1, v0
	v_lshl_add_u64 v[4:5], v[4:5], 0, v[40:41]
	v_lshl_add_u64 v[18:19], v[18:19], 0, v[40:41]
	s_or_b64 s[54:55], vcc, s[54:55]
	v_lshl_add_u64 v[2:3], v[56:57], 0, v[2:3]
	s_andn2_b64 exec, exec, s[54:55]
	s_cbranch_execnz .LBB11_713
.LBB11_716:                             ;   in Loop: Header=BB11_81 Depth=1
	s_or_b64 exec, exec, s[30:31]
	s_branch .LBB11_745
.LBB11_717:                             ;   in Loop: Header=BB11_81 Depth=1
	s_mov_b64 s[26:27], -1
	s_and_saveexec_b64 s[28:29], s[18:19]
	s_cbranch_execz .LBB11_719
; %bb.718:                              ;   in Loop: Header=BB11_81 Depth=1
	ds_read_b32 v0, v0 offset:720
	s_waitcnt lgkmcnt(0)
	v_and_b32_e32 v0, 15, v0
	v_cmp_eq_u32_e32 vcc, 0, v0
	s_orn2_b64 s[26:27], vcc, exec
.LBB11_719:                             ;   in Loop: Header=BB11_81 Depth=1
	s_or_b64 exec, exec, s[28:29]
	s_and_saveexec_b64 s[28:29], s[14:15]
	s_cbranch_execz .LBB11_721
; %bb.720:                              ;   in Loop: Header=BB11_81 Depth=1
	ds_read_b32 v0, v0 offset:784
	s_waitcnt lgkmcnt(0)
	v_and_b32_e32 v0, 15, v0
	v_cmp_eq_u32_e32 vcc, 0, v0
	s_and_b64 vcc, s[26:27], vcc
	s_andn2_b64 s[26:27], s[26:27], exec
	s_and_b64 vcc, vcc, exec
	s_or_b64 s[26:27], s[26:27], vcc
.LBB11_721:                             ;   in Loop: Header=BB11_81 Depth=1
	s_or_b64 exec, exec, s[28:29]
	s_xor_b64 s[26:27], s[26:27], -1
	v_cndmask_b32_e64 v0, 0, 1, s[26:27]
	;;#ASMSTART
	;;#ASMEND
	s_mov_b64 s[30:31], -1
	v_cmp_ne_u32_e32 vcc, 0, v0
	v_mov_b32_e32 v0, 0
	v_mov_b32_e32 v6, v48
	;; [unrolled: 1-line block ×3, first 2 shown]
	v_accvgpr_read_b32 v4, a23
	s_cbranch_vccz .LBB11_723
; %bb.722:                              ;   in Loop: Header=BB11_81 Depth=1
	s_and_saveexec_b64 s[26:27], s[30:31]
	s_cbranch_execnz .LBB11_736
	s_branch .LBB11_744
.LBB11_723:                             ;   in Loop: Header=BB11_81 Depth=1
	v_ashrrev_i32_e32 v0, 31, v48
	v_lshrrev_b32_e32 v0, 20, v0
	v_add_u32_e32 v0, v48, v0
	v_ashrrev_i32_e32 v0, 12, v0
	v_accvgpr_read_b32 v1, a23
	v_sub_u32_e32 v16, v0, v1
	v_cmp_lt_i32_e32 vcc, 0, v16
	s_and_saveexec_b64 s[26:27], vcc
	s_cbranch_execz .LBB11_727
; %bb.724:                              ;   in Loop: Header=BB11_81 Depth=1
	s_trap 2
	ds_read_b64 v[2:3], v0
	s_mov_b64 s[28:29], 0
	s_waitcnt lgkmcnt(0)
	v_mov_b64_e32 v[4:5], v[2:3]
.LBB11_725:                             ;   Parent Loop BB11_81 Depth=1
                                        ; =>  This Inner Loop Header: Depth=2
	v_lshl_add_u64 v[18:19], v[24:25], 0, v[4:5]
	global_load_dwordx4 v[6:9], v[18:19], off nt
	global_load_dwordx4 v[28:31], v[18:19], off offset:1024 nt
	global_load_dwordx4 v[32:35], v[18:19], off offset:2048 nt
	;; [unrolled: 1-line block ×3, first 2 shown]
	v_sub_u32_e32 v16, v16, v50
	v_cmp_gt_i32_e32 vcc, 1, v16
	v_lshl_add_u64 v[18:19], v[24:25], 0, v[2:3]
	v_lshl_add_u64 v[4:5], v[4:5], 0, v[58:59]
	;; [unrolled: 1-line block ×3, first 2 shown]
	s_or_b64 s[28:29], vcc, s[28:29]
	s_waitcnt vmcnt(0)
	global_store_dwordx4 v[18:19], v[6:9], off nt
	global_store_dwordx4 v[18:19], v[28:31], off offset:1024 nt
	global_store_dwordx4 v[18:19], v[32:35], off offset:2048 nt
	;; [unrolled: 1-line block ×3, first 2 shown]
	s_andn2_b64 exec, exec, s[28:29]
	s_cbranch_execnz .LBB11_725
; %bb.726:                              ;   in Loop: Header=BB11_81 Depth=1
	s_or_b64 exec, exec, s[28:29]
	v_accvgpr_read_b32 v53, a7
	v_accvgpr_read_b32 v29, a19
	;; [unrolled: 1-line block ×10, first 2 shown]
.LBB11_727:                             ;   in Loop: Header=BB11_81 Depth=1
	s_or_b64 exec, exec, s[26:27]
	v_lshlrev_b32_e32 v8, 12, v0
	v_cmp_ne_u32_e32 vcc, v48, v8
	s_mov_b64 s[30:31], 0
	v_mov_b32_e32 v0, 0
                                        ; implicit-def: $vgpr6
                                        ; implicit-def: $vgpr7
                                        ; implicit-def: $vgpr4
	s_and_saveexec_b64 s[28:29], vcc
	s_cbranch_execz .LBB11_735
; %bb.728:                              ;   in Loop: Header=BB11_81 Depth=1
	v_lshlrev_b32_e32 v0, 6, v16
	v_accvgpr_read_b32 v1, a34
	v_sub_u32_e32 v0, v1, v0
	v_ashrrev_i32_e32 v3, 31, v0
	v_lshrrev_b32_e32 v3, 26, v3
	v_add_u32_e32 v3, v0, v3
	v_sub_u32_e32 v2, v48, v8
	v_ashrrev_i32_e32 v5, 6, v3
	v_and_b32_e32 v3, 0xffffffc0, v3
	v_sub_u32_e32 v16, v0, v3
	v_ashrrev_i32_e32 v3, 31, v2
	v_lshrrev_b32_e32 v3, 22, v3
	v_add_u32_e32 v3, v2, v3
	v_and_b32_e32 v17, 0xfffffc00, v3
	v_lshlrev_b32_e32 v0, 4, v16
	v_sub_u32_e32 v19, v2, v17
	v_lshl_add_u32 v4, v5, 10, v0
	v_ashrrev_i32_e32 v6, 10, v3
	v_cmp_lt_i32_e32 vcc, 15, v19
	v_sub_u32_e32 v0, v2, v4
	s_nop 0
	v_addc_co_u32_e64 v2, s[26:27], 0, v6, vcc
	v_sub_u32_e32 v18, v2, v5
	v_cmp_lt_i32_e64 s[26:27], 15, v0
	s_and_saveexec_b64 s[30:31], s[26:27]
	s_cbranch_execz .LBB11_732
; %bb.729:                              ;   in Loop: Header=BB11_81 Depth=1
	s_trap 2
	ds_read_b64 v[2:3], v0
	v_add_u32_e32 v4, v4, v8
	v_ashrrev_i32_e32 v5, 31, v4
	s_mov_b64 s[54:55], 0
.LBB11_730:                             ;   Parent Loop BB11_81 Depth=1
                                        ; =>  This Inner Loop Header: Depth=2
	s_waitcnt lgkmcnt(0)
	v_lshl_add_u64 v[6:7], v[2:3], 0, v[4:5]
	global_load_dwordx4 v[28:31], v[6:7], off nt
	v_sub_u32_e32 v0, v0, v33
	v_cmp_gt_i32_e64 s[26:27], 16, v0
	v_sub_u32_e32 v18, v18, v50
	v_lshl_add_u64 v[4:5], v[4:5], 0, v[60:61]
	s_or_b64 s[54:55], s[26:27], s[54:55]
	s_waitcnt vmcnt(0)
	global_store_dwordx4 v[6:7], v[28:31], off nt
	s_andn2_b64 exec, exec, s[54:55]
	s_cbranch_execnz .LBB11_730
; %bb.731:                              ;   in Loop: Header=BB11_81 Depth=1
	s_or_b64 exec, exec, s[54:55]
	v_accvgpr_read_b32 v29, a19
	v_accvgpr_read_b32 v31, a27
	;; [unrolled: 1-line block ×4, first 2 shown]
.LBB11_732:                             ;   in Loop: Header=BB11_81 Depth=1
	s_or_b64 exec, exec, s[30:31]
	v_and_b32_e32 v2, 15, v48
	v_cndmask_b32_e32 v6, v19, v2, vcc
	v_cmp_ne_u32_e64 s[26:27], 0, v6
	s_mov_b64 s[30:31], 0
	v_mov_b32_e32 v0, 0
                                        ; implicit-def: $vgpr7
                                        ; implicit-def: $vgpr4
	s_and_saveexec_b64 s[54:55], s[26:27]
	s_cbranch_execz .LBB11_734
; %bb.733:                              ;   in Loop: Header=BB11_81 Depth=1
	v_sub_u32_e32 v0, v19, v2
	v_cndmask_b32_e32 v0, 0, v0, vcc
	v_cmp_lt_i32_e32 vcc, 0, v18
	s_mov_b64 s[30:31], exec
	v_add3_u32 v0, v17, v8, v0
	v_cndmask_b32_e32 v2, 0, v50, vcc
	v_sub_u32_e32 v2, v2, v18
	v_lshl_add_u32 v7, v2, 6, v16
	v_ashrrev_i32_e32 v2, 31, v7
	v_lshrrev_b32_e32 v2, 26, v2
	v_add_u32_e32 v2, v7, v2
	v_ashrrev_i32_e32 v4, 6, v2
.LBB11_734:                             ;   in Loop: Header=BB11_81 Depth=1
	s_or_b64 exec, exec, s[54:55]
	s_and_b64 s[30:31], s[30:31], exec
.LBB11_735:                             ;   in Loop: Header=BB11_81 Depth=1
	s_or_b64 exec, exec, s[28:29]
	s_and_saveexec_b64 s[26:27], s[30:31]
	s_cbranch_execz .LBB11_744
.LBB11_736:                             ;   in Loop: Header=BB11_81 Depth=1
	v_ashrrev_i32_e32 v2, 31, v6
	v_lshrrev_b32_e32 v2, 22, v2
	v_add_u32_e32 v2, v6, v2
	v_ashrrev_i32_e32 v16, 10, v2
	v_sub_u32_e32 v8, v16, v4
	v_cmp_lt_i32_e32 vcc, 0, v8
	s_and_saveexec_b64 s[28:29], vcc
	s_cbranch_execz .LBB11_740
; %bb.737:                              ;   in Loop: Header=BB11_81 Depth=1
	v_ashrrev_i32_e32 v5, 31, v7
	s_trap 2
	ds_read_b64 v[2:3], v0
	v_lshrrev_b32_e32 v5, 26, v5
	v_add_u32_e32 v5, v7, v5
	v_and_b32_e32 v5, 0xffffffc0, v5
	v_sub_u32_e32 v5, v7, v5
	v_lshlrev_b32_e32 v4, 10, v4
	v_add3_u32 v4, v0, v5, v4
	v_ashrrev_i32_e32 v5, 31, v4
	s_mov_b64 s[30:31], 0
	s_waitcnt lgkmcnt(0)
	v_mov_b64_e32 v[18:19], v[2:3]
.LBB11_738:                             ;   Parent Loop BB11_81 Depth=1
                                        ; =>  This Inner Loop Header: Depth=2
	v_lshl_add_u64 v[22:23], v[4:5], 0, v[18:19]
	flat_load_ubyte v9, v[22:23] nt
	flat_load_ubyte v17, v[22:23] offset:64 nt
	flat_load_ubyte v28, v[22:23] offset:128 nt
	;; [unrolled: 1-line block ×15, first 2 shown]
	v_sub_u32_e32 v8, v8, v50
	v_cmp_gt_i32_e32 vcc, 1, v8
	v_lshl_add_u64 v[22:23], v[4:5], 0, v[2:3]
	v_lshl_add_u64 v[18:19], v[18:19], 0, v[60:61]
	;; [unrolled: 1-line block ×3, first 2 shown]
	s_or_b64 s[30:31], vcc, s[30:31]
	s_waitcnt vmcnt(0) lgkmcnt(0)
	flat_store_byte v[22:23], v9 nt
	flat_store_byte v[22:23], v17 offset:64 nt
	flat_store_byte v[22:23], v28 offset:128 nt
	;; [unrolled: 1-line block ×15, first 2 shown]
	s_andn2_b64 exec, exec, s[30:31]
	s_cbranch_execnz .LBB11_738
; %bb.739:                              ;   in Loop: Header=BB11_81 Depth=1
	s_or_b64 exec, exec, s[30:31]
	v_accvgpr_read_b32 v53, a7
	v_accvgpr_read_b32 v29, a19
	;; [unrolled: 1-line block ×10, first 2 shown]
	v_mov_b32_e32 v43, 1
	v_accvgpr_read_b32 v33, a20
	v_accvgpr_read_b32 v23, a35
.LBB11_740:                             ;   in Loop: Header=BB11_81 Depth=1
	s_or_b64 exec, exec, s[28:29]
	v_lshlrev_b32_e32 v2, 10, v16
	v_cmp_ne_u32_e32 vcc, v6, v2
	s_and_b64 exec, exec, vcc
	s_cbranch_execz .LBB11_744
; %bb.741:                              ;   in Loop: Header=BB11_81 Depth=1
	v_ashrrev_i32_e32 v3, 31, v7
	v_lshrrev_b32_e32 v3, 26, v3
	v_add_u32_e32 v3, v7, v3
	v_and_b32_e32 v3, 0xffffffc0, v3
	v_sub_u32_e32 v3, v7, v3
	v_lshlrev_b32_e32 v4, 6, v8
	v_sub_u32_e32 v3, v3, v4
	v_add_u32_e32 v4, v2, v3
	v_sub_u32_e32 v6, v6, v4
	v_cmp_lt_i32_e32 vcc, 0, v6
	s_and_b64 exec, exec, vcc
	s_cbranch_execz .LBB11_744
; %bb.742:                              ;   in Loop: Header=BB11_81 Depth=1
	s_trap 2
	ds_read_b64 v[2:3], v0
	v_add_u32_e32 v4, v4, v0
	v_ashrrev_i32_e32 v5, 31, v4
	s_mov_b64 s[28:29], 0
.LBB11_743:                             ;   Parent Loop BB11_81 Depth=1
                                        ; =>  This Inner Loop Header: Depth=2
	s_waitcnt lgkmcnt(0)
	v_lshl_add_u64 v[8:9], v[2:3], 0, v[4:5]
	flat_load_ubyte v0, v[8:9] nt
	v_sub_u32_e32 v6, v6, v11
	v_cmp_gt_i32_e32 vcc, 1, v6
	v_lshl_add_u64 v[4:5], v[4:5], 0, v[56:57]
	s_or_b64 s[28:29], vcc, s[28:29]
	s_waitcnt vmcnt(0) lgkmcnt(0)
	flat_store_byte v[8:9], v0 nt
	s_andn2_b64 exec, exec, s[28:29]
	s_cbranch_execnz .LBB11_743
.LBB11_744:                             ;   in Loop: Header=BB11_81 Depth=1
	s_or_b64 exec, exec, s[26:27]
.LBB11_745:                             ;   in Loop: Header=BB11_81 Depth=1
	v_cmp_lt_i32_e64 s[26:27], 0, v48
	s_and_saveexec_b64 s[28:29], s[4:5]
	s_cbranch_execz .LBB11_686
.LBB11_746:                             ;   in Loop: Header=BB11_81 Depth=1
	s_and_saveexec_b64 vcc, s[42:43]
	s_xor_b64 s[30:31], exec, vcc
	s_cbranch_execz .LBB11_761
; %bb.747:                              ;   in Loop: Header=BB11_81 Depth=1
	s_and_saveexec_b64 s[54:55], s[12:13]
	s_cbranch_execz .LBB11_760
; %bb.748:                              ;   in Loop: Header=BB11_81 Depth=1
	s_mov_b64 s[58:59], exec
	v_mbcnt_lo_u32_b32 v0, s58, 0
	v_mbcnt_hi_u32_b32 v0, s59, v0
	v_cmp_eq_u32_e32 vcc, 0, v0
	s_waitcnt lgkmcnt(0)
	s_and_saveexec_b64 s[56:57], vcc
	s_cbranch_execz .LBB11_750
; %bb.749:                              ;   in Loop: Header=BB11_81 Depth=1
	s_bcnt1_i32_b64 vcc_lo, s[58:59]
	v_mov_b32_e32 v48, vcc_lo
	ds_add_u64 v0, v[48:49]
	s_trap 2
.LBB11_750:                             ;   in Loop: Header=BB11_81 Depth=1
	s_or_b64 exec, exec, s[56:57]
	s_trap 2
	ds_read_b64 v[2:3], v0
	v_lshl_add_u64 v[14:15], v[14:15], 0, v[50:51]
	s_waitcnt lgkmcnt(0)
	v_cmp_lt_u64_e32 vcc, v[2:3], v[14:15]
	s_and_saveexec_b64 s[56:57], vcc
	s_cbranch_execz .LBB11_759
; %bb.751:                              ;   in Loop: Header=BB11_81 Depth=1
	s_mov_b32 s69, 0
	s_mov_b64 s[58:59], 0
                                        ; implicit-def: $sgpr60_sgpr61
                                        ; implicit-def: $sgpr62_sgpr63
	s_branch .LBB11_753
.LBB11_752:                             ;   in Loop: Header=BB11_753 Depth=2
	s_or_b64 exec, exec, s[66:67]
	s_and_b64 vcc, exec, vcc
	s_or_b64 s[58:59], vcc, s[58:59]
	s_andn2_b64 vcc, s[60:61], exec
	s_and_b64 s[60:61], s[62:63], exec
	s_or_b64 s[60:61], vcc, s[60:61]
	s_andn2_b64 exec, exec, s[58:59]
	s_cbranch_execz .LBB11_757
.LBB11_753:                             ;   Parent Loop BB11_81 Depth=1
                                        ; =>  This Inner Loop Header: Depth=2
	s_add_i32 s69, s69, 1
	s_cmpk_lg_i32 s69, 0x2710
	s_cselect_b64 s[64:65], -1, 0
	s_and_b64 vcc, exec, s[64:65]
                                        ; implicit-def: $sgpr66_sgpr67
	s_cbranch_vccnz .LBB11_755
; %bb.754:                              ;   in Loop: Header=BB11_753 Depth=2
	s_trap 2
	ds_read_b64 v[2:3], v0
	s_andn2_b64 s[64:65], s[64:65], exec
	s_mov_b32 s69, 0
	s_mov_b64 s[66:67], -1
	s_waitcnt vmcnt(0) lgkmcnt(0)
	flat_load_dword v0, v[2:3] sc0 sc1
	s_waitcnt vmcnt(0) lgkmcnt(0)
	buffer_inv sc0 sc1
	v_cmp_eq_u32_e32 vcc, 0, v0
	s_and_b64 vcc, vcc, exec
	s_or_b64 s[64:65], s[64:65], vcc
.LBB11_755:                             ;   in Loop: Header=BB11_753 Depth=2
	s_andn2_b64 s[62:63], s[62:63], exec
	s_and_b64 s[66:67], s[66:67], exec
	s_mov_b64 vcc, -1
	s_or_b64 s[62:63], s[62:63], s[66:67]
	s_and_saveexec_b64 s[66:67], s[64:65]
	s_cbranch_execz .LBB11_752
; %bb.756:                              ;   in Loop: Header=BB11_753 Depth=2
	s_sleep 1
	s_trap 2
	ds_read_b64 v[2:3], v0
	s_andn2_b64 s[62:63], s[62:63], exec
	s_waitcnt lgkmcnt(0)
	v_cmp_ge_u64_e32 vcc, v[2:3], v[14:15]
	s_orn2_b64 vcc, vcc, exec
	s_branch .LBB11_752
.LBB11_757:                             ;   in Loop: Header=BB11_81 Depth=1
	s_or_b64 exec, exec, s[58:59]
	s_and_saveexec_b64 vcc, s[60:61]
	s_xor_b64 vcc, exec, vcc
	s_cbranch_execz .LBB11_759
; %bb.758:                              ;   in Loop: Header=BB11_81 Depth=1
	ds_write_b32 v0, v43
	s_trap 2
.LBB11_759:                             ;   in Loop: Header=BB11_81 Depth=1
	s_or_b64 exec, exec, s[56:57]
	;;#ASMSTART
	s_wakeup
	;;#ASMEND
.LBB11_760:                             ;   in Loop: Header=BB11_81 Depth=1
	s_or_b64 exec, exec, s[54:55]
.LBB11_761:                             ;   in Loop: Header=BB11_81 Depth=1
	s_andn2_saveexec_b64 vcc, s[30:31]
	s_cbranch_execz .LBB11_763
; %bb.762:                              ;   in Loop: Header=BB11_81 Depth=1
	s_waitcnt lgkmcnt(0)
	s_barrier
.LBB11_763:                             ;   in Loop: Header=BB11_81 Depth=1
	s_or_b64 exec, exec, vcc
	s_or_b64 exec, exec, s[28:29]
                                        ; implicit-def: $vgpr0
	s_and_saveexec_b64 s[28:29], s[20:21]
	s_xor_b64 s[28:29], exec, s[28:29]
	s_cbranch_execnz .LBB11_687
.LBB11_764:                             ;   in Loop: Header=BB11_81 Depth=1
	s_andn2_saveexec_b64 s[26:27], s[28:29]
	s_cbranch_execz .LBB11_783
.LBB11_765:                             ;   in Loop: Header=BB11_81 Depth=1
	s_and_saveexec_b64 s[28:29], s[42:43]
	s_xor_b64 s[28:29], exec, s[28:29]
	s_cbranch_execz .LBB11_780
; %bb.766:                              ;   in Loop: Header=BB11_81 Depth=1
	s_and_saveexec_b64 s[30:31], s[12:13]
	s_cbranch_execz .LBB11_779
; %bb.767:                              ;   in Loop: Header=BB11_81 Depth=1
	s_mov_b64 s[56:57], exec
	v_mbcnt_lo_u32_b32 v0, s56, 0
	v_mbcnt_hi_u32_b32 v0, s57, v0
	v_cmp_eq_u32_e32 vcc, 0, v0
	;;#ASMSTART
	s_waitcnt lgkmcnt(0) vmcnt(0)
	;;#ASMEND
	s_and_saveexec_b64 s[54:55], vcc
	s_cbranch_execz .LBB11_769
; %bb.768:                              ;   in Loop: Header=BB11_81 Depth=1
	s_bcnt1_i32_b64 vcc_lo, s[56:57]
	v_mov_b32_e32 v48, vcc_lo
	ds_add_u64 v0, v[48:49]
	s_trap 2
.LBB11_769:                             ;   in Loop: Header=BB11_81 Depth=1
	s_or_b64 exec, exec, s[54:55]
	s_trap 2
	ds_read_b64 v[2:3], v0
	v_lshl_add_u64 v[14:15], v[14:15], 0, v[50:51]
	s_waitcnt lgkmcnt(0)
	v_cmp_lt_u64_e32 vcc, v[2:3], v[14:15]
	s_and_saveexec_b64 s[54:55], vcc
	s_cbranch_execz .LBB11_778
; %bb.770:                              ;   in Loop: Header=BB11_81 Depth=1
	s_mov_b32 s66, 0
	s_mov_b64 s[56:57], 0
                                        ; implicit-def: $sgpr58_sgpr59
                                        ; implicit-def: $sgpr60_sgpr61
	s_branch .LBB11_772
.LBB11_771:                             ;   in Loop: Header=BB11_772 Depth=2
	s_or_b64 exec, exec, s[64:65]
	s_and_b64 vcc, exec, vcc
	s_or_b64 s[56:57], vcc, s[56:57]
	s_andn2_b64 vcc, s[58:59], exec
	s_and_b64 s[58:59], s[60:61], exec
	s_or_b64 s[58:59], vcc, s[58:59]
	s_andn2_b64 exec, exec, s[56:57]
	s_cbranch_execz .LBB11_776
.LBB11_772:                             ;   Parent Loop BB11_81 Depth=1
                                        ; =>  This Inner Loop Header: Depth=2
	s_add_i32 s66, s66, 1
	s_cmpk_lg_i32 s66, 0x2710
	s_cselect_b64 s[62:63], -1, 0
	s_and_b64 vcc, exec, s[62:63]
                                        ; implicit-def: $sgpr64_sgpr65
	s_cbranch_vccnz .LBB11_774
; %bb.773:                              ;   in Loop: Header=BB11_772 Depth=2
	s_trap 2
	ds_read_b64 v[2:3], v0
	s_andn2_b64 s[62:63], s[62:63], exec
	s_mov_b32 s66, 0
	s_mov_b64 s[64:65], -1
	s_waitcnt vmcnt(0) lgkmcnt(0)
	flat_load_dword v0, v[2:3] sc0 sc1
	s_waitcnt vmcnt(0) lgkmcnt(0)
	buffer_inv sc0 sc1
	v_cmp_eq_u32_e32 vcc, 0, v0
	s_and_b64 vcc, vcc, exec
	s_or_b64 s[62:63], s[62:63], vcc
.LBB11_774:                             ;   in Loop: Header=BB11_772 Depth=2
	s_andn2_b64 s[60:61], s[60:61], exec
	s_and_b64 s[64:65], s[64:65], exec
	s_mov_b64 vcc, -1
	s_or_b64 s[60:61], s[60:61], s[64:65]
	s_and_saveexec_b64 s[64:65], s[62:63]
	s_cbranch_execz .LBB11_771
; %bb.775:                              ;   in Loop: Header=BB11_772 Depth=2
	s_sleep 1
	s_trap 2
	ds_read_b64 v[2:3], v0
	s_andn2_b64 s[60:61], s[60:61], exec
	s_waitcnt lgkmcnt(0)
	v_cmp_ge_u64_e32 vcc, v[2:3], v[14:15]
	s_orn2_b64 vcc, vcc, exec
	s_branch .LBB11_771
.LBB11_776:                             ;   in Loop: Header=BB11_81 Depth=1
	s_or_b64 exec, exec, s[56:57]
	s_and_saveexec_b64 vcc, s[58:59]
	s_xor_b64 vcc, exec, vcc
	s_cbranch_execz .LBB11_778
; %bb.777:                              ;   in Loop: Header=BB11_81 Depth=1
	ds_write_b32 v0, v43
	s_trap 2
.LBB11_778:                             ;   in Loop: Header=BB11_81 Depth=1
	s_or_b64 exec, exec, s[54:55]
	;;#ASMSTART
	s_wakeup
	;;#ASMEND
.LBB11_779:                             ;   in Loop: Header=BB11_81 Depth=1
	s_or_b64 exec, exec, s[30:31]
.LBB11_780:                             ;   in Loop: Header=BB11_81 Depth=1
	s_andn2_saveexec_b64 s[28:29], s[28:29]
	s_cbranch_execz .LBB11_782
; %bb.781:                              ;   in Loop: Header=BB11_81 Depth=1
	;;#ASMSTART
	s_waitcnt lgkmcnt(0) vmcnt(0)
	;;#ASMEND
	s_barrier
.LBB11_782:                             ;   in Loop: Header=BB11_81 Depth=1
	s_or_b64 exec, exec, s[28:29]
	v_and_b32_e32 v0, 16, v62
.LBB11_783:                             ;   in Loop: Header=BB11_81 Depth=1
	s_or_b64 exec, exec, s[26:27]
	v_cmp_ne_u32_e32 vcc, 0, v0
	s_xor_b64 s[26:27], s[6:7], -1
	s_and_b64 s[28:29], vcc, s[26:27]
	s_and_saveexec_b64 s[26:27], s[28:29]
	s_cbranch_execz .LBB11_785
; %bb.784:                              ;   in Loop: Header=BB11_81 Depth=1
	flat_store_dword v[30:31], v43 sc0 sc1
.LBB11_785:                             ;   in Loop: Header=BB11_81 Depth=1
	s_or_b64 exec, exec, s[26:27]
	v_and_b32_e32 v0, 48, v62
	v_cmp_ne_u32_e32 vcc, 0, v0
	s_and_saveexec_b64 s[26:27], vcc
	s_cbranch_execz .LBB11_787
; %bb.786:                              ;   in Loop: Header=BB11_81 Depth=1
	v_lshl_add_u64 v[38:39], v[38:39], 0, 4
	flat_store_dwordx2 v[26:27], v[38:39] sc0 sc1
.LBB11_787:                             ;   in Loop: Header=BB11_81 Depth=1
	s_or_b64 exec, exec, s[26:27]
	v_mov_b32_e32 v0, v44
	v_mov_b32_e32 v4, v44
	s_or_b64 exec, exec, s[52:53]
	s_and_saveexec_b64 s[28:29], s[22:23]
	s_cbranch_execnz .LBB11_541
.LBB11_788:                             ;   in Loop: Header=BB11_81 Depth=1
	s_or_b64 exec, exec, s[28:29]
	s_add_i32 s26, s68, 1
	s_cmp_eq_u32 s68, s79
	s_cbranch_scc0 .LBB11_612
.LBB11_789:                             ;   in Loop: Header=BB11_81 Depth=1
	v_mov_b32_e32 v18, 0
	s_and_saveexec_b64 s[26:27], s[24:25]
	s_cbranch_execz .LBB11_926
; %bb.790:                              ;   in Loop: Header=BB11_81 Depth=1
	s_and_saveexec_b64 s[24:25], s[0:1]
	s_cbranch_execz .LBB11_792
; %bb.791:                              ;   in Loop: Header=BB11_81 Depth=1
	flat_load_dword v0, v[52:53] offset:4
	s_trap 2
	v_accvgpr_read_b32 v6, a38
	v_accvgpr_read_b32 v7, a39
	s_waitcnt vmcnt(0) lgkmcnt(0)
	ds_read_b128 v[2:5], v0
	v_ashrrev_i32_e32 v8, 31, v0
	v_mad_u64_u32 v[6:7], s[28:29], v20, v0, v[6:7]
	v_mul_lo_u32 v0, v21, v0
	v_mul_lo_u32 v8, v20, v8
	v_add3_u32 v7, v0, v7, v8
	s_waitcnt lgkmcnt(0)
	v_lshl_add_u64 v[2:3], v[2:3], 0, v[6:7]
	v_lshl_add_u64 v[6:7], v[4:5], 0, v[6:7]
	v_cmp_ne_u64_e32 vcc, 0, v[4:5]
	ds_write_b64 v0, v[2:3]
	s_nop 0
	v_cndmask_b32_e32 v3, 0, v7, vcc
	v_cndmask_b32_e32 v2, 0, v6, vcc
	ds_write_b64 v0, v[2:3]
.LBB11_792:                             ;   in Loop: Header=BB11_81 Depth=1
	s_or_b64 exec, exec, s[24:25]
	v_and_b32_e32 v0, 4, v62
	v_cmp_ne_u32_e32 vcc, 0, v0
	s_mov_b64 s[28:29], -1
	s_and_saveexec_b64 s[24:25], vcc
	s_cbranch_execz .LBB11_802
; %bb.793:                              ;   in Loop: Header=BB11_81 Depth=1
	v_lshl_add_u64 v[2:3], v[38:39], 0, 4
	v_cmp_lt_u64_e32 vcc, v[36:37], v[2:3]
	v_mov_b32_e32 v0, 1
	s_and_saveexec_b64 s[28:29], vcc
	s_cbranch_execz .LBB11_813
; %bb.794:                              ;   in Loop: Header=BB11_81 Depth=1
	s_mov_b64 s[30:31], 0
	v_mov_b32_e32 v0, 0
                                        ; implicit-def: $sgpr52_sgpr53
	s_branch .LBB11_798
.LBB11_795:                             ;   in Loop: Header=BB11_798 Depth=2
	s_or_b64 exec, exec, s[60:61]
	v_mov_b32_e32 v4, 0
	s_orn2_b64 s[58:59], s[58:59], exec
.LBB11_796:                             ;   in Loop: Header=BB11_798 Depth=2
	s_or_b64 exec, exec, s[56:57]
	s_andn2_b64 vcc, s[52:53], exec
	s_and_b64 s[52:53], s[58:59], exec
	s_or_b64 s[52:53], vcc, s[52:53]
	v_mov_b32_e32 v0, v4
.LBB11_797:                             ;   in Loop: Header=BB11_798 Depth=2
	s_or_b64 exec, exec, s[54:55]
	s_waitcnt vmcnt(0) lgkmcnt(0)
	v_cmp_ge_u64_e32 vcc, v[36:37], v[2:3]
	s_xor_b64 s[54:55], s[52:53], -1
	s_or_b64 vcc, s[54:55], vcc
	s_and_b64 vcc, exec, vcc
	s_or_b64 s[30:31], vcc, s[30:31]
	s_andn2_b64 exec, exec, s[30:31]
	s_cbranch_execz .LBB11_812
.LBB11_798:                             ;   Parent Loop BB11_81 Depth=1
                                        ; =>  This Inner Loop Header: Depth=2
	s_sleep 1
	flat_load_dwordx2 v[36:37], v[26:27] sc0 sc1
	v_and_b32_e32 v4, 64, v62
	v_cmp_eq_u32_e32 vcc, 0, v4
	s_andn2_b64 s[52:53], s[52:53], exec
	s_and_saveexec_b64 s[54:55], vcc
	s_cbranch_execz .LBB11_797
; %bb.799:                              ;   in Loop: Header=BB11_798 Depth=2
	v_add_u32_e32 v4, 1, v0
	v_cmp_lt_i32_e32 vcc, s76, v0
	s_mov_b64 s[58:59], -1
	s_and_saveexec_b64 s[56:57], vcc
	s_cbranch_execz .LBB11_796
; %bb.800:                              ;   in Loop: Header=BB11_798 Depth=2
	s_trap 2
	ds_read_b64 v[4:5], v0
	s_waitcnt vmcnt(0) lgkmcnt(0)
	flat_load_dword v0, v[4:5] sc0 sc1
	s_waitcnt vmcnt(0) lgkmcnt(0)
	buffer_inv sc0 sc1
	v_cmp_ne_u32_e32 vcc, 0, v0
	s_and_saveexec_b64 s[60:61], vcc
	s_cbranch_execz .LBB11_795
; %bb.801:                              ;   in Loop: Header=BB11_798 Depth=2
	v_or_b32_e32 v62, 64, v62
	s_xor_b64 s[58:59], exec, -1
	ds_write_b32 v0, v0
	s_trap 2
	s_branch .LBB11_795
.LBB11_802:                             ;   in Loop: Header=BB11_81 Depth=1
	s_or_b64 exec, exec, s[24:25]
	s_xor_b64 s[24:25], s[28:29], -1
	s_and_saveexec_b64 s[28:29], s[24:25]
	s_cbranch_execz .LBB11_814
.LBB11_803:                             ;   in Loop: Header=BB11_81 Depth=1
	v_and_b32_e32 v0, 0x100, v62
	v_cmp_ne_u32_e32 vcc, 0, v0
	v_and_b32_e32 v0, 7, v38
	s_mov_b64 s[24:25], -1
                                        ; implicit-def: $vgpr2_vgpr3
	s_and_saveexec_b64 s[30:31], vcc
	s_cbranch_execz .LBB11_807
; %bb.804:                              ;   in Loop: Header=BB11_81 Depth=1
	v_mad_u64_u32 v[4:5], s[24:25], v0, 24, v[28:29]
	flat_load_dword v2, v[4:5]
	s_waitcnt vmcnt(0) lgkmcnt(0)
	v_cmp_ne_u32_e32 vcc, 1, v2
	v_cmp_eq_u32_e64 s[24:25], 1, v2
                                        ; implicit-def: $vgpr2_vgpr3
	s_and_saveexec_b64 s[52:53], s[24:25]
	s_cbranch_execz .LBB11_806
; %bb.805:                              ;   in Loop: Header=BB11_81 Depth=1
	flat_load_dword v2, v[4:5] offset:4 sc0 sc1
	s_waitcnt vmcnt(0) lgkmcnt(0)
	v_ashrrev_i32_e32 v3, 31, v2
.LBB11_806:                             ;   in Loop: Header=BB11_81 Depth=1
	s_or_b64 exec, exec, s[52:53]
	s_orn2_b64 s[24:25], vcc, exec
.LBB11_807:                             ;   in Loop: Header=BB11_81 Depth=1
	s_or_b64 exec, exec, s[30:31]
	s_and_saveexec_b64 vcc, s[24:25]
; %bb.808:                              ;   in Loop: Header=BB11_81 Depth=1
	v_mad_i64_i32 v[2:3], s[24:25], v0, v32, 0
; %bb.809:                              ;   in Loop: Header=BB11_81 Depth=1
	s_or_b64 exec, exec, vcc
	v_lshl_add_u64 v[2:3], v[34:35], 0, v[2:3]
	ds_write_b64 v0, v[2:3] offset:720
	v_and_b32_e32 v0, 0x2000, v62
	v_cmp_ne_u32_e32 vcc, 0, v0
	s_and_saveexec_b64 s[24:25], vcc
	s_cbranch_execz .LBB11_811
; %bb.810:                              ;   in Loop: Header=BB11_81 Depth=1
	ds_read_b64 v[2:3], v0 offset:584
	s_waitcnt lgkmcnt(0)
	v_lshl_add_u64 v[2:3], v[2:3], 0, 1
	ds_write_b64 v0, v[2:3] offset:584
.LBB11_811:                             ;   in Loop: Header=BB11_81 Depth=1
	s_or_b64 exec, exec, s[24:25]
	v_lshl_add_u64 v[38:39], v[38:39], 0, 4
	s_or_b64 exec, exec, s[28:29]
	s_and_saveexec_b64 s[24:25], s[4:5]
	s_cbranch_execz .LBB11_833
	s_branch .LBB11_815
.LBB11_812:                             ;   in Loop: Header=BB11_81 Depth=1
	s_or_b64 exec, exec, s[30:31]
	v_and_b32_e32 v0, 4, v62
.LBB11_813:                             ;   in Loop: Header=BB11_81 Depth=1
	s_or_b64 exec, exec, s[28:29]
	v_cmp_eq_u32_e32 vcc, 0, v0
	s_orn2_b64 s[28:29], vcc, exec
	;;#ASMSTART
	s_wakeup
	;;#ASMEND
	s_or_b64 exec, exec, s[24:25]
	s_xor_b64 s[24:25], s[28:29], -1
	s_and_saveexec_b64 s[28:29], s[24:25]
	s_cbranch_execnz .LBB11_803
.LBB11_814:                             ;   in Loop: Header=BB11_81 Depth=1
	s_or_b64 exec, exec, s[28:29]
	s_and_saveexec_b64 s[24:25], s[4:5]
	s_cbranch_execz .LBB11_833
.LBB11_815:                             ;   in Loop: Header=BB11_81 Depth=1
	s_and_saveexec_b64 s[28:29], s[42:43]
	s_xor_b64 s[28:29], exec, s[28:29]
	s_cbranch_execz .LBB11_830
; %bb.816:                              ;   in Loop: Header=BB11_81 Depth=1
	s_and_saveexec_b64 s[30:31], s[12:13]
	s_cbranch_execz .LBB11_829
; %bb.817:                              ;   in Loop: Header=BB11_81 Depth=1
	s_mov_b64 s[54:55], exec
	v_mbcnt_lo_u32_b32 v0, s54, 0
	v_mbcnt_hi_u32_b32 v0, s55, v0
	v_cmp_eq_u32_e32 vcc, 0, v0
	s_waitcnt lgkmcnt(0)
	s_and_saveexec_b64 s[52:53], vcc
	s_cbranch_execz .LBB11_819
; %bb.818:                              ;   in Loop: Header=BB11_81 Depth=1
	s_bcnt1_i32_b64 vcc_lo, s[54:55]
	v_mov_b32_e32 v48, vcc_lo
	ds_add_u64 v0, v[48:49]
	s_trap 2
.LBB11_819:                             ;   in Loop: Header=BB11_81 Depth=1
	s_or_b64 exec, exec, s[52:53]
	s_trap 2
	ds_read_b64 v[2:3], v0
	v_lshl_add_u64 v[14:15], v[14:15], 0, v[50:51]
	s_waitcnt lgkmcnt(0)
	v_cmp_lt_u64_e32 vcc, v[2:3], v[14:15]
	s_and_saveexec_b64 s[52:53], vcc
	s_cbranch_execz .LBB11_828
; %bb.820:                              ;   in Loop: Header=BB11_81 Depth=1
	s_mov_b32 s64, 0
	s_mov_b64 s[54:55], 0
                                        ; implicit-def: $sgpr56_sgpr57
                                        ; implicit-def: $sgpr58_sgpr59
	s_branch .LBB11_822
.LBB11_821:                             ;   in Loop: Header=BB11_822 Depth=2
	s_or_b64 exec, exec, s[62:63]
	s_and_b64 vcc, exec, vcc
	s_or_b64 s[54:55], vcc, s[54:55]
	s_andn2_b64 vcc, s[56:57], exec
	s_and_b64 s[56:57], s[58:59], exec
	s_or_b64 s[56:57], vcc, s[56:57]
	s_andn2_b64 exec, exec, s[54:55]
	s_cbranch_execz .LBB11_826
.LBB11_822:                             ;   Parent Loop BB11_81 Depth=1
                                        ; =>  This Inner Loop Header: Depth=2
	s_add_i32 s64, s64, 1
	s_cmpk_lg_i32 s64, 0x2710
	s_cselect_b64 s[60:61], -1, 0
	s_and_b64 vcc, exec, s[60:61]
                                        ; implicit-def: $sgpr62_sgpr63
	s_cbranch_vccnz .LBB11_824
; %bb.823:                              ;   in Loop: Header=BB11_822 Depth=2
	s_trap 2
	ds_read_b64 v[2:3], v0
	s_andn2_b64 s[60:61], s[60:61], exec
	s_mov_b32 s64, 0
	s_mov_b64 s[62:63], -1
	s_waitcnt vmcnt(0) lgkmcnt(0)
	flat_load_dword v0, v[2:3] sc0 sc1
	s_waitcnt vmcnt(0) lgkmcnt(0)
	buffer_inv sc0 sc1
	v_cmp_eq_u32_e32 vcc, 0, v0
	s_and_b64 vcc, vcc, exec
	s_or_b64 s[60:61], s[60:61], vcc
.LBB11_824:                             ;   in Loop: Header=BB11_822 Depth=2
	s_andn2_b64 s[58:59], s[58:59], exec
	s_and_b64 s[62:63], s[62:63], exec
	s_mov_b64 vcc, -1
	s_or_b64 s[58:59], s[58:59], s[62:63]
	s_and_saveexec_b64 s[62:63], s[60:61]
	s_cbranch_execz .LBB11_821
; %bb.825:                              ;   in Loop: Header=BB11_822 Depth=2
	s_sleep 1
	s_trap 2
	ds_read_b64 v[2:3], v0
	s_andn2_b64 s[58:59], s[58:59], exec
	s_waitcnt lgkmcnt(0)
	v_cmp_ge_u64_e32 vcc, v[2:3], v[14:15]
	s_orn2_b64 vcc, vcc, exec
	s_branch .LBB11_821
.LBB11_826:                             ;   in Loop: Header=BB11_81 Depth=1
	s_or_b64 exec, exec, s[54:55]
	s_and_saveexec_b64 vcc, s[56:57]
	s_xor_b64 vcc, exec, vcc
	s_cbranch_execz .LBB11_828
; %bb.827:                              ;   in Loop: Header=BB11_81 Depth=1
	ds_write_b32 v0, v43
	s_trap 2
.LBB11_828:                             ;   in Loop: Header=BB11_81 Depth=1
	s_or_b64 exec, exec, s[52:53]
	;;#ASMSTART
	s_wakeup
	;;#ASMEND
.LBB11_829:                             ;   in Loop: Header=BB11_81 Depth=1
	s_or_b64 exec, exec, s[30:31]
.LBB11_830:                             ;   in Loop: Header=BB11_81 Depth=1
	s_andn2_saveexec_b64 s[28:29], s[28:29]
	s_cbranch_execz .LBB11_832
; %bb.831:                              ;   in Loop: Header=BB11_81 Depth=1
	s_waitcnt lgkmcnt(0)
	s_barrier
.LBB11_832:                             ;   in Loop: Header=BB11_81 Depth=1
	s_or_b64 exec, exec, s[28:29]
.LBB11_833:                             ;   in Loop: Header=BB11_81 Depth=1
	s_or_b64 exec, exec, s[24:25]
	s_trap 2
	ds_read_b32 v0, v0
	v_and_b32_e32 v2, 0x4000, v62
	v_cmp_ne_u32_e32 vcc, 0, v2
	s_xor_b64 s[24:25], s[2:3], -1
	s_and_b64 s[28:29], s[24:25], vcc
	s_and_saveexec_b64 s[24:25], s[28:29]
	s_cbranch_execz .LBB11_852
; %bb.834:                              ;   in Loop: Header=BB11_81 Depth=1
	s_and_saveexec_b64 s[28:29], s[42:43]
	s_xor_b64 s[28:29], exec, s[28:29]
	s_cbranch_execz .LBB11_849
; %bb.835:                              ;   in Loop: Header=BB11_81 Depth=1
	s_and_saveexec_b64 s[30:31], s[12:13]
	s_cbranch_execz .LBB11_848
; %bb.836:                              ;   in Loop: Header=BB11_81 Depth=1
	s_mov_b64 s[54:55], exec
	v_mbcnt_lo_u32_b32 v2, s54, 0
	v_mbcnt_hi_u32_b32 v2, s55, v2
	v_cmp_eq_u32_e32 vcc, 0, v2
	s_waitcnt lgkmcnt(0)
	s_and_saveexec_b64 s[52:53], vcc
	s_cbranch_execz .LBB11_838
; %bb.837:                              ;   in Loop: Header=BB11_81 Depth=1
	s_bcnt1_i32_b64 vcc_lo, s[54:55]
	v_mov_b32_e32 v48, vcc_lo
	ds_add_u64 v0, v[48:49]
	s_trap 2
.LBB11_838:                             ;   in Loop: Header=BB11_81 Depth=1
	s_or_b64 exec, exec, s[52:53]
	s_trap 2
	ds_read_b64 v[2:3], v0
	v_lshl_add_u64 v[14:15], v[14:15], 0, v[50:51]
	s_waitcnt lgkmcnt(0)
	v_cmp_lt_u64_e32 vcc, v[2:3], v[14:15]
	s_and_saveexec_b64 s[52:53], vcc
	s_cbranch_execz .LBB11_847
; %bb.839:                              ;   in Loop: Header=BB11_81 Depth=1
	s_mov_b32 s64, 0
	s_mov_b64 s[54:55], 0
                                        ; implicit-def: $sgpr56_sgpr57
                                        ; implicit-def: $sgpr58_sgpr59
	s_branch .LBB11_841
.LBB11_840:                             ;   in Loop: Header=BB11_841 Depth=2
	s_or_b64 exec, exec, s[62:63]
	s_and_b64 vcc, exec, vcc
	s_or_b64 s[54:55], vcc, s[54:55]
	s_andn2_b64 vcc, s[56:57], exec
	s_and_b64 s[56:57], s[58:59], exec
	s_or_b64 s[56:57], vcc, s[56:57]
	s_andn2_b64 exec, exec, s[54:55]
	s_cbranch_execz .LBB11_845
.LBB11_841:                             ;   Parent Loop BB11_81 Depth=1
                                        ; =>  This Inner Loop Header: Depth=2
	s_add_i32 s64, s64, 1
	s_cmpk_lg_i32 s64, 0x2710
	s_cselect_b64 s[60:61], -1, 0
	s_and_b64 vcc, exec, s[60:61]
                                        ; implicit-def: $sgpr62_sgpr63
	s_cbranch_vccnz .LBB11_843
; %bb.842:                              ;   in Loop: Header=BB11_841 Depth=2
	s_trap 2
	ds_read_b64 v[2:3], v0
	s_andn2_b64 s[60:61], s[60:61], exec
	s_mov_b32 s64, 0
	s_mov_b64 s[62:63], -1
	s_waitcnt vmcnt(0) lgkmcnt(0)
	flat_load_dword v2, v[2:3] sc0 sc1
	s_waitcnt vmcnt(0) lgkmcnt(0)
	buffer_inv sc0 sc1
	v_cmp_eq_u32_e32 vcc, 0, v2
	s_and_b64 vcc, vcc, exec
	s_or_b64 s[60:61], s[60:61], vcc
.LBB11_843:                             ;   in Loop: Header=BB11_841 Depth=2
	s_andn2_b64 s[58:59], s[58:59], exec
	s_and_b64 s[62:63], s[62:63], exec
	s_mov_b64 vcc, -1
	s_or_b64 s[58:59], s[58:59], s[62:63]
	s_and_saveexec_b64 s[62:63], s[60:61]
	s_cbranch_execz .LBB11_840
; %bb.844:                              ;   in Loop: Header=BB11_841 Depth=2
	s_sleep 1
	s_trap 2
	ds_read_b64 v[2:3], v0
	s_andn2_b64 s[58:59], s[58:59], exec
	s_waitcnt lgkmcnt(0)
	v_cmp_ge_u64_e32 vcc, v[2:3], v[14:15]
	s_orn2_b64 vcc, vcc, exec
	s_branch .LBB11_840
.LBB11_845:                             ;   in Loop: Header=BB11_81 Depth=1
	s_or_b64 exec, exec, s[54:55]
	s_and_saveexec_b64 vcc, s[56:57]
	s_xor_b64 vcc, exec, vcc
	s_cbranch_execz .LBB11_847
; %bb.846:                              ;   in Loop: Header=BB11_81 Depth=1
	ds_write_b32 v0, v43
	s_trap 2
.LBB11_847:                             ;   in Loop: Header=BB11_81 Depth=1
	s_or_b64 exec, exec, s[52:53]
	;;#ASMSTART
	s_wakeup
	;;#ASMEND
.LBB11_848:                             ;   in Loop: Header=BB11_81 Depth=1
	s_or_b64 exec, exec, s[30:31]
.LBB11_849:                             ;   in Loop: Header=BB11_81 Depth=1
	s_andn2_saveexec_b64 s[28:29], s[28:29]
	s_cbranch_execz .LBB11_851
; %bb.850:                              ;   in Loop: Header=BB11_81 Depth=1
	s_waitcnt lgkmcnt(0)
	s_barrier
.LBB11_851:                             ;   in Loop: Header=BB11_81 Depth=1
	s_or_b64 exec, exec, s[28:29]
.LBB11_852:                             ;   in Loop: Header=BB11_81 Depth=1
	s_or_b64 exec, exec, s[24:25]
	s_trap 2
	s_waitcnt lgkmcnt(0)
	ds_read_b64 v[2:3], v0
	v_min_i32_e32 v10, v10, v23
	s_waitcnt lgkmcnt(0)
	v_readfirstlane_b32 s24, v2
	v_readfirstlane_b32 s25, v3
	s_cmp_eq_u64 s[24:25], 0
	s_cselect_b64 s[24:25], -1, 0
	s_or_b64 s[28:29], s[24:25], s[24:25]
	s_mov_b64 s[24:25], 0
	s_and_b64 vcc, exec, s[28:29]
	s_cbranch_vccnz .LBB11_859
; %bb.853:                              ;   in Loop: Header=BB11_81 Depth=1
	s_mov_b64 s[24:25], -1
	s_and_saveexec_b64 s[28:29], s[18:19]
	s_cbranch_execz .LBB11_855
; %bb.854:                              ;   in Loop: Header=BB11_81 Depth=1
	ds_read_b32 v2, v0 offset:720
	s_waitcnt lgkmcnt(0)
	v_and_b32_e32 v2, 15, v2
	v_cmp_eq_u32_e32 vcc, 0, v2
	s_orn2_b64 s[24:25], vcc, exec
.LBB11_855:                             ;   in Loop: Header=BB11_81 Depth=1
	s_or_b64 exec, exec, s[28:29]
	s_and_saveexec_b64 s[28:29], s[14:15]
	s_cbranch_execz .LBB11_857
; %bb.856:                              ;   in Loop: Header=BB11_81 Depth=1
	ds_read_b32 v2, v0 offset:784
	s_waitcnt lgkmcnt(0)
	v_and_b32_e32 v2, 15, v2
	v_cmp_eq_u32_e32 vcc, 0, v2
	s_and_b64 vcc, s[24:25], vcc
	s_andn2_b64 s[24:25], s[24:25], exec
	s_and_b64 vcc, vcc, exec
	s_or_b64 s[24:25], s[24:25], vcc
.LBB11_857:                             ;   in Loop: Header=BB11_81 Depth=1
	s_or_b64 exec, exec, s[28:29]
	s_xor_b64 s[24:25], s[24:25], -1
	v_cmp_eq_u32_e32 vcc, 0, v0
	v_cndmask_b32_e64 v0, 0, 1, s[24:25]
	;;#ASMSTART
	;;#ASMEND
	v_mov_b32_e32 v6, 0
	v_cndmask_b32_e32 v22, 0, v10, vcc
	s_mov_b64 s[30:31], -1
	v_cmp_ne_u32_e32 vcc, 0, v0
	v_mov_b32_e32 v0, v22
	v_mov_b32_e32 v7, v42
	v_accvgpr_read_b32 v4, a23
	s_cbranch_vccz .LBB11_871
; %bb.858:                              ;   in Loop: Header=BB11_81 Depth=1
	s_and_saveexec_b64 s[24:25], s[30:31]
	s_cbranch_execnz .LBB11_884
	s_branch .LBB11_892
.LBB11_859:                             ;   in Loop: Header=BB11_81 Depth=1
	s_and_saveexec_b64 s[28:29], s[4:5]
	s_cbranch_execz .LBB11_893
.LBB11_860:                             ;   in Loop: Header=BB11_81 Depth=1
	s_and_saveexec_b64 vcc, s[42:43]
	s_xor_b64 s[30:31], exec, vcc
	s_cbranch_execz .LBB11_901
; %bb.861:                              ;   in Loop: Header=BB11_81 Depth=1
	s_and_saveexec_b64 s[52:53], s[12:13]
	s_cbranch_execz .LBB11_900
; %bb.862:                              ;   in Loop: Header=BB11_81 Depth=1
	s_mov_b64 s[56:57], exec
	v_mbcnt_lo_u32_b32 v0, s56, 0
	v_mbcnt_hi_u32_b32 v0, s57, v0
	v_cmp_eq_u32_e32 vcc, 0, v0
	s_waitcnt lgkmcnt(0)
	s_and_saveexec_b64 s[54:55], vcc
	s_cbranch_execz .LBB11_864
; %bb.863:                              ;   in Loop: Header=BB11_81 Depth=1
	s_bcnt1_i32_b64 vcc_lo, s[56:57]
	v_mov_b32_e32 v48, vcc_lo
	ds_add_u64 v0, v[48:49]
	s_trap 2
.LBB11_864:                             ;   in Loop: Header=BB11_81 Depth=1
	s_or_b64 exec, exec, s[54:55]
	s_trap 2
	ds_read_b64 v[2:3], v0
	v_lshl_add_u64 v[14:15], v[14:15], 0, v[50:51]
	s_waitcnt lgkmcnt(0)
	v_cmp_lt_u64_e32 vcc, v[2:3], v[14:15]
	s_and_saveexec_b64 s[54:55], vcc
	s_cbranch_execz .LBB11_899
; %bb.865:                              ;   in Loop: Header=BB11_81 Depth=1
	s_mov_b32 s66, 0
	s_mov_b64 s[56:57], 0
                                        ; implicit-def: $sgpr58_sgpr59
                                        ; implicit-def: $sgpr60_sgpr61
	s_branch .LBB11_867
.LBB11_866:                             ;   in Loop: Header=BB11_867 Depth=2
	s_or_b64 exec, exec, s[64:65]
	s_and_b64 vcc, exec, vcc
	s_or_b64 s[56:57], vcc, s[56:57]
	s_andn2_b64 vcc, s[58:59], exec
	s_and_b64 s[58:59], s[60:61], exec
	s_or_b64 s[58:59], vcc, s[58:59]
	s_andn2_b64 exec, exec, s[56:57]
	s_cbranch_execz .LBB11_897
.LBB11_867:                             ;   Parent Loop BB11_81 Depth=1
                                        ; =>  This Inner Loop Header: Depth=2
	s_add_i32 s66, s66, 1
	s_cmpk_lg_i32 s66, 0x2710
	s_cselect_b64 s[62:63], -1, 0
	s_and_b64 vcc, exec, s[62:63]
                                        ; implicit-def: $sgpr64_sgpr65
	s_cbranch_vccnz .LBB11_869
; %bb.868:                              ;   in Loop: Header=BB11_867 Depth=2
	s_trap 2
	ds_read_b64 v[2:3], v0
	s_andn2_b64 s[62:63], s[62:63], exec
	s_mov_b32 s66, 0
	s_mov_b64 s[64:65], -1
	s_waitcnt vmcnt(0) lgkmcnt(0)
	flat_load_dword v0, v[2:3] sc0 sc1
	s_waitcnt vmcnt(0) lgkmcnt(0)
	buffer_inv sc0 sc1
	v_cmp_eq_u32_e32 vcc, 0, v0
	s_and_b64 vcc, vcc, exec
	s_or_b64 s[62:63], s[62:63], vcc
.LBB11_869:                             ;   in Loop: Header=BB11_867 Depth=2
	s_andn2_b64 s[60:61], s[60:61], exec
	s_and_b64 s[64:65], s[64:65], exec
	s_mov_b64 vcc, -1
	s_or_b64 s[60:61], s[60:61], s[64:65]
	s_and_saveexec_b64 s[64:65], s[62:63]
	s_cbranch_execz .LBB11_866
; %bb.870:                              ;   in Loop: Header=BB11_867 Depth=2
	s_sleep 1
	s_trap 2
	ds_read_b64 v[2:3], v0
	s_andn2_b64 s[60:61], s[60:61], exec
	s_waitcnt lgkmcnt(0)
	v_cmp_ge_u64_e32 vcc, v[2:3], v[14:15]
	s_orn2_b64 vcc, vcc, exec
	s_branch .LBB11_866
.LBB11_871:                             ;   in Loop: Header=BB11_81 Depth=1
	v_ashrrev_i32_e32 v0, 31, v22
	v_lshrrev_b32_e32 v0, 20, v0
	v_add_u32_e32 v0, v22, v0
	v_ashrrev_i32_e32 v0, 12, v0
	v_accvgpr_read_b32 v1, a23
	v_sub_u32_e32 v16, v0, v1
	v_cmp_lt_i32_e32 vcc, 0, v16
	s_and_saveexec_b64 s[24:25], vcc
	s_cbranch_execz .LBB11_875
; %bb.872:                              ;   in Loop: Header=BB11_81 Depth=1
	s_trap 2
	ds_read_b64 v[2:3], v0
	s_mov_b64 s[28:29], 0
	s_waitcnt lgkmcnt(0)
	v_mov_b64_e32 v[4:5], v[2:3]
.LBB11_873:                             ;   Parent Loop BB11_81 Depth=1
                                        ; =>  This Inner Loop Header: Depth=2
	v_lshl_add_u64 v[18:19], v[24:25], 0, v[4:5]
	global_load_dwordx4 v[6:9], v[18:19], off nt
	global_load_dwordx4 v[28:31], v[18:19], off offset:1024 nt
	global_load_dwordx4 v[32:35], v[18:19], off offset:2048 nt
	;; [unrolled: 1-line block ×3, first 2 shown]
	v_sub_u32_e32 v16, v16, v50
	v_cmp_gt_i32_e32 vcc, 1, v16
	v_lshl_add_u64 v[18:19], v[24:25], 0, v[2:3]
	v_lshl_add_u64 v[4:5], v[4:5], 0, v[58:59]
	;; [unrolled: 1-line block ×3, first 2 shown]
	s_or_b64 s[28:29], vcc, s[28:29]
	s_waitcnt vmcnt(0)
	global_store_dwordx4 v[18:19], v[6:9], off nt
	global_store_dwordx4 v[18:19], v[28:31], off offset:1024 nt
	global_store_dwordx4 v[18:19], v[32:35], off offset:2048 nt
	global_store_dwordx4 v[18:19], v[42:45], off offset:3072 nt
	s_andn2_b64 exec, exec, s[28:29]
	s_cbranch_execnz .LBB11_873
; %bb.874:                              ;   in Loop: Header=BB11_81 Depth=1
	s_or_b64 exec, exec, s[28:29]
	v_accvgpr_read_b32 v29, a19
	v_accvgpr_read_b32 v35, a25
	;; [unrolled: 1-line block ×8, first 2 shown]
	v_mov_b32_e32 v43, 1
	v_accvgpr_read_b32 v33, a20
.LBB11_875:                             ;   in Loop: Header=BB11_81 Depth=1
	s_or_b64 exec, exec, s[24:25]
	v_lshlrev_b32_e32 v8, 12, v0
	v_cmp_ne_u32_e32 vcc, v22, v8
	s_mov_b64 s[30:31], 0
	v_mov_b32_e32 v6, 0
                                        ; implicit-def: $vgpr0
                                        ; implicit-def: $vgpr7
                                        ; implicit-def: $vgpr4
	s_and_saveexec_b64 s[28:29], vcc
	s_cbranch_execz .LBB11_883
; %bb.876:                              ;   in Loop: Header=BB11_81 Depth=1
	v_lshlrev_b32_e32 v0, 6, v16
	v_accvgpr_read_b32 v1, a34
	v_sub_u32_e32 v0, v1, v0
	v_ashrrev_i32_e32 v3, 31, v0
	v_lshrrev_b32_e32 v3, 26, v3
	v_add_u32_e32 v3, v0, v3
	v_sub_u32_e32 v2, v22, v8
	v_ashrrev_i32_e32 v5, 6, v3
	v_and_b32_e32 v3, 0xffffffc0, v3
	v_sub_u32_e32 v16, v0, v3
	v_ashrrev_i32_e32 v3, 31, v2
	v_lshrrev_b32_e32 v3, 22, v3
	v_add_u32_e32 v3, v2, v3
	v_and_b32_e32 v17, 0xfffffc00, v3
	v_lshlrev_b32_e32 v0, 4, v16
	v_sub_u32_e32 v19, v2, v17
	v_lshl_add_u32 v4, v5, 10, v0
	v_ashrrev_i32_e32 v6, 10, v3
	v_cmp_lt_i32_e32 vcc, 15, v19
	v_sub_u32_e32 v0, v2, v4
	s_nop 0
	v_addc_co_u32_e64 v2, s[24:25], 0, v6, vcc
	v_sub_u32_e32 v18, v2, v5
	v_cmp_lt_i32_e64 s[24:25], 15, v0
	s_and_saveexec_b64 s[30:31], s[24:25]
	s_cbranch_execz .LBB11_880
; %bb.877:                              ;   in Loop: Header=BB11_81 Depth=1
	s_trap 2
	ds_read_b64 v[2:3], v0
	v_add_u32_e32 v4, v4, v8
	v_ashrrev_i32_e32 v5, 31, v4
	s_mov_b64 s[52:53], 0
.LBB11_878:                             ;   Parent Loop BB11_81 Depth=1
                                        ; =>  This Inner Loop Header: Depth=2
	s_waitcnt lgkmcnt(0)
	v_lshl_add_u64 v[6:7], v[2:3], 0, v[4:5]
	global_load_dwordx4 v[28:31], v[6:7], off nt
	v_sub_u32_e32 v0, v0, v33
	v_cmp_gt_i32_e64 s[24:25], 16, v0
	v_sub_u32_e32 v18, v18, v50
	v_lshl_add_u64 v[4:5], v[4:5], 0, v[60:61]
	s_or_b64 s[52:53], s[24:25], s[52:53]
	s_waitcnt vmcnt(0)
	global_store_dwordx4 v[6:7], v[28:31], off nt
	s_andn2_b64 exec, exec, s[52:53]
	s_cbranch_execnz .LBB11_878
; %bb.879:                              ;   in Loop: Header=BB11_81 Depth=1
	s_or_b64 exec, exec, s[52:53]
	v_accvgpr_read_b32 v29, a19
	v_accvgpr_read_b32 v31, a27
	;; [unrolled: 1-line block ×4, first 2 shown]
.LBB11_880:                             ;   in Loop: Header=BB11_81 Depth=1
	s_or_b64 exec, exec, s[30:31]
	v_and_b32_e32 v2, 15, v22
	v_cndmask_b32_e32 v0, v19, v2, vcc
	v_cmp_ne_u32_e64 s[24:25], 0, v0
	s_mov_b64 s[30:31], 0
	v_mov_b32_e32 v6, 0
                                        ; implicit-def: $vgpr7
                                        ; implicit-def: $vgpr4
	s_and_saveexec_b64 s[52:53], s[24:25]
	s_cbranch_execz .LBB11_882
; %bb.881:                              ;   in Loop: Header=BB11_81 Depth=1
	v_sub_u32_e32 v2, v19, v2
	v_cndmask_b32_e32 v2, 0, v2, vcc
	v_cmp_lt_i32_e32 vcc, 0, v18
	v_add3_u32 v6, v17, v8, v2
	s_mov_b64 s[30:31], exec
	v_cndmask_b32_e32 v2, 0, v50, vcc
	v_sub_u32_e32 v2, v2, v18
	v_lshl_add_u32 v7, v2, 6, v16
	v_ashrrev_i32_e32 v2, 31, v7
	v_lshrrev_b32_e32 v2, 26, v2
	v_add_u32_e32 v2, v7, v2
	v_ashrrev_i32_e32 v4, 6, v2
.LBB11_882:                             ;   in Loop: Header=BB11_81 Depth=1
	s_or_b64 exec, exec, s[52:53]
	s_and_b64 s[30:31], s[30:31], exec
.LBB11_883:                             ;   in Loop: Header=BB11_81 Depth=1
	s_or_b64 exec, exec, s[28:29]
	s_and_saveexec_b64 s[24:25], s[30:31]
	s_cbranch_execz .LBB11_892
.LBB11_884:                             ;   in Loop: Header=BB11_81 Depth=1
	v_ashrrev_i32_e32 v2, 31, v0
	v_lshrrev_b32_e32 v2, 22, v2
	v_add_u32_e32 v2, v0, v2
	v_ashrrev_i32_e32 v17, 10, v2
	v_sub_u32_e32 v8, v17, v4
	v_ashrrev_i32_e32 v2, 31, v7
	v_cmp_lt_i32_e32 vcc, 0, v8
	v_lshrrev_b32_e32 v16, 26, v2
	s_and_saveexec_b64 s[28:29], vcc
	s_cbranch_execz .LBB11_888
; %bb.885:                              ;   in Loop: Header=BB11_81 Depth=1
	s_trap 2
	ds_read_b64 v[2:3], v0
	v_add_u32_e32 v5, v7, v16
	v_and_b32_e32 v5, 0xffffffc0, v5
	v_sub_u32_e32 v5, v7, v5
	v_lshlrev_b32_e32 v4, 10, v4
	v_add3_u32 v4, v6, v5, v4
	v_ashrrev_i32_e32 v5, 31, v4
	s_mov_b64 s[30:31], 0
	s_waitcnt lgkmcnt(0)
	v_mov_b64_e32 v[18:19], v[2:3]
.LBB11_886:                             ;   Parent Loop BB11_81 Depth=1
                                        ; =>  This Inner Loop Header: Depth=2
	v_lshl_add_u64 v[28:29], v[4:5], 0, v[18:19]
	flat_load_ubyte v9, v[28:29] nt
	flat_load_ubyte v23, v[28:29] offset:64 nt
	flat_load_ubyte v30, v[28:29] offset:128 nt
	;; [unrolled: 1-line block ×15, first 2 shown]
	v_sub_u32_e32 v8, v8, v50
	v_cmp_gt_i32_e32 vcc, 1, v8
	v_lshl_add_u64 v[28:29], v[4:5], 0, v[2:3]
	v_lshl_add_u64 v[18:19], v[18:19], 0, v[60:61]
	;; [unrolled: 1-line block ×3, first 2 shown]
	s_or_b64 s[30:31], vcc, s[30:31]
	s_waitcnt vmcnt(0) lgkmcnt(0)
	flat_store_byte v[28:29], v9 nt
	flat_store_byte v[28:29], v23 offset:64 nt
	flat_store_byte v[28:29], v30 offset:128 nt
	;; [unrolled: 1-line block ×15, first 2 shown]
	s_andn2_b64 exec, exec, s[30:31]
	s_cbranch_execnz .LBB11_886
; %bb.887:                              ;   in Loop: Header=BB11_81 Depth=1
	s_or_b64 exec, exec, s[30:31]
	v_accvgpr_read_b32 v53, a7
	v_accvgpr_read_b32 v29, a19
	;; [unrolled: 1-line block ×10, first 2 shown]
	v_mov_b32_e32 v43, 1
	v_accvgpr_read_b32 v33, a20
	v_accvgpr_read_b32 v23, a35
.LBB11_888:                             ;   in Loop: Header=BB11_81 Depth=1
	s_or_b64 exec, exec, s[28:29]
	v_lshlrev_b32_e32 v2, 10, v17
	v_cmp_ne_u32_e32 vcc, v0, v2
	s_and_b64 exec, exec, vcc
	s_cbranch_execz .LBB11_892
; %bb.889:                              ;   in Loop: Header=BB11_81 Depth=1
	v_add_u32_e32 v3, v7, v16
	v_and_b32_e32 v3, 0xffffffc0, v3
	v_sub_u32_e32 v3, v7, v3
	v_lshlrev_b32_e32 v4, 6, v8
	v_sub_u32_e32 v3, v3, v4
	v_add_u32_e32 v4, v2, v3
	v_sub_u32_e32 v0, v0, v4
	v_cmp_lt_i32_e32 vcc, 0, v0
	s_and_b64 exec, exec, vcc
	s_cbranch_execz .LBB11_892
; %bb.890:                              ;   in Loop: Header=BB11_81 Depth=1
	s_trap 2
	ds_read_b64 v[2:3], v0
	v_add_u32_e32 v4, v4, v6
	v_ashrrev_i32_e32 v5, 31, v4
	s_mov_b64 s[28:29], 0
.LBB11_891:                             ;   Parent Loop BB11_81 Depth=1
                                        ; =>  This Inner Loop Header: Depth=2
	s_waitcnt lgkmcnt(0)
	v_lshl_add_u64 v[6:7], v[2:3], 0, v[4:5]
	flat_load_ubyte v8, v[6:7] nt
	v_sub_u32_e32 v0, v0, v11
	v_cmp_gt_i32_e32 vcc, 1, v0
	v_lshl_add_u64 v[4:5], v[4:5], 0, v[56:57]
	s_or_b64 s[28:29], vcc, s[28:29]
	s_waitcnt vmcnt(0) lgkmcnt(0)
	flat_store_byte v[6:7], v8 nt
	s_andn2_b64 exec, exec, s[28:29]
	s_cbranch_execnz .LBB11_891
.LBB11_892:                             ;   in Loop: Header=BB11_81 Depth=1
	s_or_b64 exec, exec, s[24:25]
	v_cmp_lt_i32_e64 s[24:25], 0, v22
	s_and_saveexec_b64 s[28:29], s[4:5]
	s_cbranch_execnz .LBB11_860
.LBB11_893:                             ;   in Loop: Header=BB11_81 Depth=1
	s_or_b64 exec, exec, s[28:29]
	s_and_saveexec_b64 s[28:29], s[20:21]
	s_xor_b64 s[28:29], exec, s[28:29]
	s_cbranch_execz .LBB11_904
.LBB11_894:                             ;   in Loop: Header=BB11_81 Depth=1
	v_and_b32_e32 v0, 16, v62
	v_cmp_ne_u32_e32 vcc, 0, v0
	s_and_b64 vcc, vcc, s[24:25]
	s_and_saveexec_b64 s[24:25], vcc
	s_cbranch_execz .LBB11_896
; %bb.895:                              ;   in Loop: Header=BB11_81 Depth=1
	buffer_wbl2 sc1
	s_waitcnt vmcnt(0) lgkmcnt(0)
	buffer_inv sc1
.LBB11_896:                             ;   in Loop: Header=BB11_81 Depth=1
	s_or_b64 exec, exec, s[24:25]
	s_andn2_saveexec_b64 s[24:25], s[28:29]
	s_cbranch_execz .LBB11_923
	s_branch .LBB11_905
.LBB11_897:                             ;   in Loop: Header=BB11_81 Depth=1
	s_or_b64 exec, exec, s[56:57]
	s_and_saveexec_b64 vcc, s[58:59]
	s_xor_b64 vcc, exec, vcc
	s_cbranch_execz .LBB11_899
; %bb.898:                              ;   in Loop: Header=BB11_81 Depth=1
	ds_write_b32 v0, v43
	s_trap 2
.LBB11_899:                             ;   in Loop: Header=BB11_81 Depth=1
	s_or_b64 exec, exec, s[54:55]
	;;#ASMSTART
	s_wakeup
	;;#ASMEND
.LBB11_900:                             ;   in Loop: Header=BB11_81 Depth=1
	s_or_b64 exec, exec, s[52:53]
.LBB11_901:                             ;   in Loop: Header=BB11_81 Depth=1
	s_andn2_saveexec_b64 vcc, s[30:31]
	s_cbranch_execz .LBB11_903
; %bb.902:                              ;   in Loop: Header=BB11_81 Depth=1
	s_waitcnt lgkmcnt(0)
	s_barrier
.LBB11_903:                             ;   in Loop: Header=BB11_81 Depth=1
	s_or_b64 exec, exec, vcc
	s_or_b64 exec, exec, s[28:29]
	s_and_saveexec_b64 s[28:29], s[20:21]
	s_xor_b64 s[28:29], exec, s[28:29]
	s_cbranch_execnz .LBB11_894
.LBB11_904:                             ;   in Loop: Header=BB11_81 Depth=1
	s_andn2_saveexec_b64 s[24:25], s[28:29]
	s_cbranch_execz .LBB11_923
.LBB11_905:                             ;   in Loop: Header=BB11_81 Depth=1
	s_and_saveexec_b64 s[28:29], s[42:43]
	s_xor_b64 s[28:29], exec, s[28:29]
	s_cbranch_execz .LBB11_920
; %bb.906:                              ;   in Loop: Header=BB11_81 Depth=1
	s_and_saveexec_b64 s[30:31], s[12:13]
	s_cbranch_execz .LBB11_919
; %bb.907:                              ;   in Loop: Header=BB11_81 Depth=1
	s_mov_b64 s[54:55], exec
	v_mbcnt_lo_u32_b32 v0, s54, 0
	v_mbcnt_hi_u32_b32 v0, s55, v0
	v_cmp_eq_u32_e32 vcc, 0, v0
	;;#ASMSTART
	s_waitcnt lgkmcnt(0) vmcnt(0)
	;;#ASMEND
	s_and_saveexec_b64 s[52:53], vcc
	s_cbranch_execz .LBB11_909
; %bb.908:                              ;   in Loop: Header=BB11_81 Depth=1
	s_bcnt1_i32_b64 vcc_lo, s[54:55]
	v_mov_b32_e32 v48, vcc_lo
	ds_add_u64 v0, v[48:49]
	s_trap 2
.LBB11_909:                             ;   in Loop: Header=BB11_81 Depth=1
	s_or_b64 exec, exec, s[52:53]
	s_trap 2
	ds_read_b64 v[2:3], v0
	v_lshl_add_u64 v[14:15], v[14:15], 0, v[50:51]
	s_waitcnt lgkmcnt(0)
	v_cmp_lt_u64_e32 vcc, v[2:3], v[14:15]
	s_and_saveexec_b64 s[52:53], vcc
	s_cbranch_execz .LBB11_918
; %bb.910:                              ;   in Loop: Header=BB11_81 Depth=1
	s_mov_b32 s64, 0
	s_mov_b64 s[54:55], 0
                                        ; implicit-def: $sgpr56_sgpr57
                                        ; implicit-def: $sgpr58_sgpr59
	s_branch .LBB11_912
.LBB11_911:                             ;   in Loop: Header=BB11_912 Depth=2
	s_or_b64 exec, exec, s[62:63]
	s_and_b64 vcc, exec, vcc
	s_or_b64 s[54:55], vcc, s[54:55]
	s_andn2_b64 vcc, s[56:57], exec
	s_and_b64 s[56:57], s[58:59], exec
	s_or_b64 s[56:57], vcc, s[56:57]
	s_andn2_b64 exec, exec, s[54:55]
	s_cbranch_execz .LBB11_916
.LBB11_912:                             ;   Parent Loop BB11_81 Depth=1
                                        ; =>  This Inner Loop Header: Depth=2
	s_add_i32 s64, s64, 1
	s_cmpk_lg_i32 s64, 0x2710
	s_cselect_b64 s[60:61], -1, 0
	s_and_b64 vcc, exec, s[60:61]
                                        ; implicit-def: $sgpr62_sgpr63
	s_cbranch_vccnz .LBB11_914
; %bb.913:                              ;   in Loop: Header=BB11_912 Depth=2
	s_trap 2
	ds_read_b64 v[2:3], v0
	s_andn2_b64 s[60:61], s[60:61], exec
	s_mov_b32 s64, 0
	s_mov_b64 s[62:63], -1
	s_waitcnt vmcnt(0) lgkmcnt(0)
	flat_load_dword v0, v[2:3] sc0 sc1
	s_waitcnt vmcnt(0) lgkmcnt(0)
	buffer_inv sc0 sc1
	v_cmp_eq_u32_e32 vcc, 0, v0
	s_and_b64 vcc, vcc, exec
	s_or_b64 s[60:61], s[60:61], vcc
.LBB11_914:                             ;   in Loop: Header=BB11_912 Depth=2
	s_andn2_b64 s[58:59], s[58:59], exec
	s_and_b64 s[62:63], s[62:63], exec
	s_mov_b64 vcc, -1
	s_or_b64 s[58:59], s[58:59], s[62:63]
	s_and_saveexec_b64 s[62:63], s[60:61]
	s_cbranch_execz .LBB11_911
; %bb.915:                              ;   in Loop: Header=BB11_912 Depth=2
	s_sleep 1
	s_trap 2
	ds_read_b64 v[2:3], v0
	s_andn2_b64 s[58:59], s[58:59], exec
	s_waitcnt lgkmcnt(0)
	v_cmp_ge_u64_e32 vcc, v[2:3], v[14:15]
	s_orn2_b64 vcc, vcc, exec
	s_branch .LBB11_911
.LBB11_916:                             ;   in Loop: Header=BB11_81 Depth=1
	s_or_b64 exec, exec, s[54:55]
	s_and_saveexec_b64 vcc, s[56:57]
	s_xor_b64 vcc, exec, vcc
	s_cbranch_execz .LBB11_918
; %bb.917:                              ;   in Loop: Header=BB11_81 Depth=1
	ds_write_b32 v0, v43
	s_trap 2
.LBB11_918:                             ;   in Loop: Header=BB11_81 Depth=1
	s_or_b64 exec, exec, s[52:53]
	;;#ASMSTART
	s_wakeup
	;;#ASMEND
.LBB11_919:                             ;   in Loop: Header=BB11_81 Depth=1
	s_or_b64 exec, exec, s[30:31]
.LBB11_920:                             ;   in Loop: Header=BB11_81 Depth=1
	s_andn2_saveexec_b64 s[28:29], s[28:29]
	s_cbranch_execz .LBB11_922
; %bb.921:                              ;   in Loop: Header=BB11_81 Depth=1
	;;#ASMSTART
	s_waitcnt lgkmcnt(0) vmcnt(0)
	;;#ASMEND
	s_barrier
.LBB11_922:                             ;   in Loop: Header=BB11_81 Depth=1
	s_or_b64 exec, exec, s[28:29]
.LBB11_923:                             ;   in Loop: Header=BB11_81 Depth=1
	s_or_b64 exec, exec, s[24:25]
	v_and_b32_e32 v0, 32, v62
	v_cmp_ne_u32_e32 vcc, 0, v0
	s_and_saveexec_b64 s[24:25], vcc
	s_cbranch_execz .LBB11_925
; %bb.924:                              ;   in Loop: Header=BB11_81 Depth=1
	v_lshl_add_u64 v[38:39], v[38:39], 0, 4
	flat_store_dwordx2 v[26:27], v[38:39] sc0 sc1
.LBB11_925:                             ;   in Loop: Header=BB11_81 Depth=1
	s_or_b64 exec, exec, s[24:25]
	v_mov_b32_e32 v18, v10
.LBB11_926:                             ;   in Loop: Header=BB11_81 Depth=1
	s_or_b64 exec, exec, s[26:27]
	s_and_saveexec_b64 s[24:25], s[22:23]
	s_cbranch_execz .LBB11_80
; %bb.927:                              ;   in Loop: Header=BB11_81 Depth=1
	v_and_b32_e32 v0, 4, v62
	v_cmp_ne_u32_e32 vcc, 0, v0
	s_mov_b64 s[26:27], -1
	s_and_saveexec_b64 s[22:23], vcc
	s_cbranch_execz .LBB11_937
; %bb.928:                              ;   in Loop: Header=BB11_81 Depth=1
	v_lshl_add_u64 v[2:3], v[38:39], 0, 4
	v_cmp_lt_u64_e32 vcc, v[36:37], v[2:3]
	v_mov_b32_e32 v0, 1
	s_and_saveexec_b64 s[26:27], vcc
	s_cbranch_execz .LBB11_952
; %bb.929:                              ;   in Loop: Header=BB11_81 Depth=1
	s_mov_b64 s[28:29], 0
	v_mov_b32_e32 v0, 0
                                        ; implicit-def: $sgpr30_sgpr31
	s_branch .LBB11_933
.LBB11_930:                             ;   in Loop: Header=BB11_933 Depth=2
	s_or_b64 exec, exec, s[58:59]
	v_mov_b32_e32 v4, 0
	s_orn2_b64 s[56:57], s[56:57], exec
.LBB11_931:                             ;   in Loop: Header=BB11_933 Depth=2
	s_or_b64 exec, exec, s[54:55]
	s_andn2_b64 vcc, s[30:31], exec
	s_and_b64 s[30:31], s[56:57], exec
	s_or_b64 s[30:31], vcc, s[30:31]
	v_mov_b32_e32 v0, v4
.LBB11_932:                             ;   in Loop: Header=BB11_933 Depth=2
	s_or_b64 exec, exec, s[52:53]
	s_waitcnt vmcnt(0) lgkmcnt(0)
	v_cmp_ge_u64_e32 vcc, v[36:37], v[2:3]
	s_xor_b64 s[52:53], s[30:31], -1
	s_or_b64 vcc, s[52:53], vcc
	s_and_b64 vcc, exec, vcc
	s_or_b64 s[28:29], vcc, s[28:29]
	s_andn2_b64 exec, exec, s[28:29]
	s_cbranch_execz .LBB11_951
.LBB11_933:                             ;   Parent Loop BB11_81 Depth=1
                                        ; =>  This Inner Loop Header: Depth=2
	s_sleep 1
	flat_load_dwordx2 v[36:37], v[26:27] sc0 sc1
	v_and_b32_e32 v4, 64, v62
	v_cmp_eq_u32_e32 vcc, 0, v4
	s_andn2_b64 s[30:31], s[30:31], exec
	s_and_saveexec_b64 s[52:53], vcc
	s_cbranch_execz .LBB11_932
; %bb.934:                              ;   in Loop: Header=BB11_933 Depth=2
	v_add_u32_e32 v4, 1, v0
	v_cmp_lt_i32_e32 vcc, s76, v0
	s_mov_b64 s[56:57], -1
	s_and_saveexec_b64 s[54:55], vcc
	s_cbranch_execz .LBB11_931
; %bb.935:                              ;   in Loop: Header=BB11_933 Depth=2
	s_trap 2
	ds_read_b64 v[4:5], v0
	s_waitcnt vmcnt(0) lgkmcnt(0)
	flat_load_dword v0, v[4:5] sc0 sc1
	s_waitcnt vmcnt(0) lgkmcnt(0)
	buffer_inv sc0 sc1
	v_cmp_ne_u32_e32 vcc, 0, v0
	s_and_saveexec_b64 s[58:59], vcc
	s_cbranch_execz .LBB11_930
; %bb.936:                              ;   in Loop: Header=BB11_933 Depth=2
	v_or_b32_e32 v62, 64, v62
	s_xor_b64 s[56:57], exec, -1
	ds_write_b32 v0, v0
	s_trap 2
	s_branch .LBB11_930
.LBB11_937:                             ;   in Loop: Header=BB11_81 Depth=1
	s_or_b64 exec, exec, s[22:23]
	s_xor_b64 s[22:23], s[26:27], -1
	s_and_saveexec_b64 s[26:27], s[22:23]
	s_cbranch_execz .LBB11_953
.LBB11_938:                             ;   in Loop: Header=BB11_81 Depth=1
	v_and_b32_e32 v0, 0x100, v62
	v_cmp_ne_u32_e32 vcc, 0, v0
	v_and_b32_e32 v0, 7, v38
	s_mov_b64 s[22:23], -1
                                        ; implicit-def: $vgpr2_vgpr3
	s_and_saveexec_b64 s[28:29], vcc
	s_cbranch_execz .LBB11_942
; %bb.939:                              ;   in Loop: Header=BB11_81 Depth=1
	v_mad_u64_u32 v[4:5], s[22:23], v0, 24, v[28:29]
	flat_load_dword v2, v[4:5]
	s_waitcnt vmcnt(0) lgkmcnt(0)
	v_cmp_ne_u32_e32 vcc, 1, v2
	v_cmp_eq_u32_e64 s[22:23], 1, v2
                                        ; implicit-def: $vgpr2_vgpr3
	s_and_saveexec_b64 s[30:31], s[22:23]
	s_cbranch_execz .LBB11_941
; %bb.940:                              ;   in Loop: Header=BB11_81 Depth=1
	flat_load_dword v2, v[4:5] offset:4 sc0 sc1
	s_waitcnt vmcnt(0) lgkmcnt(0)
	v_ashrrev_i32_e32 v3, 31, v2
.LBB11_941:                             ;   in Loop: Header=BB11_81 Depth=1
	s_or_b64 exec, exec, s[30:31]
	s_orn2_b64 s[22:23], vcc, exec
.LBB11_942:                             ;   in Loop: Header=BB11_81 Depth=1
	s_or_b64 exec, exec, s[28:29]
	s_and_saveexec_b64 s[28:29], s[22:23]
; %bb.943:                              ;   in Loop: Header=BB11_81 Depth=1
	v_mad_i64_i32 v[2:3], s[22:23], v0, v32, 0
; %bb.944:                              ;   in Loop: Header=BB11_81 Depth=1
	s_or_b64 exec, exec, s[28:29]
	v_lshl_add_u64 v[2:3], v[34:35], 0, v[2:3]
	ds_write_b64 v0, v[2:3] offset:720
	v_and_b32_e32 v0, 0x2000, v62
	v_cmp_ne_u32_e32 vcc, 0, v0
	s_and_saveexec_b64 s[22:23], vcc
	s_cbranch_execz .LBB11_946
; %bb.945:                              ;   in Loop: Header=BB11_81 Depth=1
	ds_read_b64 v[2:3], v0 offset:584
	s_waitcnt lgkmcnt(0)
	v_lshl_add_u64 v[2:3], v[2:3], 0, 1
	ds_write_b64 v0, v[2:3] offset:584
.LBB11_946:                             ;   in Loop: Header=BB11_81 Depth=1
	s_or_b64 exec, exec, s[22:23]
	v_lshl_add_u64 v[38:39], v[38:39], 0, 4
	s_or_b64 exec, exec, s[26:27]
	s_and_saveexec_b64 s[22:23], s[4:5]
	s_cbranch_execnz .LBB11_954
.LBB11_947:                             ;   in Loop: Header=BB11_81 Depth=1
	s_or_b64 exec, exec, s[22:23]
	s_and_saveexec_b64 s[22:23], s[20:21]
	s_xor_b64 s[22:23], exec, s[22:23]
	s_cbranch_execz .LBB11_972
.LBB11_948:                             ;   in Loop: Header=BB11_81 Depth=1
	s_trap 2
	ds_read_b32 v0, v0
	v_sub_u32_e32 v2, v23, v18
	v_min_i32_e32 v2, v10, v2
	v_cmp_lt_i32_e32 vcc, 0, v2
	s_waitcnt lgkmcnt(0)
	v_readfirstlane_b32 s26, v0
	s_cmp_eq_u32 s26, 0
	s_cselect_b64 s[26:27], -1, 0
	v_and_b32_e32 v0, 16, v62
	s_and_b64 s[26:27], vcc, s[26:27]
	v_cmp_ne_u32_e32 vcc, 0, v0
	s_and_b64 s[28:29], vcc, s[26:27]
	s_and_saveexec_b64 s[26:27], s[28:29]
	s_cbranch_execz .LBB11_950
; %bb.949:                              ;   in Loop: Header=BB11_81 Depth=1
	buffer_wbl2 sc1
	s_waitcnt vmcnt(0)
	buffer_inv sc1
.LBB11_950:                             ;   in Loop: Header=BB11_81 Depth=1
	s_or_b64 exec, exec, s[26:27]
	s_andn2_saveexec_b64 s[22:23], s[22:23]
	s_cbranch_execz .LBB11_991
	s_branch .LBB11_973
.LBB11_951:                             ;   in Loop: Header=BB11_81 Depth=1
	s_or_b64 exec, exec, s[28:29]
	v_and_b32_e32 v0, 4, v62
.LBB11_952:                             ;   in Loop: Header=BB11_81 Depth=1
	s_or_b64 exec, exec, s[26:27]
	v_cmp_eq_u32_e32 vcc, 0, v0
	s_orn2_b64 s[26:27], vcc, exec
	;;#ASMSTART
	s_wakeup
	;;#ASMEND
	s_or_b64 exec, exec, s[22:23]
	s_xor_b64 s[22:23], s[26:27], -1
	s_and_saveexec_b64 s[26:27], s[22:23]
	s_cbranch_execnz .LBB11_938
.LBB11_953:                             ;   in Loop: Header=BB11_81 Depth=1
	s_or_b64 exec, exec, s[26:27]
	s_and_saveexec_b64 s[22:23], s[4:5]
	s_cbranch_execz .LBB11_947
.LBB11_954:                             ;   in Loop: Header=BB11_81 Depth=1
	s_and_saveexec_b64 s[26:27], s[42:43]
	s_xor_b64 s[26:27], exec, s[26:27]
	s_cbranch_execz .LBB11_969
; %bb.955:                              ;   in Loop: Header=BB11_81 Depth=1
	s_and_saveexec_b64 s[28:29], s[12:13]
	s_cbranch_execz .LBB11_968
; %bb.956:                              ;   in Loop: Header=BB11_81 Depth=1
	s_mov_b64 s[52:53], exec
	v_mbcnt_lo_u32_b32 v0, s52, 0
	v_mbcnt_hi_u32_b32 v0, s53, v0
	v_cmp_eq_u32_e32 vcc, 0, v0
	s_waitcnt lgkmcnt(0)
	s_and_saveexec_b64 s[30:31], vcc
	s_cbranch_execz .LBB11_958
; %bb.957:                              ;   in Loop: Header=BB11_81 Depth=1
	s_bcnt1_i32_b64 vcc_lo, s[52:53]
	v_mov_b32_e32 v48, vcc_lo
	ds_add_u64 v0, v[48:49]
	s_trap 2
.LBB11_958:                             ;   in Loop: Header=BB11_81 Depth=1
	s_or_b64 exec, exec, s[30:31]
	s_trap 2
	ds_read_b64 v[2:3], v0
	v_lshl_add_u64 v[14:15], v[14:15], 0, v[50:51]
	s_waitcnt lgkmcnt(0)
	v_cmp_lt_u64_e32 vcc, v[2:3], v[14:15]
	s_and_saveexec_b64 s[30:31], vcc
	s_cbranch_execz .LBB11_967
; %bb.959:                              ;   in Loop: Header=BB11_81 Depth=1
	s_mov_b32 s62, 0
	s_mov_b64 s[52:53], 0
                                        ; implicit-def: $sgpr54_sgpr55
                                        ; implicit-def: $sgpr56_sgpr57
	s_branch .LBB11_961
.LBB11_960:                             ;   in Loop: Header=BB11_961 Depth=2
	s_or_b64 exec, exec, s[60:61]
	s_and_b64 vcc, exec, vcc
	s_or_b64 s[52:53], vcc, s[52:53]
	s_andn2_b64 vcc, s[54:55], exec
	s_and_b64 s[54:55], s[56:57], exec
	s_or_b64 s[54:55], vcc, s[54:55]
	s_andn2_b64 exec, exec, s[52:53]
	s_cbranch_execz .LBB11_965
.LBB11_961:                             ;   Parent Loop BB11_81 Depth=1
                                        ; =>  This Inner Loop Header: Depth=2
	s_add_i32 s62, s62, 1
	s_cmpk_lg_i32 s62, 0x2710
	s_cselect_b64 s[58:59], -1, 0
	s_and_b64 vcc, exec, s[58:59]
                                        ; implicit-def: $sgpr60_sgpr61
	s_cbranch_vccnz .LBB11_963
; %bb.962:                              ;   in Loop: Header=BB11_961 Depth=2
	s_trap 2
	ds_read_b64 v[2:3], v0
	s_andn2_b64 s[58:59], s[58:59], exec
	s_mov_b32 s62, 0
	s_mov_b64 s[60:61], -1
	s_waitcnt vmcnt(0) lgkmcnt(0)
	flat_load_dword v0, v[2:3] sc0 sc1
	s_waitcnt vmcnt(0) lgkmcnt(0)
	buffer_inv sc0 sc1
	v_cmp_eq_u32_e32 vcc, 0, v0
	s_and_b64 vcc, vcc, exec
	s_or_b64 s[58:59], s[58:59], vcc
.LBB11_963:                             ;   in Loop: Header=BB11_961 Depth=2
	s_andn2_b64 s[56:57], s[56:57], exec
	s_and_b64 s[60:61], s[60:61], exec
	s_mov_b64 vcc, -1
	s_or_b64 s[56:57], s[56:57], s[60:61]
	s_and_saveexec_b64 s[60:61], s[58:59]
	s_cbranch_execz .LBB11_960
; %bb.964:                              ;   in Loop: Header=BB11_961 Depth=2
	s_sleep 1
	s_trap 2
	ds_read_b64 v[2:3], v0
	s_andn2_b64 s[56:57], s[56:57], exec
	s_waitcnt lgkmcnt(0)
	v_cmp_ge_u64_e32 vcc, v[2:3], v[14:15]
	s_orn2_b64 vcc, vcc, exec
	s_branch .LBB11_960
.LBB11_965:                             ;   in Loop: Header=BB11_81 Depth=1
	s_or_b64 exec, exec, s[52:53]
	s_and_saveexec_b64 vcc, s[54:55]
	s_xor_b64 vcc, exec, vcc
	s_cbranch_execz .LBB11_967
; %bb.966:                              ;   in Loop: Header=BB11_81 Depth=1
	ds_write_b32 v0, v43
	s_trap 2
.LBB11_967:                             ;   in Loop: Header=BB11_81 Depth=1
	s_or_b64 exec, exec, s[30:31]
	;;#ASMSTART
	s_wakeup
	;;#ASMEND
.LBB11_968:                             ;   in Loop: Header=BB11_81 Depth=1
	s_or_b64 exec, exec, s[28:29]
.LBB11_969:                             ;   in Loop: Header=BB11_81 Depth=1
	s_andn2_saveexec_b64 s[26:27], s[26:27]
	s_cbranch_execz .LBB11_971
; %bb.970:                              ;   in Loop: Header=BB11_81 Depth=1
	s_waitcnt lgkmcnt(0)
	s_barrier
.LBB11_971:                             ;   in Loop: Header=BB11_81 Depth=1
	s_or_b64 exec, exec, s[26:27]
	s_or_b64 exec, exec, s[22:23]
	s_and_saveexec_b64 s[22:23], s[20:21]
	s_xor_b64 s[22:23], exec, s[22:23]
	s_cbranch_execnz .LBB11_948
.LBB11_972:                             ;   in Loop: Header=BB11_81 Depth=1
	s_andn2_saveexec_b64 s[22:23], s[22:23]
	s_cbranch_execz .LBB11_991
.LBB11_973:                             ;   in Loop: Header=BB11_81 Depth=1
	s_and_saveexec_b64 s[26:27], s[42:43]
	s_xor_b64 s[26:27], exec, s[26:27]
	s_cbranch_execz .LBB11_988
; %bb.974:                              ;   in Loop: Header=BB11_81 Depth=1
	s_and_saveexec_b64 s[28:29], s[12:13]
	s_cbranch_execz .LBB11_987
; %bb.975:                              ;   in Loop: Header=BB11_81 Depth=1
	s_mov_b64 s[52:53], exec
	v_mbcnt_lo_u32_b32 v0, s52, 0
	v_mbcnt_hi_u32_b32 v0, s53, v0
	v_cmp_eq_u32_e32 vcc, 0, v0
	;;#ASMSTART
	s_waitcnt lgkmcnt(0) vmcnt(0)
	;;#ASMEND
	s_and_saveexec_b64 s[30:31], vcc
	s_cbranch_execz .LBB11_977
; %bb.976:                              ;   in Loop: Header=BB11_81 Depth=1
	s_bcnt1_i32_b64 vcc_lo, s[52:53]
	v_mov_b32_e32 v48, vcc_lo
	ds_add_u64 v0, v[48:49]
	s_trap 2
.LBB11_977:                             ;   in Loop: Header=BB11_81 Depth=1
	s_or_b64 exec, exec, s[30:31]
	s_trap 2
	ds_read_b64 v[2:3], v0
	v_lshl_add_u64 v[14:15], v[14:15], 0, v[50:51]
	s_waitcnt lgkmcnt(0)
	v_cmp_lt_u64_e32 vcc, v[2:3], v[14:15]
	s_and_saveexec_b64 s[30:31], vcc
	s_cbranch_execz .LBB11_986
; %bb.978:                              ;   in Loop: Header=BB11_81 Depth=1
	s_mov_b32 s62, 0
	s_mov_b64 s[52:53], 0
                                        ; implicit-def: $sgpr54_sgpr55
                                        ; implicit-def: $sgpr56_sgpr57
	s_branch .LBB11_980
.LBB11_979:                             ;   in Loop: Header=BB11_980 Depth=2
	s_or_b64 exec, exec, s[60:61]
	s_and_b64 vcc, exec, vcc
	s_or_b64 s[52:53], vcc, s[52:53]
	s_andn2_b64 vcc, s[54:55], exec
	s_and_b64 s[54:55], s[56:57], exec
	s_or_b64 s[54:55], vcc, s[54:55]
	s_andn2_b64 exec, exec, s[52:53]
	s_cbranch_execz .LBB11_984
.LBB11_980:                             ;   Parent Loop BB11_81 Depth=1
                                        ; =>  This Inner Loop Header: Depth=2
	s_add_i32 s62, s62, 1
	s_cmpk_lg_i32 s62, 0x2710
	s_cselect_b64 s[58:59], -1, 0
	s_and_b64 vcc, exec, s[58:59]
                                        ; implicit-def: $sgpr60_sgpr61
	s_cbranch_vccnz .LBB11_982
; %bb.981:                              ;   in Loop: Header=BB11_980 Depth=2
	s_trap 2
	ds_read_b64 v[2:3], v0
	s_andn2_b64 s[58:59], s[58:59], exec
	s_mov_b32 s62, 0
	s_mov_b64 s[60:61], -1
	s_waitcnt vmcnt(0) lgkmcnt(0)
	flat_load_dword v0, v[2:3] sc0 sc1
	s_waitcnt vmcnt(0) lgkmcnt(0)
	buffer_inv sc0 sc1
	v_cmp_eq_u32_e32 vcc, 0, v0
	s_and_b64 vcc, vcc, exec
	s_or_b64 s[58:59], s[58:59], vcc
.LBB11_982:                             ;   in Loop: Header=BB11_980 Depth=2
	s_andn2_b64 s[56:57], s[56:57], exec
	s_and_b64 s[60:61], s[60:61], exec
	s_mov_b64 vcc, -1
	s_or_b64 s[56:57], s[56:57], s[60:61]
	s_and_saveexec_b64 s[60:61], s[58:59]
	s_cbranch_execz .LBB11_979
; %bb.983:                              ;   in Loop: Header=BB11_980 Depth=2
	s_sleep 1
	s_trap 2
	ds_read_b64 v[2:3], v0
	s_andn2_b64 s[56:57], s[56:57], exec
	s_waitcnt lgkmcnt(0)
	v_cmp_ge_u64_e32 vcc, v[2:3], v[14:15]
	s_orn2_b64 vcc, vcc, exec
	s_branch .LBB11_979
.LBB11_984:                             ;   in Loop: Header=BB11_81 Depth=1
	s_or_b64 exec, exec, s[52:53]
	s_and_saveexec_b64 vcc, s[54:55]
	s_xor_b64 vcc, exec, vcc
	s_cbranch_execz .LBB11_986
; %bb.985:                              ;   in Loop: Header=BB11_81 Depth=1
	ds_write_b32 v0, v43
	s_trap 2
.LBB11_986:                             ;   in Loop: Header=BB11_81 Depth=1
	s_or_b64 exec, exec, s[30:31]
	;;#ASMSTART
	s_wakeup
	;;#ASMEND
.LBB11_987:                             ;   in Loop: Header=BB11_81 Depth=1
	s_or_b64 exec, exec, s[28:29]
.LBB11_988:                             ;   in Loop: Header=BB11_81 Depth=1
	s_andn2_saveexec_b64 s[26:27], s[26:27]
	s_cbranch_execz .LBB11_990
; %bb.989:                              ;   in Loop: Header=BB11_81 Depth=1
	;;#ASMSTART
	s_waitcnt lgkmcnt(0) vmcnt(0)
	;;#ASMEND
	s_barrier
.LBB11_990:                             ;   in Loop: Header=BB11_81 Depth=1
	s_or_b64 exec, exec, s[26:27]
.LBB11_991:                             ;   in Loop: Header=BB11_81 Depth=1
	s_or_b64 exec, exec, s[22:23]
	v_and_b32_e32 v0, 32, v62
	v_cmp_ne_u32_e32 vcc, 0, v0
	s_and_saveexec_b64 s[22:23], vcc
	s_cbranch_execz .LBB11_79
; %bb.992:                              ;   in Loop: Header=BB11_81 Depth=1
	v_lshl_add_u64 v[38:39], v[38:39], 0, 4
	flat_store_dwordx2 v[26:27], v[38:39] sc0 sc1
	s_branch .LBB11_79
.LBB11_993:
	s_or_b64 exec, exec, s[40:41]
	v_accvgpr_read_b32 v12, a16
	v_accvgpr_read_b32 v11, a0
	;; [unrolled: 1-line block ×5, first 2 shown]
.LBB11_994:
	s_or_b64 exec, exec, s[38:39]
	v_and_b32_e32 v0, 0x800, v62
	v_cmp_eq_u32_e32 vcc, 0, v0
	s_and_saveexec_b64 s[0:1], vcc
	s_cbranch_execz .LBB11_1029
; %bb.995:
	v_and_b32_e32 v0, 48, v62
	v_cmp_ne_u32_e32 vcc, 0, v0
	s_and_saveexec_b64 s[2:3], vcc
	s_cbranch_execz .LBB11_997
; %bb.996:
	flat_store_dwordx2 v[12:13], v[38:39] offset:104
.LBB11_997:
	s_or_b64 exec, exec, s[2:3]
	s_movk_i32 s2, 0x88
	v_and_b32_e32 v0, 0x88, v62
	v_cmp_eq_u32_e32 vcc, s2, v0
	s_and_saveexec_b64 s[2:3], vcc
	s_cbranch_execz .LBB11_1009
; %bb.998:
	v_and_b32_e32 v0, 7, v38
	v_accvgpr_read_b32 v2, a18
	v_xor_b32_e32 v0, 4, v0
	v_accvgpr_read_b32 v3, a19
	v_mad_u64_u32 v[0:1], s[4:5], v0, 24, v[2:3]
	v_lshl_add_u64 v[2:3], v[0:1], 0, 8
	s_mov_b64 s[4:5], 0
	v_mov_b32_e32 v0, 0
	s_movk_i32 s20, 0x270e
                                        ; implicit-def: $sgpr6_sgpr7
	s_branch .LBB11_1003
.LBB11_999:                             ;   in Loop: Header=BB11_1003 Depth=1
	s_or_b64 exec, exec, s[18:19]
	v_mov_b32_e32 v1, 0
	s_orn2_b64 s[16:17], s[16:17], exec
.LBB11_1000:                            ;   in Loop: Header=BB11_1003 Depth=1
	s_or_b64 exec, exec, s[14:15]
	s_and_b64 s[14:15], s[16:17], exec
	v_mov_b32_e32 v0, v1
.LBB11_1001:                            ;   in Loop: Header=BB11_1003 Depth=1
	s_or_b64 exec, exec, s[12:13]
	s_xor_b64 s[12:13], s[14:15], -1
	s_andn2_b64 s[6:7], s[6:7], exec
	s_and_b64 s[12:13], s[12:13], exec
	s_or_b64 s[6:7], s[6:7], s[12:13]
.LBB11_1002:                            ;   in Loop: Header=BB11_1003 Depth=1
	s_or_b64 exec, exec, s[10:11]
	s_and_b64 s[10:11], exec, s[6:7]
	s_or_b64 s[4:5], s[10:11], s[4:5]
	s_andn2_b64 exec, exec, s[4:5]
	s_cbranch_execz .LBB11_1008
.LBB11_1003:                            ; =>This Inner Loop Header: Depth=1
	flat_load_dwordx2 v[4:5], v[2:3] sc0 sc1
	s_waitcnt vmcnt(0)
	s_or_b64 s[6:7], s[6:7], exec
	s_waitcnt lgkmcnt(0)
	v_cmp_ne_u64_e32 vcc, -1, v[4:5]
	s_and_saveexec_b64 s[10:11], vcc
	s_cbranch_execz .LBB11_1002
; %bb.1004:                             ;   in Loop: Header=BB11_1003 Depth=1
	v_and_b32_e32 v1, 64, v62
	v_cmp_eq_u32_e32 vcc, 0, v1
	s_mov_b64 s[14:15], 0
	s_and_saveexec_b64 s[12:13], vcc
	s_cbranch_execz .LBB11_1001
; %bb.1005:                             ;   in Loop: Header=BB11_1003 Depth=1
	v_add_u32_e32 v1, 1, v0
	v_cmp_lt_i32_e32 vcc, s20, v0
	s_mov_b64 s[16:17], -1
	s_and_saveexec_b64 s[14:15], vcc
	s_cbranch_execz .LBB11_1000
; %bb.1006:                             ;   in Loop: Header=BB11_1003 Depth=1
	s_trap 2
	ds_read_b64 v[0:1], v0
	s_waitcnt lgkmcnt(0)
	flat_load_dword v0, v[0:1] sc0 sc1
	s_waitcnt vmcnt(0) lgkmcnt(0)
	buffer_inv sc0 sc1
	v_cmp_ne_u32_e32 vcc, 0, v0
	s_and_saveexec_b64 s[18:19], vcc
	s_cbranch_execz .LBB11_999
; %bb.1007:                             ;   in Loop: Header=BB11_1003 Depth=1
	v_or_b32_e32 v62, 64, v62
	s_xor_b64 s[16:17], exec, -1
	ds_write_b32 v0, v0
	s_trap 2
	s_branch .LBB11_999
.LBB11_1008:
	s_or_b64 exec, exec, s[4:5]
.LBB11_1009:
	s_or_b64 exec, exec, s[2:3]
	v_and_b32_e32 v0, 0x2000, v62
	v_cmp_ne_u32_e32 vcc, 0, v0
	s_and_saveexec_b64 s[2:3], vcc
	s_cbranch_execz .LBB11_1011
; %bb.1010:
	s_trap 2
	ds_read_b64 v[0:1], v0
	v_accvgpr_read_b32 v2, a14
	v_accvgpr_read_b32 v3, a15
	s_waitcnt lgkmcnt(0)
	flat_store_dwordx2 v[2:3], v[0:1] offset:16
.LBB11_1011:
	s_or_b64 exec, exec, s[2:3]
	v_cmp_ne_u32_e32 vcc, 64, v11
	s_and_b64 exec, exec, vcc
	s_cbranch_execz .LBB11_1029
; %bb.1012:
	v_cmp_ne_u32_sdwa s[2:3], v16, v11 src0_sel:WORD_0 src1_sel:DWORD
	s_and_saveexec_b64 s[4:5], s[2:3]
	s_xor_b64 s[2:3], exec, s[4:5]
	s_cbranch_execz .LBB11_1027
; %bb.1013:
	v_and_b32_e32 v0, 63, v31
	v_cmp_eq_u32_e32 vcc, 0, v0
	s_and_saveexec_b64 s[4:5], vcc
	s_cbranch_execz .LBB11_1026
; %bb.1014:
	s_mov_b64 s[10:11], exec
	v_mbcnt_lo_u32_b32 v0, s10, 0
	v_mbcnt_hi_u32_b32 v0, s11, v0
	v_cmp_eq_u32_e32 vcc, 0, v0
	s_waitcnt lgkmcnt(0)
	s_and_saveexec_b64 s[6:7], vcc
	s_cbranch_execz .LBB11_1016
; %bb.1015:
	s_bcnt1_i32_b64 s10, s[10:11]
	v_mov_b32_e32 v0, s10
	v_mov_b32_e32 v1, 0
	ds_add_u64 v0, v[0:1]
	s_trap 2
.LBB11_1016:
	s_or_b64 exec, exec, s[6:7]
	v_ashrrev_i32_e32 v0, 31, v11
	v_lshrrev_b32_e32 v0, 26, v0
	s_trap 2
	ds_read_b64 v[2:3], v0
	v_add_u32_e32 v0, v11, v0
	v_ashrrev_i32_e32 v0, 6, v0
	v_ashrrev_i32_e32 v1, 31, v0
	v_lshl_add_u64 v[0:1], v[14:15], 0, v[0:1]
	s_waitcnt lgkmcnt(0)
	v_cmp_lt_u64_e32 vcc, v[2:3], v[0:1]
	s_and_saveexec_b64 s[6:7], vcc
	s_cbranch_execz .LBB11_1025
; %bb.1017:
	s_mov_b32 s22, 0
	s_mov_b64 s[10:11], 0
                                        ; implicit-def: $sgpr12_sgpr13
                                        ; implicit-def: $sgpr14_sgpr15
	s_branch .LBB11_1019
.LBB11_1018:                            ;   in Loop: Header=BB11_1019 Depth=1
	s_or_b64 exec, exec, s[20:21]
	s_and_b64 s[16:17], exec, s[18:19]
	s_or_b64 s[10:11], s[16:17], s[10:11]
	s_andn2_b64 s[12:13], s[12:13], exec
	s_and_b64 s[16:17], s[14:15], exec
	s_or_b64 s[12:13], s[12:13], s[16:17]
	s_andn2_b64 exec, exec, s[10:11]
	s_cbranch_execz .LBB11_1023
.LBB11_1019:                            ; =>This Inner Loop Header: Depth=1
	s_add_i32 s22, s22, 1
	s_cmpk_lg_i32 s22, 0x2710
	s_cselect_b64 s[16:17], -1, 0
	s_and_b64 vcc, exec, s[16:17]
                                        ; implicit-def: $sgpr20_sgpr21
	s_cbranch_vccnz .LBB11_1021
; %bb.1020:                             ;   in Loop: Header=BB11_1019 Depth=1
	s_trap 2
	ds_read_b64 v[2:3], v0
	s_andn2_b64 s[16:17], s[16:17], exec
	s_mov_b32 s22, 0
	s_mov_b64 s[20:21], -1
	s_waitcnt vmcnt(0) lgkmcnt(0)
	flat_load_dword v2, v[2:3] sc0 sc1
	s_waitcnt vmcnt(0) lgkmcnt(0)
	buffer_inv sc0 sc1
	v_cmp_eq_u32_e32 vcc, 0, v2
	s_and_b64 s[18:19], vcc, exec
	s_or_b64 s[16:17], s[16:17], s[18:19]
.LBB11_1021:                            ;   in Loop: Header=BB11_1019 Depth=1
	s_andn2_b64 s[14:15], s[14:15], exec
	s_and_b64 s[20:21], s[20:21], exec
	s_mov_b64 s[18:19], -1
	s_or_b64 s[14:15], s[14:15], s[20:21]
	s_and_saveexec_b64 s[20:21], s[16:17]
	s_cbranch_execz .LBB11_1018
; %bb.1022:                             ;   in Loop: Header=BB11_1019 Depth=1
	s_sleep 1
	s_trap 2
	ds_read_b64 v[2:3], v0
	s_andn2_b64 s[14:15], s[14:15], exec
	s_waitcnt lgkmcnt(0)
	v_cmp_ge_u64_e32 vcc, v[2:3], v[0:1]
	s_orn2_b64 s[18:19], vcc, exec
	s_branch .LBB11_1018
.LBB11_1023:
	s_or_b64 exec, exec, s[10:11]
	s_and_saveexec_b64 s[10:11], s[12:13]
	s_xor_b64 s[10:11], exec, s[10:11]
	s_cbranch_execz .LBB11_1025
; %bb.1024:
	v_mov_b32_e32 v0, 1
	ds_write_b32 v0, v0
	s_trap 2
.LBB11_1025:
	s_or_b64 exec, exec, s[6:7]
	;;#ASMSTART
	s_wakeup
	;;#ASMEND
.LBB11_1026:
	s_or_b64 exec, exec, s[4:5]
.LBB11_1027:
	s_andn2_saveexec_b64 s[2:3], s[2:3]
	s_cbranch_execz .LBB11_1029
; %bb.1028:
	s_waitcnt lgkmcnt(0)
	s_barrier
.LBB11_1029:
	s_or_b64 exec, exec, s[0:1]
.LBB11_1030:
	s_andn2_saveexec_b64 s[22:23], s[36:37]
	s_cbranch_execz .LBB11_1032
; %bb.1031:
	s_getpc_b64 s[0:1]
	s_add_u32 s0, s0, __PRETTY_FUNCTION__._ZN10PrimitivesIa7FuncSumIaE12FanSymmetricILi1EELi0E11ProtoSimpleILi1ELi4ELi0ELi2ELi0ELi0EELi0ELb0ELi0ELi0ELi0EEC2EiiPKiS8_PKvPvmhhhP15ncclDevWorkCollP14ncclDevWorkP2pii@rel32@lo+4
	s_addc_u32 s1, s1, __PRETTY_FUNCTION__._ZN10PrimitivesIa7FuncSumIaE12FanSymmetricILi1EELi0E11ProtoSimpleILi1ELi4ELi0ELi2ELi0ELi0EELi0ELb0ELi0ELi0ELi0EEC2EiiPKiS8_PKvPvmhhhP15ncclDevWorkCollP14ncclDevWorkP2pii@rel32@hi+12
	v_mov_b32_e32 v0, s0
	v_mov_b32_e32 v1, s1
	s_getpc_b64 s[2:3]
	s_add_u32 s2, s2, __assert_fail@rel32@lo+4
	s_addc_u32 s3, s3, __assert_fail@rel32@hi+12
	s_swappc_b64 s[30:31], s[2:3]
	; divergent unreachable
.LBB11_1032:
	s_or_b64 exec, exec, s[22:23]
.LBB11_1033:
	s_or_b64 exec, exec, s[34:35]
	scratch_load_dword a39, off, s33        ; 4-byte Folded Reload
	scratch_load_dword a38, off, s33 offset:4 ; 4-byte Folded Reload
	scratch_load_dword a37, off, s33 offset:8 ; 4-byte Folded Reload
	;; [unrolled: 1-line block ×22, first 2 shown]
	v_readlane_b32 s30, v63, 47
	v_readlane_b32 s31, v63, 48
	;; [unrolled: 1-line block ×50, first 2 shown]
	s_or_saveexec_b64 s[2:3], -1
	scratch_load_dword v63, off, s33 offset:92 ; 4-byte Folded Reload
	s_mov_b64 exec, s[2:3]
	s_addk_i32 s32, 0xff90
	s_mov_b32 s33, s0
	s_waitcnt vmcnt(0) lgkmcnt(0)
	s_setpc_b64 s[30:31]
.Lfunc_end11:
	.size	_ZN12_GLOBAL__N_17runRingIa7FuncSumIaE11ProtoSimpleILi1ELi4ELi0ELi2ELi0ELi0EELi0ELi2ELi0ELb0EEEviiP15ncclDevWorkColl, .Lfunc_end11-_ZN12_GLOBAL__N_17runRingIa7FuncSumIaE11ProtoSimpleILi1ELi4ELi0ELi2ELi0ELi0EELi0ELi2ELi0ELb0EEEviiP15ncclDevWorkColl
                                        ; -- End function
	.section	.AMDGPU.csdata,"",@progbits
; Function info:
; codeLenInByte = 32628
; NumSgprs: 87
; NumVgprs: 64
; NumAgprs: 40
; TotalNumVgprs: 104
; ScratchSize: 176
; MemoryBound: 0
	.text
	.p2align	2                               ; -- Begin function _ZN12_GLOBAL__N_17runRingIa7FuncSumIaE11ProtoSimpleILi2ELi2ELi0ELi2ELi0ELi0EELi0ELi2ELi0ELb0EEEviiP15ncclDevWorkColl
	.type	_ZN12_GLOBAL__N_17runRingIa7FuncSumIaE11ProtoSimpleILi2ELi2ELi0ELi2ELi0ELi0EELi0ELi2ELi0ELb0EEEviiP15ncclDevWorkColl,@function
_ZN12_GLOBAL__N_17runRingIa7FuncSumIaE11ProtoSimpleILi2ELi2ELi0ELi2ELi0ELi0EELi0ELi2ELi0ELb0EEEviiP15ncclDevWorkColl: ; @_ZN12_GLOBAL__N_17runRingIa7FuncSumIaE11ProtoSimpleILi2ELi2ELi0ELi2ELi0ELi0EELi0ELi2ELi0ELb0EEEviiP15ncclDevWorkColl
; %bb.0:
	s_waitcnt vmcnt(0) expcnt(0) lgkmcnt(0)
	s_mov_b32 s0, s33
	s_mov_b32 s33, s32
	s_or_saveexec_b64 s[2:3], -1
	scratch_store_dword off, v63, s33 offset:108 ; 4-byte Folded Spill
	s_mov_b64 exec, s[2:3]
	v_writelane_b32 v63, s0, 46
	s_addk_i32 s32, 0x80
	scratch_store_dword off, v40, s33 offset:104 ; 4-byte Folded Spill
	scratch_store_dword off, v41, s33 offset:100 ; 4-byte Folded Spill
	;; [unrolled: 1-line block ×26, first 2 shown]
	scratch_store_dword off, a43, s33       ; 4-byte Folded Spill
	v_writelane_b32 v63, s34, 0
	v_writelane_b32 v63, s35, 1
	;; [unrolled: 1-line block ×45, first 2 shown]
	s_nop 1
	v_writelane_b32 v63, s31, 45
	s_trap 2
	flat_load_dword v9, v[2:3]
	flat_load_dwordx4 v[12:15], v[2:3] offset:72
	flat_load_dwordx2 v[4:5], v[2:3] offset:88
	v_mov_b32_e32 v16, v1
	ds_read_b32 v1, v0
	ds_read_b64 a[4:5], v0
                                        ; implicit-def: $vgpr18_vgpr19
                                        ; implicit-def: $agpr8_agpr9
	s_waitcnt lgkmcnt(0)
	v_readfirstlane_b32 s70, v1
	s_waitcnt vmcnt(0)
	v_not_b32_sdwa v8, v9 dst_sel:DWORD dst_unused:UNUSED_PAD src0_sel:BYTE_0
	v_add_u32_sdwa v6, v9, v8 dst_sel:DWORD dst_unused:UNUSED_PAD src0_sel:BYTE_1 src1_sel:DWORD
	v_ashrrev_i32_e32 v10, 31, v6
	v_mul_lo_u32 v11, v15, v6
	v_mad_u64_u32 v[6:7], s[0:1], v14, v6, 0
	v_accvgpr_write_b32 a0, v12
	v_mul_lo_u32 v10, v14, v10
	v_accvgpr_write_b32 a1, v13
	v_accvgpr_write_b32 a2, v14
	;; [unrolled: 1-line block ×3, first 2 shown]
	v_add3_u32 v7, v7, v10, v11
	v_cmp_ne_u32_sdwa s[0:1], v9, v1 src0_sel:BYTE_0 src1_sel:DWORD
	s_and_saveexec_b64 s[2:3], s[0:1]
	s_xor_b64 s[0:1], exec, s[2:3]
	s_cbranch_execz .LBB12_6
; %bb.1:
	v_cmp_ne_u32_sdwa s[2:3], v9, v1 src0_sel:BYTE_1 src1_sel:DWORD
                                        ; implicit-def: $vgpr18_vgpr19
                                        ; implicit-def: $agpr8_agpr9
	s_and_saveexec_b64 s[4:5], s[2:3]
	s_xor_b64 s[2:3], exec, s[4:5]
	s_cbranch_execz .LBB12_3
; %bb.2:
	flat_load_dwordx2 v[10:11], v[2:3] offset:96
	v_add_u32_e32 v1, v1, v8
	v_accvgpr_read_b32 v15, a3
	v_ashrrev_i32_e32 v8, 31, v1
	v_accvgpr_read_b32 v14, a2
	v_accvgpr_read_b32 v13, a1
	;; [unrolled: 1-line block ×3, first 2 shown]
	v_mul_lo_u32 v8, v14, v8
	v_mul_lo_u32 v9, v15, v1
	v_mad_u64_u32 v[12:13], s[4:5], v14, v1, v[12:13]
	v_add3_u32 v13, v9, v13, v8
	v_accvgpr_write_b32 a8, v12
	v_accvgpr_write_b32 a9, v13
	s_waitcnt vmcnt(0) lgkmcnt(0)
	v_lshrrev_b64 v[18:19], 21, v[10:11]
.LBB12_3:
	s_andn2_saveexec_b64 s[2:3], s[2:3]
	s_cbranch_execz .LBB12_5
; %bb.4:
	flat_load_dword v1, v[2:3] offset:100
	v_accvgpr_read_b32 v9, a1
	v_accvgpr_read_b32 v8, a0
	v_lshl_add_u64 v[10:11], v[6:7], 0, v[8:9]
	v_accvgpr_write_b32 a8, v10
	v_accvgpr_write_b32 a9, v11
	v_mov_b64_e32 v[10:11], v[4:5]
	v_accvgpr_write_b32 a0, v8
	v_accvgpr_write_b32 a1, v9
	;; [unrolled: 1-line block ×4, first 2 shown]
	s_waitcnt vmcnt(0) lgkmcnt(0)
	v_lshrrev_b32_e32 v18, 10, v1
.LBB12_5:
	s_or_b64 exec, exec, s[2:3]
.LBB12_6:
	s_andn2_saveexec_b64 s[0:1], s[0:1]
	s_cbranch_execz .LBB12_8
; %bb.7:
	flat_load_dwordx2 v[18:19], v[2:3] offset:96
	v_mov_b64_e32 v[8:9], 0
	v_accvgpr_write_b32 a8, v8
	v_accvgpr_mov_b32 a3, a1
	v_accvgpr_write_b32 a9, v9
	v_accvgpr_mov_b32 a2, a0
.LBB12_8:
	s_or_b64 exec, exec, s[0:1]
	flat_load_dwordx4 v[20:23], v[2:3] offset:16
	v_accvgpr_read_b32 v11, a3
	v_accvgpr_read_b32 v9, a1
	;; [unrolled: 1-line block ×3, first 2 shown]
	v_lshl_add_u64 v[4:5], v[4:5], 0, v[8:9]
	v_lshl_add_u64 v[24:25], v[4:5], 0, v[6:7]
	v_cmp_ge_i32_e32 vcc, v0, v16
	v_accvgpr_read_b32 v10, a2
	s_and_saveexec_b64 s[0:1], vcc
	s_xor_b64 s[0:1], exec, s[0:1]
	s_cbranch_execz .LBB12_41
; %bb.9:
	v_accvgpr_read_b32 v2, a4
	v_accvgpr_read_b32 v3, a5
	flat_load_dword v1, v[2:3]
	s_waitcnt vmcnt(0) lgkmcnt(0)
	v_ashrrev_i32_e32 v3, 31, v1
	v_mul_lo_u32 v2, v25, v1
	v_mul_lo_u32 v3, v24, v3
	v_mad_u64_u32 v[4:5], s[2:3], v24, v1, v[20:21]
	v_add3_u32 v5, v2, v5, v3
	v_cmp_ne_u64_e32 vcc, v[22:23], v[4:5]
	s_and_saveexec_b64 s[2:3], vcc
	s_cbranch_execz .LBB12_40
; %bb.10:
	v_mad_u64_u32 v[4:5], s[4:5], v24, v1, 0
	v_sub_u32_e32 v1, v0, v16
	v_accvgpr_read_b32 v6, a8
	v_ashrrev_i32_e32 v0, 31, v1
	v_accvgpr_read_b32 v7, a9
	v_lshrrev_b32_e32 v0, 26, v0
	v_add3_u32 v5, v5, v3, v2
	v_lshl_add_u64 v[2:3], v[22:23], 0, v[6:7]
	v_lshl_add_u64 v[6:7], v[20:21], 0, v[6:7]
	v_add_u32_e32 v0, v1, v0
	v_lshl_add_u64 v[4:5], v[6:7], 0, v[4:5]
	v_and_b32_e32 v6, 0xffffffc0, v0
	v_sub_u32_e32 v18, v1, v6
	v_cmp_gt_i32_e32 vcc, 1, v18
	v_mov_b32_e32 v1, 0
	s_and_saveexec_b64 s[4:5], vcc
; %bb.11:
	v_or_b32_e32 v1, v2, v4
	v_and_b32_e32 v1, 15, v1
	v_cmp_ne_u32_e32 vcc, 0, v1
	s_nop 1
	v_cndmask_b32_e64 v1, 0, 1, vcc
; %bb.12:
	s_or_b64 exec, exec, s[4:5]
	v_ashrrev_i32_e32 v19, 6, v0
	;;#ASMSTART
	;;#ASMEND
	s_nop 0
	v_cmp_ne_u32_e32 vcc, 0, v1
	s_cbranch_vccz .LBB12_14
; %bb.13:
	s_mov_b64 s[14:15], -1
	s_mov_b64 s[6:7], 0
	v_mov_b64_e32 v[10:11], 0
	s_mov_b64 s[4:5], 0
                                        ; implicit-def: $vgpr8_vgpr9
                                        ; implicit-def: $vgpr0_vgpr1
	v_mov_b32_e32 v15, v18
	v_mov_b32_e32 v17, v19
	s_and_saveexec_b64 s[10:11], s[14:15]
	s_cbranch_execnz .LBB12_25
	s_branch .LBB12_34
.LBB12_14:
	v_accvgpr_read_b32 v7, a3
	v_ashrrev_i32_e32 v0, 31, v7
	v_accvgpr_read_b32 v6, a2
	v_lshrrev_b32_e32 v0, 20, v0
	v_mov_b32_e32 v1, 0
	v_lshl_add_u64 v[0:1], v[6:7], 0, v[0:1]
	v_ashrrev_i64 v[6:7], 12, v[0:1]
	v_ashrrev_i32_e32 v0, 31, v19
	v_sub_co_u32_e32 v14, vcc, v6, v19
	s_mov_b64 s[14:15], 0
	s_nop 0
	v_subb_co_u32_e32 v15, vcc, v7, v0, vcc
	v_cmp_gt_i64_e32 vcc, 1, v[14:15]
	s_mov_b64 s[4:5], -1
	v_mov_b64_e32 v[10:11], 0
	s_mov_b64 s[6:7], 0
                                        ; implicit-def: $vgpr8_vgpr9
                                        ; implicit-def: $vgpr0_vgpr1
                                        ; implicit-def: $vgpr15
                                        ; implicit-def: $vgpr17
	s_and_saveexec_b64 s[10:11], vcc
	s_cbranch_execz .LBB12_24
; %bb.15:
	v_lshlrev_b64 v[0:1], 12, v[6:7]
	v_accvgpr_read_b32 v7, a3
	v_accvgpr_read_b32 v6, a2
	v_cmp_ne_u64_e32 vcc, v[6:7], v[0:1]
	v_mov_b64_e32 v[10:11], 0
                                        ; implicit-def: $vgpr8_vgpr9
                                        ; implicit-def: $vgpr15
                                        ; implicit-def: $vgpr17
	s_and_saveexec_b64 s[4:5], vcc
	s_cbranch_execz .LBB12_23
; %bb.16:
	v_accvgpr_read_b32 v21, a3
	v_accvgpr_read_b32 v20, a2
	v_sub_co_u32_e32 v10, vcc, v20, v0
	v_mov_b32_e32 v9, 0
	s_nop 0
	v_subb_co_u32_e32 v11, vcc, v21, v1, vcc
	v_ashrrev_i32_e32 v6, 31, v11
	v_lshrrev_b32_e32 v8, 22, v6
	v_lshl_add_u64 v[6:7], v[10:11], 0, v[8:9]
	v_ashrrev_i64 v[16:17], 10, v[6:7]
	v_and_b32_e32 v6, 0xfffffc00, v6
	v_lshl_add_u64 v[12:13], v[6:7], 0, v[0:1]
	v_sub_co_u32_e32 v6, vcc, v10, v6
	s_nop 1
	v_subb_co_u32_e32 v7, vcc, v11, v7, vcc
	v_cmp_lt_i64_e32 vcc, 15, v[6:7]
	s_and_saveexec_b64 s[6:7], vcc
; %bb.17:
	v_and_b32_e32 v8, 15, v20
	v_sub_co_u32_e32 v6, vcc, v6, v8
	v_lshl_add_u64 v[16:17], v[16:17], 0, 1
	s_nop 0
	v_subbrev_co_u32_e32 v7, vcc, 0, v7, vcc
	v_lshl_add_u64 v[12:13], v[6:7], 0, v[12:13]
	v_mov_b64_e32 v[6:7], v[8:9]
; %bb.18:
	s_or_b64 exec, exec, s[6:7]
	v_lshlrev_b32_e32 v8, 6, v14
	v_sub_u32_e32 v8, v18, v8
	v_ashrrev_i32_e32 v9, 31, v8
	v_lshrrev_b32_e32 v9, 26, v9
	v_add_u32_e32 v9, v8, v9
	v_ashrrev_i32_e32 v14, 6, v9
	v_and_b32_e32 v9, 0xffffffc0, v9
	v_sub_u32_e32 v20, v8, v9
	v_lshlrev_b32_e32 v8, 4, v20
	v_lshl_add_u32 v8, v14, 10, v8
	v_ashrrev_i32_e32 v9, 31, v8
	v_sub_co_u32_e32 v10, vcc, v10, v8
	s_mov_b64 s[16:17], -1
	s_nop 0
	v_subb_co_u32_e32 v11, vcc, v11, v9, vcc
	v_cmp_gt_i64_e32 vcc, 16, v[10:11]
	v_mov_b64_e32 v[10:11], 0
                                        ; implicit-def: $agpr2_agpr3
                                        ; implicit-def: $vgpr15
                                        ; implicit-def: $vgpr17
	s_and_saveexec_b64 s[6:7], vcc
	s_cbranch_execz .LBB12_22
; %bb.19:
	v_cmp_ne_u64_e32 vcc, 0, v[6:7]
	v_mov_b64_e32 v[10:11], 0
                                        ; implicit-def: $vgpr15
                                        ; implicit-def: $vgpr17
	s_and_saveexec_b64 s[16:17], vcc
; %bb.20:
	v_sub_u32_e32 v10, v14, v16
	v_lshl_add_u32 v10, v10, 6, v20
	v_ashrrev_i32_e32 v11, 31, v10
	v_lshrrev_b32_e32 v11, 26, v11
	v_add_u32_e32 v11, v10, v11
	v_and_b32_e32 v14, 0xffffffc0, v11
	s_mov_b64 s[14:15], exec
	v_sub_u32_e32 v15, v10, v14
	v_ashrrev_i32_e32 v17, 6, v11
	v_mov_b64_e32 v[10:11], v[12:13]
; %bb.21:
	s_or_b64 exec, exec, s[16:17]
	v_accvgpr_write_b32 a2, v6
	s_xor_b64 s[16:17], exec, -1
	s_and_b64 s[14:15], s[14:15], exec
	v_accvgpr_write_b32 a3, v7
.LBB12_22:
	s_or_b64 exec, exec, s[6:7]
	s_and_b64 s[6:7], s[16:17], exec
	s_and_b64 s[14:15], s[14:15], exec
.LBB12_23:
	s_or_b64 exec, exec, s[4:5]
	s_xor_b64 s[4:5], exec, -1
	s_and_b64 s[6:7], s[6:7], exec
	s_and_b64 s[14:15], s[14:15], exec
.LBB12_24:
	s_or_b64 exec, exec, s[10:11]
	s_and_saveexec_b64 s[10:11], s[14:15]
	s_cbranch_execz .LBB12_34
.LBB12_25:
	v_accvgpr_read_b32 v21, a3
	v_ashrrev_i32_e32 v6, 31, v21
	v_accvgpr_read_b32 v20, a2
	v_lshrrev_b32_e32 v6, 22, v6
	v_mov_b32_e32 v7, 0
	v_lshl_add_u64 v[6:7], v[20:21], 0, v[6:7]
	v_ashrrev_i64 v[12:13], 10, v[6:7]
	v_ashrrev_i32_e32 v7, 31, v17
	v_sub_co_u32_e32 v6, vcc, v12, v17
	s_nop 1
	v_subb_co_u32_e32 v7, vcc, v13, v7, vcc
	v_cmp_gt_i64_e32 vcc, 1, v[6:7]
	s_and_saveexec_b64 s[14:15], vcc
	s_xor_b64 s[14:15], exec, s[14:15]
	s_cbranch_execz .LBB12_31
; %bb.26:
	v_lshlrev_b64 v[12:13], 10, v[12:13]
	v_cmp_ne_u64_e32 vcc, v[20:21], v[12:13]
	s_and_saveexec_b64 s[16:17], vcc
	s_cbranch_execz .LBB12_30
; %bb.27:
	v_lshlrev_b32_e32 v6, 6, v6
	v_sub_co_u32_e32 v16, vcc, v20, v12
	v_sub_u32_e32 v6, v15, v6
	s_nop 0
	v_subb_co_u32_e32 v17, vcc, v21, v13, vcc
	v_ashrrev_i32_e32 v7, 31, v6
	v_cmp_gt_i64_e32 vcc, v[16:17], v[6:7]
	s_and_b64 exec, exec, vcc
	s_cbranch_execz .LBB12_30
; %bb.28:
	v_lshl_add_u64 v[10:11], v[12:13], 0, v[10:11]
	v_lshl_add_u64 v[6:7], v[10:11], 0, v[6:7]
	;; [unrolled: 1-line block ×3, first 2 shown]
	flat_load_ubyte v10, v[10:11]
	v_lshl_add_u64 v[6:7], v[6:7], 0, v[4:5]
	s_and_b64 vcc, exec, -1
	s_waitcnt vmcnt(0) lgkmcnt(0)
	flat_store_byte v[6:7], v10 nt
.LBB12_29:                              ; =>This Inner Loop Header: Depth=1
	s_mov_b64 vcc, vcc
	s_cbranch_vccnz .LBB12_29
.LBB12_30:
	s_or_b64 exec, exec, s[16:17]
                                        ; implicit-def: $vgpr17
                                        ; implicit-def: $vgpr15
                                        ; implicit-def: $vgpr10_vgpr11
.LBB12_31:
	s_andn2_saveexec_b64 s[14:15], s[14:15]
	s_cbranch_execz .LBB12_34
; %bb.32:
	v_lshl_add_u32 v6, v17, 10, v15
	v_ashrrev_i32_e32 v7, 31, v6
	v_lshl_add_u64 v[10:11], v[10:11], 0, v[6:7]
	v_lshl_add_u64 v[6:7], v[10:11], 0, v[4:5]
	;; [unrolled: 1-line block ×3, first 2 shown]
	s_and_b64 vcc, exec, 0
.LBB12_33:                              ; =>This Inner Loop Header: Depth=1
	flat_load_ubyte v12, v[10:11] nt
	flat_load_ubyte v13, v[10:11] offset:64 nt
	flat_load_ubyte v14, v[10:11] offset:128 nt
	;; [unrolled: 1-line block ×15, first 2 shown]
	s_waitcnt vmcnt(0) lgkmcnt(0)
	flat_store_byte v[6:7], v12 nt
	flat_store_byte v[6:7], v13 offset:64 nt
	flat_store_byte v[6:7], v14 offset:128 nt
	;; [unrolled: 1-line block ×15, first 2 shown]
	s_mov_b64 vcc, vcc
	s_cbranch_vccz .LBB12_33
.LBB12_34:
	s_or_b64 exec, exec, s[10:11]
	s_and_saveexec_b64 s[10:11], s[6:7]
	s_cbranch_execz .LBB12_37
; %bb.35:
	v_lshl_add_u64 v[6:7], v[0:1], 0, v[8:9]
	v_lshl_add_u64 v[0:1], v[6:7], 0, v[4:5]
	;; [unrolled: 1-line block ×3, first 2 shown]
	s_and_b64 vcc, exec, 0
.LBB12_36:                              ; =>This Inner Loop Header: Depth=1
	global_load_dwordx4 v[8:11], v[6:7], off nt
	s_waitcnt vmcnt(0)
	global_store_dwordx4 v[0:1], v[8:11], off nt
	s_mov_b64 vcc, vcc
	s_cbranch_vccz .LBB12_36
.LBB12_37:
	s_or_b64 exec, exec, s[10:11]
	s_and_saveexec_b64 s[6:7], s[4:5]
	s_xor_b64 s[6:7], exec, s[6:7]
	s_cbranch_execz .LBB12_40
; %bb.38:
	v_lshlrev_b32_e32 v0, 4, v18
	v_lshl_add_u32 v6, v19, 12, v0
	v_ashrrev_i32_e32 v7, 31, v6
	v_lshl_add_u64 v[0:1], v[4:5], 0, v[6:7]
	v_lshl_add_u64 v[2:3], v[2:3], 0, v[6:7]
	s_and_b64 vcc, exec, 0
.LBB12_39:                              ; =>This Inner Loop Header: Depth=1
	global_load_dwordx4 v[4:7], v[2:3], off nt
	global_load_dwordx4 v[8:11], v[2:3], off offset:1024 nt
	global_load_dwordx4 v[12:15], v[2:3], off offset:2048 nt
	;; [unrolled: 1-line block ×3, first 2 shown]
	s_waitcnt vmcnt(0)
	global_store_dwordx4 v[0:1], v[4:7], off nt
	global_store_dwordx4 v[0:1], v[8:11], off offset:1024 nt
	global_store_dwordx4 v[0:1], v[12:15], off offset:2048 nt
	;; [unrolled: 1-line block ×3, first 2 shown]
	s_mov_b64 vcc, vcc
	s_cbranch_vccz .LBB12_39
.LBB12_40:
	s_or_b64 exec, exec, s[2:3]
                                        ; implicit-def: $agpr2_agpr3
                                        ; implicit-def: $agpr8_agpr9
                                        ; implicit-def: $vgpr18_vgpr19
                                        ; implicit-def: $vgpr24_vgpr25
                                        ; implicit-def: $vgpr0
                                        ; implicit-def: $vgpr16
                                        ; implicit-def: $agpr4_agpr5
                                        ; implicit-def: $vgpr31
                                        ; implicit-def: $vgpr22_vgpr23
                                        ; implicit-def: $vgpr2_vgpr3
.LBB12_41:
	s_andn2_saveexec_b64 s[34:35], s[0:1]
	s_cbranch_execz .LBB12_1054
; %bb.42:
	s_trap 2
	ds_read_b64 v[4:5], v0
	s_waitcnt lgkmcnt(0)
	v_cmp_ne_u32_e32 vcc, -1, v4
	s_nop 1
	v_cndmask_b32_e64 v1, 0, 1, vcc
	v_cmp_ne_u32_e32 vcc, -1, v5
	s_nop 1
	v_addc_co_u32_e64 v6, s[0:1], 0, v1, vcc
	v_lshlrev_b32_e32 v4, 1, v6
	v_cmp_le_i32_e64 s[0:1], v4, v16
	s_and_saveexec_b64 s[2:3], s[0:1]
	s_xor_b64 s[30:31], exec, s[2:3]
	s_cbranch_execz .LBB12_1051
; %bb.43:
	flat_load_dwordx2 v[4:5], v[2:3] offset:104
	flat_load_ushort v11, v[2:3] offset:8
	flat_load_dword v10, v[2:3] offset:4
	s_trap 2
	s_load_dword s0, s[8:9], 0x0
	v_mov_b32_e32 v7, 0
	v_mov_b32_e32 v62, 4
	s_waitcnt lgkmcnt(0)
	s_cmp_lt_u32 s12, s0
	s_cselect_b32 s0, 12, 18
	s_add_u32 s0, s8, s0
	s_addc_u32 s1, s9, 0
	global_load_ushort v12, v7, s[0:1]
	ds_read_b32 v7, v0
	v_cmp_ge_i32_e64 s[0:1], v0, v1
	s_waitcnt lgkmcnt(0)
	v_readfirstlane_b32 s14, v7
	s_and_saveexec_b64 s[2:3], s[0:1]
	s_cbranch_execz .LBB12_53
; %bb.44:
	v_cmp_le_u32_e64 s[0:1], v6, v0
                                        ; implicit-def: $vgpr62
	s_and_saveexec_b64 s[4:5], s[0:1]
	s_xor_b64 s[0:1], exec, s[4:5]
	s_cbranch_execz .LBB12_50
; %bb.45:
	v_cndmask_b32_e64 v7, 0, 1, vcc
	v_sub_u32_e32 v7, v16, v7
	v_cmp_ge_u32_e32 vcc, v0, v7
                                        ; implicit-def: $sgpr6
	s_and_saveexec_b64 s[4:5], vcc
	s_xor_b64 s[4:5], exec, s[4:5]
; %bb.46:
	s_mov_b32 s6, 16
                                        ; implicit-def: $vgpr6
; %bb.47:
	s_or_saveexec_b64 s[4:5], s[4:5]
	v_mov_b32_e32 v62, s6
	s_xor_b64 exec, exec, s[4:5]
; %bb.48:
	v_sub_u32_e32 v6, v16, v6
	v_cmp_ge_i32_e32 vcc, v0, v6
	s_nop 1
	v_cndmask_b32_e64 v6, 0, 1, vcc
	v_lshlrev_b32_e32 v62, 5, v6
; %bb.49:
	s_or_b64 exec, exec, s[4:5]
.LBB12_50:
	s_andn2_saveexec_b64 s[0:1], s[0:1]
; %bb.51:
	v_mov_b32_e32 v62, 8
; %bb.52:
	s_or_b64 exec, exec, s[0:1]
.LBB12_53:
	s_or_b64 exec, exec, s[2:3]
	v_and_b32_e32 v6, 36, v62
	v_cmp_ne_u32_e32 vcc, 0, v6
	v_mov_b32_e32 v8, -1
	s_and_saveexec_b64 s[0:1], vcc
	s_cbranch_execz .LBB12_55
; %bb.54:
	s_trap 2
	ds_read_b32 v8, v0
.LBB12_55:
	s_or_b64 exec, exec, s[0:1]
	v_and_b32_e32 v6, 24, v62
	v_cmp_ne_u32_e64 s[0:1], 0, v6
	s_and_saveexec_b64 s[2:3], s[0:1]
	s_cbranch_execz .LBB12_57
; %bb.56:
	s_trap 2
	s_waitcnt lgkmcnt(0)
	ds_read_b32 v8, v0
.LBB12_57:
	s_or_b64 exec, exec, s[2:3]
	s_waitcnt vmcnt(0)
	v_lshrrev_b64 v[6:7], 31, v[10:11]
	v_mov_b64_e32 v[28:29], 0
	v_and_b32_e32 v6, 3, v6
	v_mov_b64_e32 v[40:41], v[28:29]
                                        ; implicit-def: $agpr16_agpr17
                                        ; implicit-def: $vgpr52
                                        ; implicit-def: $vgpr50_vgpr51
                                        ; implicit-def: $vgpr34_vgpr35
                                        ; implicit-def: $vgpr36_vgpr37
                                        ; implicit-def: $vgpr26_vgpr27
	s_and_saveexec_b64 s[0:1], vcc
	s_cbranch_execz .LBB12_67
; %bb.58:
	s_trap 2
	ds_read_b64 v[10:11], v0
	s_waitcnt lgkmcnt(1)
	v_ashrrev_i32_e32 v9, 31, v8
	v_and_b32_e32 v7, 0xffff, v6
	s_movk_i32 s2, 0xa8
                                        ; implicit-def: $agpr16_agpr17
	s_waitcnt lgkmcnt(0)
	v_lshl_add_u64 v[10:11], v[8:9], 3, v[10:11]
	flat_load_dwordx2 v[10:11], v[10:11]
	s_waitcnt vmcnt(0) lgkmcnt(0)
	v_mad_u64_u32 v[10:11], s[2:3], v7, s2, v[10:11]
	flat_load_dword v7, v[10:11] offset:640
	s_mov_b64 s[2:3], 0x1f8
	v_lshl_add_u64 v[28:29], v[10:11], 0, s[2:3]
	s_waitcnt vmcnt(0) lgkmcnt(0)
	v_cmp_eq_u32_e32 vcc, 1, v7
	s_and_saveexec_b64 s[2:3], vcc
	s_cbranch_execz .LBB12_60
; %bb.59:
	flat_load_dwordx2 v[14:15], v[28:29] offset:144
	v_or_b32_e32 v62, 0x2000, v62
	s_waitcnt vmcnt(0) lgkmcnt(0)
	flat_load_dwordx2 v[10:11], v[14:15]
	s_trap 2
	v_accvgpr_write_b32 a17, v15
	v_accvgpr_write_b32 a16, v14
	s_waitcnt vmcnt(0) lgkmcnt(0)
	ds_write_b64 v0, v[10:11]
	flat_load_dwordx2 v[10:11], v[14:15] offset:8
	s_waitcnt vmcnt(0) lgkmcnt(0)
	ds_write_b64 v0, v[10:11]
	flat_load_dwordx2 v[10:11], v[14:15] offset:16
	s_waitcnt vmcnt(0) lgkmcnt(0)
	ds_write_b64 v0, v[10:11]
.LBB12_60:
	s_or_b64 exec, exec, s[2:3]
	flat_load_dwordx2 v[10:11], v[28:29] offset:104
	v_and_b32_e32 v7, 32, v62
	v_cmp_ne_u32_e32 vcc, 0, v7
                                        ; implicit-def: $vgpr26_vgpr27
	s_waitcnt vmcnt(0) lgkmcnt(0)
	v_lshl_add_u64 v[50:51], v[10:11], 0, 3
	v_and_b32_e32 v50, -4, v50
	s_and_saveexec_b64 s[2:3], vcc
	s_cbranch_execz .LBB12_62
; %bb.61:
	flat_load_dwordx2 v[26:27], v[28:29] offset:56
	s_waitcnt vmcnt(0) lgkmcnt(0)
	flat_store_dwordx2 v[26:27], v[50:51] sc0 sc1
.LBB12_62:
	s_or_b64 exec, exec, s[2:3]
	v_and_b32_e32 v7, 4, v62
	v_cmp_ne_u32_e32 vcc, 0, v7
	v_mov_b64_e32 v[40:41], 0
                                        ; implicit-def: $vgpr52
                                        ; implicit-def: $vgpr34_vgpr35
                                        ; implicit-def: $vgpr36_vgpr37
	s_and_saveexec_b64 s[2:3], vcc
	s_cbranch_execz .LBB12_66
; %bb.63:
	v_and_b32_e32 v7, 0x800, v62
	v_cmp_eq_u32_e32 vcc, 0, v7
	s_and_saveexec_b64 s[4:5], vcc
	s_cbranch_execz .LBB12_65
; %bb.64:
	s_trap 2
	ds_write_b64 v0, v[28:29]
.LBB12_65:
	s_or_b64 exec, exec, s[4:5]
	flat_load_dwordx2 v[26:27], v[28:29] offset:48
	v_or_b32_e32 v7, 0x100, v62
	s_waitcnt vmcnt(0) lgkmcnt(0)
	flat_load_dwordx2 v[36:37], v[26:27] sc0 sc1
	flat_load_dwordx2 v[40:41], v[28:29] offset:96
	flat_load_dword v52, v[28:29] offset:72
	flat_load_dwordx2 v[34:35], v[28:29] offset:16
	s_waitcnt vmcnt(0) lgkmcnt(0)
	v_cmp_eq_u64_e32 vcc, 0, v[40:41]
	s_nop 1
	v_cndmask_b32_e32 v62, v7, v62, vcc
.LBB12_66:
	s_or_b64 exec, exec, s[2:3]
.LBB12_67:
	s_or_b64 exec, exec, s[0:1]
	v_and_b32_e32 v7, 24, v62
	v_cmp_ne_u32_e32 vcc, 0, v7
                                        ; implicit-def: $vgpr32_vgpr33
	s_and_saveexec_b64 s[0:1], vcc
	s_cbranch_execz .LBB12_75
; %bb.68:
	s_trap 2
	ds_read_b64 v[10:11], v0
	s_waitcnt lgkmcnt(0)
	v_ashrrev_i32_e32 v9, 31, v8
	v_and_b32_e32 v6, 0xffff, v6
	s_movk_i32 s2, 0xa8
                                        ; implicit-def: $vgpr32_vgpr33
	v_lshl_add_u64 v[8:9], v[8:9], 3, v[10:11]
	flat_load_dwordx2 v[8:9], v[8:9]
	s_waitcnt vmcnt(0) lgkmcnt(0)
	v_mad_u64_u32 v[28:29], s[2:3], v6, s2, v[8:9]
	flat_load_dwordx4 v[40:43], v[28:29] offset:96
	v_or_b32_e32 v6, 0x100, v62
	s_waitcnt vmcnt(0) lgkmcnt(0)
	v_cmp_eq_u64_e32 vcc, 0, v[40:41]
	s_nop 1
	v_cndmask_b32_e32 v62, v6, v62, vcc
	v_and_b32_e32 v6, 16, v62
	v_cmp_ne_u32_e32 vcc, 0, v6
	s_and_saveexec_b64 s[2:3], vcc
	s_cbranch_execz .LBB12_70
; %bb.69:
	flat_load_dwordx2 v[32:33], v[28:29] offset:120
	flat_load_dwordx2 v[26:27], v[28:29] offset:48
	;; [unrolled: 1-line block ×3, first 2 shown]
.LBB12_70:
	s_or_b64 exec, exec, s[2:3]
	v_lshl_add_u64 v[50:51], v[42:43], 0, 3
	v_and_b32_e32 v6, 8, v62
	v_and_b32_e32 v50, -4, v50
	v_cmp_ne_u32_e32 vcc, 0, v6
	s_and_saveexec_b64 s[2:3], vcc
	s_cbranch_execz .LBB12_74
; %bb.71:
	v_and_b32_e32 v6, 0x800, v62
	v_cmp_eq_u32_e32 vcc, 0, v6
	s_and_saveexec_b64 s[4:5], vcc
	s_cbranch_execz .LBB12_73
; %bb.72:
	s_trap 2
	ds_write_b64 v0, v[28:29]
.LBB12_73:
	s_or_b64 exec, exec, s[4:5]
	s_waitcnt vmcnt(0) lgkmcnt(0)
	flat_load_dwordx2 v[26:27], v[28:29] offset:56
	s_waitcnt vmcnt(0) lgkmcnt(0)
	flat_load_dwordx2 v[36:37], v[26:27] sc0 sc1
	flat_load_dword v52, v[28:29] offset:72
	flat_load_dwordx2 v[34:35], v[28:29] offset:16
.LBB12_74:
	s_or_b64 exec, exec, s[2:3]
.LBB12_75:
	s_or_b64 exec, exec, s[0:1]
	v_cmp_eq_u32_e64 s[0:1], 0, v0
	s_and_saveexec_b64 s[2:3], s[0:1]
	s_cbranch_execz .LBB12_77
; %bb.76:
	flat_load_dwordx2 v[6:7], v[2:3] offset:32
	s_waitcnt lgkmcnt(0)
	v_mov_b32_e32 v8, v22
	v_mov_b32_e32 v9, v23
	;; [unrolled: 1-line block ×4, first 2 shown]
	ds_write2_b64 v0, v[8:9], v[10:11] offset1:1
	s_trap 2
	s_waitcnt vmcnt(0)
	ds_write_b64 v0, v[6:7]
	ds_write_b64 v0, v[4:5]
.LBB12_77:
	s_or_b64 exec, exec, s[2:3]
	v_accvgpr_read_b32 v5, a3
	v_accvgpr_read_b32 v4, a2
	s_mov_b64 s[38:39], 0
	v_cmp_ne_u64_e32 vcc, 0, v[4:5]
	v_mov_b64_e32 v[14:15], 0
	s_and_saveexec_b64 s[36:37], vcc
	s_cbranch_execz .LBB12_1015
; %bb.78:
	flat_load_dword v10, v[2:3] offset:4
	v_lshlrev_b32_e32 v4, 9, v18
	v_cvt_f64_u32_e32 v[2:3], 0
	s_ashr_i32 s12, s14, 31
	v_and_b32_e32 v5, 63, v31
	v_lshrrev_b32_e32 v48, 6, v16
	v_ashrrev_i32_e32 v6, 31, v0
	s_waitcnt lgkmcnt(0)
	v_mov_b32_e32 v8, 0xfffff000
	v_and_b32_e32 v14, 0x3ffffe00, v4
	v_ldexp_f64 v[2:3], v[2:3], 32
	s_lshr_b32 s15, s12, 25
	v_cmp_eq_u32_e64 s[12:13], 0, v5
	v_lshrrev_b32_e32 v5, 26, v6
	v_lshl_add_u32 v6, v48, 12, v8
	v_cvt_f64_u32_e32 v[8:9], v14
	v_add_f64 v[2:3], v[2:3], v[8:9]
	v_accvgpr_write_b32 a18, v28
	v_mov_b32_e32 v7, 0xfffff800
	v_add_u32_e32 v11, v0, v5
	v_accvgpr_write_b32 a35, v3
	v_accvgpr_write_b32 a19, v29
	v_lshl_add_u32 v4, v48, 11, v7
	v_accvgpr_write_b32 a34, v2
	v_ashrrev_i32_e32 v28, 6, v11
	v_and_b32_e32 v2, 0xffffffc0, v11
	v_accvgpr_write_b32 a10, v20
	s_mov_b64 s[16:17], 0x800
	v_ashrrev_i32_e32 v5, 31, v4
	v_sub_u32_e32 v3, v0, v2
	v_lshlrev_b32_e32 v2, 11, v28
	v_accvgpr_write_b32 a11, v21
	v_accvgpr_write_b32 a12, v22
	;; [unrolled: 1-line block ×3, first 2 shown]
	v_mov_b32_e32 v39, 0
	v_cmp_eq_u32_e64 s[2:3], 64, v16
	v_cmp_ne_u32_e64 s[4:5], 64, v16
	v_cmp_ne_u32_sdwa s[40:41], v12, v16 src0_sel:WORD_0 src1_sel:DWORD
	v_accvgpr_write_b32 a0, v16
	v_and_b32_e32 v16, 0xffffffc0, v16
	s_mov_b64 s[18:19], 0x1000
	v_lshlrev_b32_e32 v22, 10, v48
	s_add_i32 s14, s14, s15
	v_ashrrev_i32_e32 v7, 31, v6
	v_lshl_add_u64 v[46:47], v[4:5], 0, s[16:17]
	v_lshl_add_u32 v4, v3, 4, v2
	v_accvgpr_write_b32 a14, v24
	v_accvgpr_write_b32 a6, v12
	v_mov_b32_e32 v15, v39
	v_subrev_u32_e32 v12, 64, v16
	v_add_u32_e32 v42, 0xfffffc00, v22
	s_ashr_i32 s74, s14, 7
	v_lshl_add_u64 v[58:59], v[6:7], 0, s[18:19]
	v_cmp_le_i32_e64 s[16:17], v3, v1
	v_cmp_lt_i32_e64 s[18:19], v3, v1
	v_ashrrev_i32_e32 v5, 31, v4
	v_accvgpr_write_b32 a15, v25
	s_waitcnt vmcnt(0)
	v_ashrrev_i32_e32 v17, 31, v52
	s_mov_b64 s[42:43], 0x400
	v_mov_b64_e32 v[44:45], 0
	v_accvgpr_write_b32 a31, v15
	v_ashrrev_i32_e32 v13, 31, v12
	v_ashrrev_i32_e32 v43, 31, v42
	s_cmp_gt_i32 s70, 2
	v_cmp_gt_i32_e64 s[14:15], 1, v3
	v_accvgpr_write_b32 a36, v3
	v_accvgpr_write_b32 a39, v5
	v_add_u32_e32 v24, v4, v2
	v_accvgpr_read_b32 v2, a2
	v_accvgpr_write_b32 a20, v40
	v_accvgpr_write_b32 a24, v34
	v_accvgpr_write_b32 a26, v32
	v_accvgpr_write_b32 a32, v42
	v_accvgpr_write_b32 a1, v31
	s_movk_i32 s71, 0xffc0
	v_cmp_eq_u64_e64 s[6:7], 0, v[32:33]
	v_cmp_ne_u64_e64 s[10:11], 0, v[32:33]
	s_movk_i32 s72, 0x270e
	v_mov_b32_e32 v53, 1
	s_mov_b64 s[44:45], 0x3c0
	s_movk_i32 s73, 0x108
	v_and_b32_e32 v1, 1, v10
	v_cmp_eq_u32_e64 s[20:21], 1, v1
	v_mov_b32_e32 v49, v39
	v_accvgpr_write_b32 a30, v14
	v_lshl_add_u64 v[56:57], v[12:13], 0, 64
	v_lshl_add_u64 v[60:61], v[42:43], 0, s[42:43]
	s_cselect_b64 s[46:47], -1, 0
	s_add_i32 s75, s70, -2
	v_accvgpr_write_b32 a38, v4
	v_ashrrev_i32_e32 v25, 31, v24
	s_xor_b64 s[48:49], s[20:21], -1
	v_mov_b64_e32 v[14:15], v[44:45]
	v_accvgpr_read_b32 v3, a3
	v_accvgpr_write_b32 a21, v41
	v_accvgpr_write_b32 a22, v52
	;; [unrolled: 1-line block ×7, first 2 shown]
	s_trap 2
	s_branch .LBB12_81
.LBB12_79:                              ;   in Loop: Header=BB12_81 Depth=1
	s_or_b64 exec, exec, s[26:27]
.LBB12_80:                              ;   in Loop: Header=BB12_81 Depth=1
	s_or_b64 exec, exec, s[24:25]
	v_accvgpr_read_b32 v2, a30
	v_accvgpr_read_b32 v3, a31
	v_lshl_add_u64 v[44:45], v[44:45], 0, v[2:3]
	v_accvgpr_read_b32 v2, a2
	v_accvgpr_read_b32 v3, a3
	v_cmp_ge_u64_e32 vcc, v[44:45], v[2:3]
	s_or_b64 s[38:39], vcc, s[38:39]
	s_andn2_b64 exec, exec, s[38:39]
	s_cbranch_execz .LBB12_1014
.LBB12_81:                              ; =>This Loop Header: Depth=1
                                        ;     Child Loop BB12_86 Depth 2
                                        ;       Child Loop BB12_94 Depth 3
                                        ;       Child Loop BB12_118 Depth 3
	;; [unrolled: 1-line block ×9, first 2 shown]
                                        ;         Child Loop BB12_178 Depth 4
                                        ;       Child Loop BB12_187 Depth 3
                                        ;       Child Loop BB12_192 Depth 3
                                        ;         Child Loop BB12_193 Depth 4
                                        ;       Child Loop BB12_165 Depth 3
                                        ;       Child Loop BB12_245 Depth 3
                                        ;     Child Loop BB12_405 Depth 2
                                        ;       Child Loop BB12_411 Depth 3
                                        ;       Child Loop BB12_435 Depth 3
	;; [unrolled: 1-line block ×3, first 2 shown]
                                        ;     Child Loop BB12_263 Depth 2
                                        ;       Child Loop BB12_271 Depth 3
                                        ;       Child Loop BB12_295 Depth 3
	;; [unrolled: 1-line block ×9, first 2 shown]
                                        ;     Child Loop BB12_477 Depth 2
                                        ;       Child Loop BB12_483 Depth 3
                                        ;       Child Loop BB12_507 Depth 3
	;; [unrolled: 1-line block ×3, first 2 shown]
                                        ;     Child Loop BB12_551 Depth 2
                                        ;       Child Loop BB12_559 Depth 3
                                        ;       Child Loop BB12_585 Depth 3
	;; [unrolled: 1-line block ×9, first 2 shown]
                                        ;         Child Loop BB12_645 Depth 4
                                        ;       Child Loop BB12_654 Depth 3
                                        ;       Child Loop BB12_659 Depth 3
                                        ;         Child Loop BB12_660 Depth 4
                                        ;       Child Loop BB12_632 Depth 3
                                        ;       Child Loop BB12_711 Depth 3
                                        ;     Child Loop BB12_727 Depth 2
                                        ;       Child Loop BB12_730 Depth 3
                                        ;         Child Loop BB12_736 Depth 4
                                        ;         Child Loop BB12_774 Depth 4
	;; [unrolled: 1-line block ×3, first 2 shown]
                                        ;     Child Loop BB12_809 Depth 2
                                        ;       Child Loop BB12_817 Depth 3
                                        ;       Child Loop BB12_841 Depth 3
	;; [unrolled: 1-line block ×9, first 2 shown]
                                        ;     Child Loop BB12_948 Depth 2
                                        ;       Child Loop BB12_954 Depth 3
                                        ;       Child Loop BB12_978 Depth 3
	;; [unrolled: 1-line block ×3, first 2 shown]
	v_accvgpr_read_b32 v4, a4
	v_accvgpr_read_b32 v5, a5
	flat_load_dword v10, v[4:5]
	v_sub_co_u32_e32 v1, vcc, v2, v44
	v_accvgpr_read_b32 v6, a8
	s_nop 0
	v_subb_co_u32_e32 v4, vcc, v3, v45, vcc
	v_accvgpr_read_b32 v2, a34
	v_accvgpr_read_b32 v7, a9
	v_cvt_f64_u32_e32 v[4:5], v4
	v_accvgpr_read_b32 v3, a35
	v_lshl_add_u64 v[30:31], v[44:45], 0, v[6:7]
	v_cvt_f64_u32_e32 v[6:7], v1
	v_ldexp_f64 v[4:5], v[4:5], 32
	v_max_f64 v[2:3], v[2:3], v[2:3]
	v_add_f64 v[4:5], v[4:5], v[6:7]
	v_min_f64 v[2:3], v[2:3], v[4:5]
	v_cvt_i32_f64_e32 v4, v[2:3]
	v_max_i32_e32 v1, 0, v4
	v_add_u32_e32 v2, 31, v1
	v_ashrrev_i32_e32 v3, 31, v2
	v_lshrrev_b32_e32 v3, 27, v3
	v_add_u32_e32 v2, v2, v3
	v_ashrrev_i32_e32 v2, 5, v2
	v_lshlrev_b32_e32 v2, 4, v2
	v_accvgpr_read_b32 v6, a14
	v_max_i32_e32 v54, s74, v2
	v_accvgpr_read_b32 v7, a15
	v_accvgpr_read_b32 v21, a13
	;; [unrolled: 1-line block ×5, first 2 shown]
	v_accvgpr_write_b32 a41, v31
	v_lshl_add_u64 v[8:9], v[20:21], 0, v[30:31]
	v_accvgpr_write_b32 a40, v30
	s_waitcnt vmcnt(0) lgkmcnt(0)
	v_ashrrev_i32_e32 v2, 31, v10
	v_mul_lo_u32 v3, v7, v10
	v_mad_u64_u32 v[10:11], s[22:23], v6, v10, v[30:31]
	v_mul_lo_u32 v2, v6, v2
	v_add3_u32 v11, v3, v11, v2
	v_accvgpr_write_b32 a43, v11
	v_accvgpr_write_b32 a42, v10
	v_lshl_add_u64 v[2:3], v[18:19], 0, v[10:11]
	v_cmp_lt_i32_e64 s[22:23], 0, v4
	v_cmp_ne_u64_e32 vcc, v[8:9], v[2:3]
	s_mov_b64 s[24:25], exec
	s_and_b64 s[26:27], s[24:25], vcc
	v_accvgpr_write_b32 a28, v44
	s_xor_b64 s[50:51], s[26:27], s[24:25]
	v_accvgpr_write_b32 a29, v45
	v_accvgpr_write_b32 a37, v54
	s_mov_b64 exec, s[26:27]
	s_cbranch_execz .LBB12_258
; %bb.82:                               ;   in Loop: Header=BB12_81 Depth=1
	v_mov_b32_e32 v2, 0
	v_mov_b32_e32 v52, v54
	;; [unrolled: 1-line block ×3, first 2 shown]
	s_and_saveexec_b64 s[52:53], s[22:23]
	s_cbranch_execz .LBB12_401
; %bb.83:                               ;   in Loop: Header=BB12_81 Depth=1
	s_mov_b32 s76, 1
	s_mov_b64 s[56:57], -1
	s_mov_b64 s[54:55], 0
	v_mov_b32_e32 v54, 0
	v_accvgpr_read_b32 v52, a37
	s_branch .LBB12_86
.LBB12_84:                              ;   in Loop: Header=BB12_86 Depth=2
	s_or_b64 exec, exec, s[26:27]
	v_lshl_add_u64 v[50:51], v[50:51], 0, 2
	flat_store_dwordx2 v[26:27], v[50:51] sc0 sc1
.LBB12_85:                              ;   in Loop: Header=BB12_86 Depth=2
	s_or_b64 exec, exec, s[24:25]
	v_add_u32_e32 v54, v52, v54
	v_cmp_ge_i32_e32 vcc, v54, v1
	s_xor_b64 s[24:25], s[56:57], -1
	s_or_b64 s[24:25], s[24:25], vcc
	s_and_b64 s[24:25], exec, s[24:25]
	s_or_b64 s[54:55], s[24:25], s[54:55]
	s_mov_b64 s[56:57], 0
	v_mov_b32_e32 v2, s76
	s_mov_b32 s76, 2
	s_andn2_b64 exec, exec, s[54:55]
	s_cbranch_execz .LBB12_400
.LBB12_86:                              ;   Parent Loop BB12_81 Depth=1
                                        ; =>  This Loop Header: Depth=2
                                        ;       Child Loop BB12_94 Depth 3
                                        ;       Child Loop BB12_118 Depth 3
	;; [unrolled: 1-line block ×9, first 2 shown]
                                        ;         Child Loop BB12_178 Depth 4
                                        ;       Child Loop BB12_187 Depth 3
                                        ;       Child Loop BB12_192 Depth 3
                                        ;         Child Loop BB12_193 Depth 4
                                        ;       Child Loop BB12_165 Depth 3
                                        ;       Child Loop BB12_245 Depth 3
	s_and_saveexec_b64 s[24:25], s[0:1]
	s_cbranch_execz .LBB12_88
; %bb.87:                               ;   in Loop: Header=BB12_86 Depth=2
	s_trap 2
	ds_read2_b64 v[2:5], v0 offset1:1
	ds_read_b64 v[6:7], v0
	v_accvgpr_read_b32 v8, a40
	v_accvgpr_read_b32 v9, a41
	v_ashrrev_i32_e32 v55, 31, v54
	s_waitcnt lgkmcnt(0)
	v_lshl_add_u64 v[2:3], v[2:3], 0, v[8:9]
	v_accvgpr_read_b32 v8, a42
	v_accvgpr_read_b32 v9, a43
	v_lshl_add_u64 v[4:5], v[4:5], 0, v[8:9]
	v_lshl_add_u64 v[2:3], v[2:3], 0, v[54:55]
	ds_write_b64 v0, v[2:3]
	v_lshl_add_u64 v[2:3], v[4:5], 0, v[54:55]
	ds_write_b64 v0, v[2:3]
	s_waitcnt lgkmcnt(2)
	v_lshl_add_u64 v[2:3], v[6:7], 0, v[8:9]
	v_lshl_add_u64 v[2:3], v[2:3], 0, v[54:55]
	v_cmp_ne_u64_e32 vcc, 0, v[6:7]
	s_nop 1
	v_cndmask_b32_e32 v3, 0, v3, vcc
	v_cndmask_b32_e32 v2, 0, v2, vcc
	ds_write_b64 v0, v[2:3]
.LBB12_88:                              ;   in Loop: Header=BB12_86 Depth=2
	s_or_b64 exec, exec, s[24:25]
	v_and_b32_e32 v2, 8, v62
	v_cmp_ne_u32_e32 vcc, 0, v2
	s_mov_b64 s[26:27], -1
	v_lshl_add_u64 v[2:3], v[50:51], 0, 2
	s_and_saveexec_b64 s[24:25], vcc
	s_cbranch_execz .LBB12_100
; %bb.89:                               ;   in Loop: Header=BB12_86 Depth=2
	v_lshl_add_u64 v[6:7], v[36:37], 0, 8
	v_lshl_add_u64 v[4:5], v[50:51], 0, 2
	v_cmp_lt_u64_e32 vcc, v[6:7], v[4:5]
	v_mov_b32_e32 v6, 1
	s_and_saveexec_b64 s[26:27], vcc
	s_cbranch_execz .LBB12_99
; %bb.90:                               ;   in Loop: Header=BB12_86 Depth=2
	s_mov_b64 s[28:29], 0
	v_mov_b32_e32 v6, 0
                                        ; implicit-def: $sgpr58_sgpr59
	s_branch .LBB12_94
.LBB12_91:                              ;   in Loop: Header=BB12_94 Depth=3
	s_or_b64 exec, exec, s[66:67]
	v_mov_b32_e32 v7, 0
	s_orn2_b64 s[64:65], s[64:65], exec
.LBB12_92:                              ;   in Loop: Header=BB12_94 Depth=3
	s_or_b64 exec, exec, s[62:63]
	s_andn2_b64 vcc, s[58:59], exec
	s_and_b64 s[58:59], s[64:65], exec
	s_or_b64 s[58:59], vcc, s[58:59]
	v_mov_b32_e32 v6, v7
.LBB12_93:                              ;   in Loop: Header=BB12_94 Depth=3
	s_or_b64 exec, exec, s[60:61]
	s_waitcnt vmcnt(0) lgkmcnt(0)
	v_lshl_add_u64 v[8:9], v[36:37], 0, 8
	v_cmp_ge_u64_e32 vcc, v[8:9], v[4:5]
	s_xor_b64 s[60:61], s[58:59], -1
	s_or_b64 vcc, s[60:61], vcc
	s_and_b64 vcc, exec, vcc
	s_or_b64 s[28:29], vcc, s[28:29]
	s_andn2_b64 exec, exec, s[28:29]
	s_cbranch_execz .LBB12_98
.LBB12_94:                              ;   Parent Loop BB12_81 Depth=1
                                        ;     Parent Loop BB12_86 Depth=2
                                        ; =>    This Inner Loop Header: Depth=3
	s_sleep 1
	flat_load_dwordx2 v[36:37], v[26:27] sc0 sc1
	v_and_b32_e32 v7, 64, v62
	v_cmp_eq_u32_e32 vcc, 0, v7
	s_andn2_b64 s[58:59], s[58:59], exec
	s_and_saveexec_b64 s[60:61], vcc
	s_cbranch_execz .LBB12_93
; %bb.95:                               ;   in Loop: Header=BB12_94 Depth=3
	v_add_u32_e32 v7, 1, v6
	v_cmp_lt_i32_e32 vcc, s72, v6
	s_mov_b64 s[64:65], -1
	s_and_saveexec_b64 s[62:63], vcc
	s_cbranch_execz .LBB12_92
; %bb.96:                               ;   in Loop: Header=BB12_94 Depth=3
	s_trap 2
	ds_read_b64 v[6:7], v0
	s_waitcnt vmcnt(0) lgkmcnt(0)
	flat_load_dword v6, v[6:7] sc0 sc1
	s_waitcnt vmcnt(0) lgkmcnt(0)
	buffer_inv sc0 sc1
	v_cmp_ne_u32_e32 vcc, 0, v6
	s_and_saveexec_b64 s[66:67], vcc
	s_cbranch_execz .LBB12_91
; %bb.97:                               ;   in Loop: Header=BB12_94 Depth=3
	v_or_b32_e32 v62, 64, v62
	s_xor_b64 s[64:65], exec, -1
	ds_write_b32 v0, v6
	s_trap 2
	s_branch .LBB12_91
.LBB12_98:                              ;   in Loop: Header=BB12_86 Depth=2
	s_or_b64 exec, exec, s[28:29]
	v_and_b32_e32 v6, 8, v62
.LBB12_99:                              ;   in Loop: Header=BB12_86 Depth=2
	s_or_b64 exec, exec, s[26:27]
	v_cmp_eq_u32_e32 vcc, 0, v6
	s_orn2_b64 s[26:27], vcc, exec
	;;#ASMSTART
	s_wakeup
	;;#ASMEND
.LBB12_100:                             ;   in Loop: Header=BB12_86 Depth=2
	s_or_b64 exec, exec, s[24:25]
	v_sub_u32_e32 v4, v1, v54
	s_xor_b64 s[24:25], s[26:27], -1
	v_min_i32_e32 v52, v52, v4
	s_and_saveexec_b64 s[26:27], s[24:25]
	s_cbranch_execz .LBB12_110
; %bb.101:                              ;   in Loop: Header=BB12_86 Depth=2
	v_and_b32_e32 v4, 0x100, v62
	v_cmp_ne_u32_e32 vcc, 0, v4
	v_and_b32_e32 v8, 7, v50
	s_mov_b64 s[24:25], -1
                                        ; implicit-def: $vgpr4_vgpr5
	s_and_saveexec_b64 s[28:29], vcc
	s_cbranch_execz .LBB12_105
; %bb.102:                              ;   in Loop: Header=BB12_86 Depth=2
	v_mad_u64_u32 v[6:7], s[24:25], v8, 24, v[40:41]
	flat_load_dword v4, v[6:7]
	v_ashrrev_i32_e32 v53, 31, v52
	flat_store_dwordx2 v[6:7], v[52:53] offset:8
	s_waitcnt vmcnt(0) lgkmcnt(0)
	v_cmp_ne_u32_e32 vcc, 1, v4
	v_cmp_eq_u32_e64 s[24:25], 1, v4
                                        ; implicit-def: $vgpr4_vgpr5
	s_and_saveexec_b64 s[58:59], s[24:25]
	s_cbranch_execz .LBB12_104
; %bb.103:                              ;   in Loop: Header=BB12_86 Depth=2
	flat_load_dword v4, v[6:7] offset:4 sc0 sc1
	s_waitcnt vmcnt(0) lgkmcnt(0)
	v_ashrrev_i32_e32 v5, 31, v4
.LBB12_104:                             ;   in Loop: Header=BB12_86 Depth=2
	s_or_b64 exec, exec, s[58:59]
	s_orn2_b64 s[24:25], vcc, exec
	v_mov_b32_e32 v53, 1
.LBB12_105:                             ;   in Loop: Header=BB12_86 Depth=2
	s_or_b64 exec, exec, s[28:29]
	s_and_saveexec_b64 s[28:29], s[24:25]
; %bb.106:                              ;   in Loop: Header=BB12_86 Depth=2
	v_accvgpr_read_b32 v4, a22
	v_mad_i64_i32 v[4:5], s[24:25], v8, v4, 0
; %bb.107:                              ;   in Loop: Header=BB12_86 Depth=2
	s_or_b64 exec, exec, s[28:29]
	v_lshl_add_u64 v[4:5], v[34:35], 0, v[4:5]
	ds_write_b64 v0, v[4:5] offset:792
	v_and_b32_e32 v4, 0x2000, v62
	v_cmp_ne_u32_e32 vcc, 0, v4
	s_and_saveexec_b64 s[24:25], vcc
	s_cbranch_execz .LBB12_109
; %bb.108:                              ;   in Loop: Header=BB12_86 Depth=2
	ds_read_b64 v[4:5], v0 offset:584
	s_waitcnt lgkmcnt(0)
	v_lshl_add_u64 v[4:5], v[4:5], 0, 1
	ds_write_b64 v0, v[4:5] offset:584
.LBB12_109:                             ;   in Loop: Header=BB12_86 Depth=2
	s_or_b64 exec, exec, s[24:25]
	v_mov_b64_e32 v[50:51], v[2:3]
.LBB12_110:                             ;   in Loop: Header=BB12_86 Depth=2
	s_or_b64 exec, exec, s[26:27]
	s_and_saveexec_b64 s[24:25], s[4:5]
	s_cbranch_execz .LBB12_129
; %bb.111:                              ;   in Loop: Header=BB12_86 Depth=2
	s_and_saveexec_b64 s[26:27], s[40:41]
	s_xor_b64 s[26:27], exec, s[26:27]
	s_cbranch_execz .LBB12_126
; %bb.112:                              ;   in Loop: Header=BB12_86 Depth=2
	s_and_saveexec_b64 s[28:29], s[12:13]
	s_cbranch_execz .LBB12_125
; %bb.113:                              ;   in Loop: Header=BB12_86 Depth=2
	s_mov_b64 s[60:61], exec
	v_mbcnt_lo_u32_b32 v2, s60, 0
	v_mbcnt_hi_u32_b32 v2, s61, v2
	v_cmp_eq_u32_e32 vcc, 0, v2
	s_waitcnt lgkmcnt(0)
	s_and_saveexec_b64 s[58:59], vcc
	s_cbranch_execz .LBB12_115
; %bb.114:                              ;   in Loop: Header=BB12_86 Depth=2
	s_bcnt1_i32_b64 vcc_lo, s[60:61]
	v_mov_b32_e32 v38, vcc_lo
	ds_add_u64 v0, v[38:39]
	s_trap 2
.LBB12_115:                             ;   in Loop: Header=BB12_86 Depth=2
	s_or_b64 exec, exec, s[58:59]
	s_trap 2
	ds_read_b64 v[2:3], v0
	v_lshl_add_u64 v[14:15], v[14:15], 0, v[48:49]
	s_waitcnt lgkmcnt(0)
	v_cmp_lt_u64_e32 vcc, v[2:3], v[14:15]
	s_and_saveexec_b64 s[58:59], vcc
	s_cbranch_execz .LBB12_124
; %bb.116:                              ;   in Loop: Header=BB12_86 Depth=2
	s_mov_b32 s77, 0
	s_mov_b64 s[60:61], 0
                                        ; implicit-def: $sgpr62_sgpr63
                                        ; implicit-def: $sgpr64_sgpr65
	s_branch .LBB12_118
.LBB12_117:                             ;   in Loop: Header=BB12_118 Depth=3
	s_or_b64 exec, exec, s[68:69]
	s_and_b64 vcc, exec, vcc
	s_or_b64 s[60:61], vcc, s[60:61]
	s_andn2_b64 vcc, s[62:63], exec
	s_and_b64 s[62:63], s[64:65], exec
	s_or_b64 s[62:63], vcc, s[62:63]
	s_andn2_b64 exec, exec, s[60:61]
	s_cbranch_execz .LBB12_122
.LBB12_118:                             ;   Parent Loop BB12_81 Depth=1
                                        ;     Parent Loop BB12_86 Depth=2
                                        ; =>    This Inner Loop Header: Depth=3
	s_add_i32 s77, s77, 1
	s_cmpk_lg_i32 s77, 0x2710
	s_cselect_b64 s[66:67], -1, 0
	s_and_b64 vcc, exec, s[66:67]
                                        ; implicit-def: $sgpr68_sgpr69
	s_cbranch_vccnz .LBB12_120
; %bb.119:                              ;   in Loop: Header=BB12_118 Depth=3
	s_trap 2
	ds_read_b64 v[2:3], v0
	s_andn2_b64 s[66:67], s[66:67], exec
	s_mov_b32 s77, 0
	s_mov_b64 s[68:69], -1
	s_waitcnt lgkmcnt(0)
	flat_load_dword v2, v[2:3] sc0 sc1
	s_waitcnt vmcnt(0) lgkmcnt(0)
	buffer_inv sc0 sc1
	v_cmp_eq_u32_e32 vcc, 0, v2
	s_and_b64 vcc, vcc, exec
	s_or_b64 s[66:67], s[66:67], vcc
.LBB12_120:                             ;   in Loop: Header=BB12_118 Depth=3
	s_andn2_b64 s[64:65], s[64:65], exec
	s_and_b64 s[68:69], s[68:69], exec
	s_mov_b64 vcc, -1
	s_or_b64 s[64:65], s[64:65], s[68:69]
	s_and_saveexec_b64 s[68:69], s[66:67]
	s_cbranch_execz .LBB12_117
; %bb.121:                              ;   in Loop: Header=BB12_118 Depth=3
	s_sleep 1
	s_trap 2
	ds_read_b64 v[2:3], v0
	s_andn2_b64 s[64:65], s[64:65], exec
	s_waitcnt lgkmcnt(0)
	v_cmp_ge_u64_e32 vcc, v[2:3], v[14:15]
	s_orn2_b64 vcc, vcc, exec
	s_branch .LBB12_117
.LBB12_122:                             ;   in Loop: Header=BB12_86 Depth=2
	s_or_b64 exec, exec, s[60:61]
	s_and_saveexec_b64 vcc, s[62:63]
	s_xor_b64 vcc, exec, vcc
	s_cbranch_execz .LBB12_124
; %bb.123:                              ;   in Loop: Header=BB12_86 Depth=2
	ds_write_b32 v0, v53
	s_trap 2
.LBB12_124:                             ;   in Loop: Header=BB12_86 Depth=2
	s_or_b64 exec, exec, s[58:59]
	;;#ASMSTART
	s_wakeup
	;;#ASMEND
.LBB12_125:                             ;   in Loop: Header=BB12_86 Depth=2
	s_or_b64 exec, exec, s[28:29]
.LBB12_126:                             ;   in Loop: Header=BB12_86 Depth=2
	s_andn2_saveexec_b64 s[26:27], s[26:27]
	s_cbranch_execz .LBB12_128
; %bb.127:                              ;   in Loop: Header=BB12_86 Depth=2
	s_waitcnt lgkmcnt(0)
	s_barrier
.LBB12_128:                             ;   in Loop: Header=BB12_86 Depth=2
	s_or_b64 exec, exec, s[26:27]
.LBB12_129:                             ;   in Loop: Header=BB12_86 Depth=2
	s_or_b64 exec, exec, s[24:25]
	s_trap 2
	ds_read_b32 v2, v0
	v_and_b32_e32 v3, 0x4000, v62
	v_cmp_ne_u32_e32 vcc, 0, v3
	s_xor_b64 s[24:25], s[2:3], -1
	s_and_b64 s[26:27], s[24:25], vcc
	s_and_saveexec_b64 s[24:25], s[26:27]
	s_cbranch_execz .LBB12_148
; %bb.130:                              ;   in Loop: Header=BB12_86 Depth=2
	s_and_saveexec_b64 s[26:27], s[40:41]
	s_xor_b64 s[26:27], exec, s[26:27]
	s_cbranch_execz .LBB12_145
; %bb.131:                              ;   in Loop: Header=BB12_86 Depth=2
	s_and_saveexec_b64 s[28:29], s[12:13]
	s_cbranch_execz .LBB12_144
; %bb.132:                              ;   in Loop: Header=BB12_86 Depth=2
	s_mov_b64 s[60:61], exec
	v_mbcnt_lo_u32_b32 v3, s60, 0
	v_mbcnt_hi_u32_b32 v3, s61, v3
	v_cmp_eq_u32_e32 vcc, 0, v3
	s_waitcnt lgkmcnt(0)
	s_and_saveexec_b64 s[58:59], vcc
	s_cbranch_execz .LBB12_134
; %bb.133:                              ;   in Loop: Header=BB12_86 Depth=2
	s_bcnt1_i32_b64 vcc_lo, s[60:61]
	v_mov_b32_e32 v38, vcc_lo
	ds_add_u64 v0, v[38:39]
	s_trap 2
.LBB12_134:                             ;   in Loop: Header=BB12_86 Depth=2
	s_or_b64 exec, exec, s[58:59]
	s_trap 2
	ds_read_b64 v[4:5], v0
	v_lshl_add_u64 v[14:15], v[14:15], 0, v[48:49]
	s_waitcnt lgkmcnt(0)
	v_cmp_lt_u64_e32 vcc, v[4:5], v[14:15]
	s_and_saveexec_b64 s[58:59], vcc
	s_cbranch_execz .LBB12_143
; %bb.135:                              ;   in Loop: Header=BB12_86 Depth=2
	s_mov_b32 s77, 0
	s_mov_b64 s[60:61], 0
                                        ; implicit-def: $sgpr62_sgpr63
                                        ; implicit-def: $sgpr64_sgpr65
	s_branch .LBB12_137
.LBB12_136:                             ;   in Loop: Header=BB12_137 Depth=3
	s_or_b64 exec, exec, s[68:69]
	s_and_b64 vcc, exec, vcc
	s_or_b64 s[60:61], vcc, s[60:61]
	s_andn2_b64 vcc, s[62:63], exec
	s_and_b64 s[62:63], s[64:65], exec
	s_or_b64 s[62:63], vcc, s[62:63]
	s_andn2_b64 exec, exec, s[60:61]
	s_cbranch_execz .LBB12_141
.LBB12_137:                             ;   Parent Loop BB12_81 Depth=1
                                        ;     Parent Loop BB12_86 Depth=2
                                        ; =>    This Inner Loop Header: Depth=3
	s_add_i32 s77, s77, 1
	s_cmpk_lg_i32 s77, 0x2710
	s_cselect_b64 s[66:67], -1, 0
	s_and_b64 vcc, exec, s[66:67]
                                        ; implicit-def: $sgpr68_sgpr69
	s_cbranch_vccnz .LBB12_139
; %bb.138:                              ;   in Loop: Header=BB12_137 Depth=3
	s_trap 2
	ds_read_b64 v[4:5], v0
	s_andn2_b64 s[66:67], s[66:67], exec
	s_mov_b32 s77, 0
	s_mov_b64 s[68:69], -1
	s_waitcnt lgkmcnt(0)
	flat_load_dword v3, v[4:5] sc0 sc1
	s_waitcnt vmcnt(0) lgkmcnt(0)
	buffer_inv sc0 sc1
	v_cmp_eq_u32_e32 vcc, 0, v3
	s_and_b64 vcc, vcc, exec
	s_or_b64 s[66:67], s[66:67], vcc
.LBB12_139:                             ;   in Loop: Header=BB12_137 Depth=3
	s_andn2_b64 s[64:65], s[64:65], exec
	s_and_b64 s[68:69], s[68:69], exec
	s_mov_b64 vcc, -1
	s_or_b64 s[64:65], s[64:65], s[68:69]
	s_and_saveexec_b64 s[68:69], s[66:67]
	s_cbranch_execz .LBB12_136
; %bb.140:                              ;   in Loop: Header=BB12_137 Depth=3
	s_sleep 1
	s_trap 2
	ds_read_b64 v[4:5], v0
	s_andn2_b64 s[64:65], s[64:65], exec
	s_waitcnt lgkmcnt(0)
	v_cmp_ge_u64_e32 vcc, v[4:5], v[14:15]
	s_orn2_b64 vcc, vcc, exec
	s_branch .LBB12_136
.LBB12_141:                             ;   in Loop: Header=BB12_86 Depth=2
	s_or_b64 exec, exec, s[60:61]
	s_and_saveexec_b64 vcc, s[62:63]
	s_xor_b64 vcc, exec, vcc
	s_cbranch_execz .LBB12_143
; %bb.142:                              ;   in Loop: Header=BB12_86 Depth=2
	ds_write_b32 v0, v53
	s_trap 2
.LBB12_143:                             ;   in Loop: Header=BB12_86 Depth=2
	s_or_b64 exec, exec, s[58:59]
	;;#ASMSTART
	s_wakeup
	;;#ASMEND
.LBB12_144:                             ;   in Loop: Header=BB12_86 Depth=2
	s_or_b64 exec, exec, s[28:29]
.LBB12_145:                             ;   in Loop: Header=BB12_86 Depth=2
	s_andn2_saveexec_b64 s[26:27], s[26:27]
	s_cbranch_execz .LBB12_147
; %bb.146:                              ;   in Loop: Header=BB12_86 Depth=2
	s_waitcnt lgkmcnt(0)
	s_barrier
.LBB12_147:                             ;   in Loop: Header=BB12_86 Depth=2
	s_or_b64 exec, exec, s[26:27]
.LBB12_148:                             ;   in Loop: Header=BB12_86 Depth=2
	s_or_b64 exec, exec, s[24:25]
	s_trap 2
	ds_read_b64 v[4:5], v0
	v_mov_b32_e32 v23, 0
	s_waitcnt lgkmcnt(0)
	v_readfirstlane_b32 s24, v4
	v_readfirstlane_b32 s25, v5
	s_cmp_eq_u64 s[24:25], 0
	s_cselect_b64 s[24:25], -1, 0
	s_or_b64 s[24:25], s[24:25], s[24:25]
	s_and_b64 vcc, exec, s[24:25]
	s_cbranch_vccnz .LBB12_157
; %bb.149:                              ;   in Loop: Header=BB12_86 Depth=2
	s_trap 2
	ds_read_b64 v[4:5], v0
	v_cmp_eq_u32_e64 s[24:25], 0, v2
	s_waitcnt lgkmcnt(0)
	v_cmp_ne_u64_e32 vcc, 0, v[4:5]
	v_cndmask_b32_e64 v23, 0, v52, s[24:25]
	s_cbranch_vccz .LBB12_169
; %bb.150:                              ;   in Loop: Header=BB12_86 Depth=2
	s_mov_b64 s[26:27], -1
	s_and_saveexec_b64 s[24:25], s[14:15]
	s_cbranch_execz .LBB12_152
; %bb.151:                              ;   in Loop: Header=BB12_86 Depth=2
	ds_read_b32 v2, v0 offset:720
	s_waitcnt lgkmcnt(0)
	v_and_b32_e32 v2, 15, v2
	v_cmp_eq_u32_e32 vcc, 0, v2
	s_orn2_b64 s[26:27], vcc, exec
.LBB12_152:                             ;   in Loop: Header=BB12_86 Depth=2
	s_or_b64 exec, exec, s[24:25]
	s_and_saveexec_b64 s[24:25], s[16:17]
	s_cbranch_execz .LBB12_154
; %bb.153:                              ;   in Loop: Header=BB12_86 Depth=2
	ds_read_b32 v2, v0 offset:784
	s_waitcnt lgkmcnt(0)
	v_and_b32_e32 v2, 15, v2
	v_cmp_eq_u32_e32 vcc, 0, v2
	s_and_b64 s[28:29], s[26:27], vcc
	s_andn2_b64 s[26:27], s[26:27], exec
	s_and_b64 s[28:29], s[28:29], exec
	s_or_b64 s[26:27], s[26:27], s[28:29]
.LBB12_154:                             ;   in Loop: Header=BB12_86 Depth=2
	s_or_b64 exec, exec, s[24:25]
	s_xor_b64 s[26:27], s[26:27], -1
	v_cndmask_b32_e64 v2, 0, 1, s[26:27]
	;;#ASMSTART
	;;#ASMEND
	s_mov_b64 s[24:25], -1
	v_cmp_ne_u32_e32 vcc, 0, v2
	v_mov_b32_e32 v10, 0
	v_mov_b32_e32 v11, v23
	v_mov_b32_e32 v38, v0
	v_mov_b32_e32 v2, v28
	s_cbranch_vccz .LBB12_170
; %bb.155:                              ;   in Loop: Header=BB12_86 Depth=2
	s_and_saveexec_b64 s[28:29], s[24:25]
	s_cbranch_execnz .LBB12_185
.LBB12_156:                             ;   in Loop: Header=BB12_86 Depth=2
	s_or_b64 exec, exec, s[28:29]
.LBB12_157:                             ;   in Loop: Header=BB12_86 Depth=2
	s_and_saveexec_b64 s[24:25], s[4:5]
	s_cbranch_execz .LBB12_232
.LBB12_158:                             ;   in Loop: Header=BB12_86 Depth=2
	s_and_saveexec_b64 s[26:27], s[40:41]
	s_xor_b64 s[26:27], exec, s[26:27]
	s_cbranch_execz .LBB12_229
; %bb.159:                              ;   in Loop: Header=BB12_86 Depth=2
	s_and_saveexec_b64 s[28:29], s[12:13]
	s_cbranch_execz .LBB12_228
; %bb.160:                              ;   in Loop: Header=BB12_86 Depth=2
	s_mov_b64 s[60:61], exec
	v_mbcnt_lo_u32_b32 v2, s60, 0
	v_mbcnt_hi_u32_b32 v2, s61, v2
	v_cmp_eq_u32_e32 vcc, 0, v2
	s_waitcnt lgkmcnt(0)
	s_and_saveexec_b64 s[58:59], vcc
	s_cbranch_execz .LBB12_162
; %bb.161:                              ;   in Loop: Header=BB12_86 Depth=2
	s_bcnt1_i32_b64 vcc_lo, s[60:61]
	v_mov_b32_e32 v38, vcc_lo
	ds_add_u64 v0, v[38:39]
	s_trap 2
.LBB12_162:                             ;   in Loop: Header=BB12_86 Depth=2
	s_or_b64 exec, exec, s[58:59]
	s_trap 2
	ds_read_b64 v[2:3], v0
	v_lshl_add_u64 v[14:15], v[14:15], 0, v[48:49]
	s_waitcnt lgkmcnt(0)
	v_cmp_lt_u64_e32 vcc, v[2:3], v[14:15]
	s_and_saveexec_b64 s[58:59], vcc
	s_cbranch_execz .LBB12_227
; %bb.163:                              ;   in Loop: Header=BB12_86 Depth=2
	s_mov_b32 s77, 0
	s_mov_b64 s[60:61], 0
                                        ; implicit-def: $sgpr62_sgpr63
                                        ; implicit-def: $sgpr64_sgpr65
	s_branch .LBB12_165
.LBB12_164:                             ;   in Loop: Header=BB12_165 Depth=3
	s_or_b64 exec, exec, s[68:69]
	s_and_b64 vcc, exec, vcc
	s_or_b64 s[60:61], vcc, s[60:61]
	s_andn2_b64 vcc, s[62:63], exec
	s_and_b64 s[62:63], s[64:65], exec
	s_or_b64 s[62:63], vcc, s[62:63]
	s_andn2_b64 exec, exec, s[60:61]
	s_cbranch_execz .LBB12_225
.LBB12_165:                             ;   Parent Loop BB12_81 Depth=1
                                        ;     Parent Loop BB12_86 Depth=2
                                        ; =>    This Inner Loop Header: Depth=3
	s_add_i32 s77, s77, 1
	s_cmpk_lg_i32 s77, 0x2710
	s_cselect_b64 s[66:67], -1, 0
	s_and_b64 vcc, exec, s[66:67]
                                        ; implicit-def: $sgpr68_sgpr69
	s_cbranch_vccnz .LBB12_167
; %bb.166:                              ;   in Loop: Header=BB12_165 Depth=3
	s_trap 2
	ds_read_b64 v[2:3], v0
	s_andn2_b64 s[66:67], s[66:67], exec
	s_mov_b32 s77, 0
	s_mov_b64 s[68:69], -1
	s_waitcnt vmcnt(0) lgkmcnt(0)
	flat_load_dword v2, v[2:3] sc0 sc1
	s_waitcnt vmcnt(0) lgkmcnt(0)
	buffer_inv sc0 sc1
	v_cmp_eq_u32_e32 vcc, 0, v2
	s_and_b64 vcc, vcc, exec
	s_or_b64 s[66:67], s[66:67], vcc
.LBB12_167:                             ;   in Loop: Header=BB12_165 Depth=3
	s_andn2_b64 s[64:65], s[64:65], exec
	s_and_b64 s[68:69], s[68:69], exec
	s_mov_b64 vcc, -1
	s_or_b64 s[64:65], s[64:65], s[68:69]
	s_and_saveexec_b64 s[68:69], s[66:67]
	s_cbranch_execz .LBB12_164
; %bb.168:                              ;   in Loop: Header=BB12_165 Depth=3
	s_sleep 1
	s_trap 2
	ds_read_b64 v[2:3], v0
	s_andn2_b64 s[64:65], s[64:65], exec
	s_waitcnt lgkmcnt(0)
	v_cmp_ge_u64_e32 vcc, v[2:3], v[14:15]
	s_orn2_b64 vcc, vcc, exec
	s_branch .LBB12_164
.LBB12_169:                             ;   in Loop: Header=BB12_86 Depth=2
	s_cbranch_execnz .LBB12_196
	s_branch .LBB12_157
.LBB12_170:                             ;   in Loop: Header=BB12_86 Depth=2
	v_ashrrev_i32_e32 v2, 31, v23
	v_lshrrev_b32_e32 v2, 21, v2
	v_add_u32_e32 v2, v23, v2
	v_ashrrev_i32_e32 v9, 11, v2
	v_sub_u32_e32 v8, v9, v28
	v_cmp_lt_i32_e32 vcc, 0, v8
	s_and_saveexec_b64 s[24:25], vcc
	s_cbranch_execz .LBB12_174
; %bb.171:                              ;   in Loop: Header=BB12_86 Depth=2
	s_trap 2
	ds_read_b64 v[2:3], v0
	ds_read_b128 v[4:7], v0
	v_accvgpr_read_b32 v10, a38
	v_accvgpr_read_b32 v11, a39
	s_mov_b64 s[26:27], 0
	s_waitcnt lgkmcnt(0)
	v_lshl_add_u64 v[2:3], v[2:3], 0, v[10:11]
	s_waitcnt lgkmcnt(0)
	v_lshl_add_u64 v[4:5], v[4:5], 0, v[10:11]
	v_lshl_add_u64 v[6:7], v[6:7], 0, v[10:11]
.LBB12_172:                             ;   Parent Loop BB12_81 Depth=1
                                        ;     Parent Loop BB12_86 Depth=2
                                        ; =>    This Inner Loop Header: Depth=3
	global_load_dwordx4 v[18:21], v[2:3], off nt
	global_load_dwordx4 v[28:31], v[2:3], off offset:1024 nt
	v_sub_u32_e32 v8, v8, v48
	v_cmp_gt_i32_e32 vcc, 1, v8
	v_lshl_add_u64 v[2:3], v[2:3], 0, v[46:47]
	s_or_b64 s[26:27], vcc, s[26:27]
	s_waitcnt vmcnt(0)
	global_store_dwordx4 v[4:5], v[18:21], off nt
	s_waitcnt vmcnt(1)
	global_store_dwordx4 v[4:5], v[28:31], off offset:1024 nt
	global_store_dwordx4 v[6:7], v[18:21], off nt
	global_store_dwordx4 v[6:7], v[28:31], off offset:1024 nt
	v_lshl_add_u64 v[4:5], v[4:5], 0, v[46:47]
	v_lshl_add_u64 v[6:7], v[6:7], 0, v[46:47]
	s_andn2_b64 exec, exec, s[26:27]
	s_cbranch_execnz .LBB12_172
; %bb.173:                              ;   in Loop: Header=BB12_86 Depth=2
	s_or_b64 exec, exec, s[26:27]
	v_accvgpr_read_b32 v28, a23
.LBB12_174:                             ;   in Loop: Header=BB12_86 Depth=2
	s_or_b64 exec, exec, s[24:25]
	v_lshlrev_b32_e32 v30, 11, v9
	v_cmp_ne_u32_e32 vcc, v23, v30
	s_mov_b64 s[24:25], 0
	v_mov_b32_e32 v10, 0
                                        ; implicit-def: $vgpr11
                                        ; implicit-def: $vgpr38
                                        ; implicit-def: $vgpr2
	s_and_saveexec_b64 s[58:59], vcc
	s_cbranch_execz .LBB12_184
; %bb.175:                              ;   in Loop: Header=BB12_86 Depth=2
	v_lshlrev_b32_e32 v2, 6, v8
	v_accvgpr_read_b32 v4, a36
	v_sub_u32_e32 v2, v4, v2
	v_ashrrev_i32_e32 v4, 31, v2
	v_lshrrev_b32_e32 v4, 26, v4
	v_add_u32_e32 v4, v2, v4
	v_sub_u32_e32 v3, v23, v30
	v_ashrrev_i32_e32 v5, 6, v4
	v_and_b32_e32 v4, 0xffffffc0, v4
	v_sub_u32_e32 v31, v2, v4
	v_ashrrev_i32_e32 v4, 31, v3
	v_lshrrev_b32_e32 v4, 22, v4
	v_add_u32_e32 v4, v3, v4
	v_and_b32_e32 v55, 0xfffffc00, v4
	v_lshlrev_b32_e32 v2, 4, v31
	v_sub_u32_e32 v20, v3, v55
	v_lshl_add_u32 v2, v5, 10, v2
	v_ashrrev_i32_e32 v6, 10, v4
	v_cmp_lt_i32_e64 s[24:25], 15, v20
	v_sub_u32_e32 v21, v3, v2
	s_nop 0
	v_addc_co_u32_e64 v3, vcc, 0, v6, s[24:25]
	v_sub_u32_e32 v45, v3, v5
	v_cmp_lt_i32_e32 vcc, 15, v21
	s_and_saveexec_b64 s[60:61], vcc
	s_cbranch_execz .LBB12_181
; %bb.176:                              ;   in Loop: Header=BB12_86 Depth=2
	s_trap 2
	ds_read_b64 v[8:9], v0
	ds_read_b128 v[4:7], v0
	v_add_u32_e32 v2, v2, v30
	v_ashrrev_i32_e32 v3, 31, v2
	s_mov_b64 s[62:63], 0
	s_waitcnt lgkmcnt(0)
	v_lshl_add_u64 v[8:9], v[8:9], 0, v[2:3]
	s_waitcnt lgkmcnt(0)
	v_lshl_add_u64 v[10:11], v[4:5], 0, v[2:3]
	v_lshl_add_u64 v[6:7], v[6:7], 0, v[2:3]
.LBB12_177:                             ;   Parent Loop BB12_81 Depth=1
                                        ;     Parent Loop BB12_86 Depth=2
                                        ; =>    This Loop Header: Depth=3
                                        ;         Child Loop BB12_178 Depth 4
	global_load_dwordx4 v[2:5], v[8:9], off nt
	s_mov_b64 s[66:67], -1
	s_mov_b64 s[64:65], 0
	s_waitcnt vmcnt(0)
.LBB12_178:                             ;   Parent Loop BB12_81 Depth=1
                                        ;     Parent Loop BB12_86 Depth=2
                                        ;       Parent Loop BB12_177 Depth=3
                                        ; =>      This Inner Loop Header: Depth=4
	s_cmp_eq_u32 s64, 0
	s_cselect_b64 s[26:27], -1, 0
	s_cmp_eq_u32 s64, 1
	v_cndmask_b32_e64 v18, 0, 1, s[66:67]
	s_cselect_b64 s[28:29], -1, 0
	v_cmp_ne_u32_e32 vcc, 1, v18
	v_cndmask_b32_e64 v19, v11, v7, s[28:29]
	v_cndmask_b32_e64 v18, v10, v6, s[28:29]
	global_store_dwordx4 v[18:19], v[2:5], off nt
	v_lshl_add_u64 v[18:19], v[18:19], 0, s[42:43]
	s_mov_b64 s[66:67], 0
	s_mov_b64 s[64:65], 1
	s_and_b64 vcc, exec, vcc
	v_cndmask_b32_e64 v7, v7, v19, s[28:29]
	v_cndmask_b32_e64 v6, v6, v18, s[28:29]
	;; [unrolled: 1-line block ×4, first 2 shown]
	s_cbranch_vccz .LBB12_178
; %bb.179:                              ;   in Loop: Header=BB12_177 Depth=3
	v_sub_u32_e32 v21, v21, v22
	v_cmp_gt_i32_e32 vcc, 16, v21
	v_lshl_add_u64 v[10:11], v[10:11], 0, v[42:43]
	v_lshl_add_u64 v[6:7], v[6:7], 0, v[42:43]
	v_lshl_add_u64 v[8:9], v[60:61], 0, v[8:9]
	s_or_b64 s[62:63], vcc, s[62:63]
	v_sub_u32_e32 v45, v45, v48
	s_andn2_b64 exec, exec, s[62:63]
	s_cbranch_execnz .LBB12_177
; %bb.180:                              ;   in Loop: Header=BB12_86 Depth=2
	s_or_b64 exec, exec, s[62:63]
.LBB12_181:                             ;   in Loop: Header=BB12_86 Depth=2
	s_or_b64 exec, exec, s[60:61]
	v_and_b32_e32 v3, 15, v23
	v_cndmask_b32_e64 v11, v20, v3, s[24:25]
	v_cmp_ne_u32_e32 vcc, 0, v11
	s_mov_b64 s[26:27], 0
	v_mov_b32_e32 v10, 0
                                        ; implicit-def: $vgpr38
                                        ; implicit-def: $vgpr2
	s_and_saveexec_b64 s[28:29], vcc
	s_cbranch_execz .LBB12_183
; %bb.182:                              ;   in Loop: Header=BB12_86 Depth=2
	v_sub_u32_e32 v2, v20, v3
	v_cndmask_b32_e64 v2, 0, v2, s[24:25]
	v_cmp_lt_i32_e32 vcc, 0, v45
	v_add3_u32 v10, v55, v30, v2
	s_mov_b64 s[26:27], exec
	v_cndmask_b32_e32 v2, 0, v48, vcc
	v_sub_u32_e32 v2, v2, v45
	v_lshl_add_u32 v38, v2, 6, v31
	v_ashrrev_i32_e32 v2, 31, v38
	v_lshrrev_b32_e32 v2, 26, v2
	v_add_u32_e32 v2, v38, v2
	v_ashrrev_i32_e32 v2, 6, v2
.LBB12_183:                             ;   in Loop: Header=BB12_86 Depth=2
	s_or_b64 exec, exec, s[28:29]
	v_accvgpr_read_b32 v45, a29
	s_and_b64 s[24:25], s[26:27], exec
	v_accvgpr_read_b32 v44, a28
.LBB12_184:                             ;   in Loop: Header=BB12_86 Depth=2
	s_or_b64 exec, exec, s[58:59]
	s_and_saveexec_b64 s[28:29], s[24:25]
	s_cbranch_execz .LBB12_156
.LBB12_185:                             ;   in Loop: Header=BB12_86 Depth=2
	v_ashrrev_i32_e32 v3, 31, v11
	v_lshrrev_b32_e32 v3, 22, v3
	v_add_u32_e32 v3, v11, v3
	v_ashrrev_i32_e32 v30, 10, v3
	v_sub_u32_e32 v55, v30, v2
	v_ashrrev_i32_e32 v3, 31, v38
	v_cmp_lt_i32_e32 vcc, 0, v55
	v_lshrrev_b32_e32 v45, 26, v3
	s_and_saveexec_b64 s[24:25], vcc
	s_cbranch_execz .LBB12_189
; %bb.186:                              ;   in Loop: Header=BB12_86 Depth=2
	s_trap 2
	v_add_u32_e32 v3, v38, v45
	ds_read_b64 v[8:9], v0
	ds_read_b128 v[4:7], v0
	v_and_b32_e32 v3, 0xffffffc0, v3
	v_sub_u32_e32 v3, v38, v3
	v_lshlrev_b32_e32 v2, 10, v2
	v_add3_u32 v18, v10, v3, v2
	v_ashrrev_i32_e32 v19, 31, v18
	s_waitcnt lgkmcnt(0)
	v_lshl_add_u64 v[2:3], v[4:5], 0, v[18:19]
	v_lshl_add_u64 v[4:5], v[6:7], 0, v[18:19]
	;; [unrolled: 1-line block ×4, first 2 shown]
	s_mov_b64 s[26:27], 0
.LBB12_187:                             ;   Parent Loop BB12_81 Depth=1
                                        ;     Parent Loop BB12_86 Depth=2
                                        ; =>    This Inner Loop Header: Depth=3
	v_add_co_u32_e32 v6, vcc, 0xfffffc40, v8
	flat_load_ubyte v20, v[8:9] nt
	s_nop 0
	v_addc_co_u32_e32 v7, vcc, -1, v9, vcc
	v_add_co_u32_e32 v18, vcc, 0xfffffc80, v8
	flat_load_ubyte v21, v[6:7] nt
	s_nop 0
	v_addc_co_u32_e32 v19, vcc, -1, v9, vcc
	;; [unrolled: 4-line block ×15, first 2 shown]
	flat_load_ubyte v6, v[6:7] nt
	v_sub_u32_e32 v55, v55, v48
	v_cmp_gt_i32_e32 vcc, 1, v55
	s_or_b64 s[26:27], vcc, s[26:27]
	v_lshl_add_u64 v[8:9], v[8:9], 0, v[60:61]
	s_waitcnt vmcnt(0) lgkmcnt(0)
	flat_store_byte v[2:3], v20 offset:960 nt
	flat_store_byte v[2:3], v21 nt
	flat_store_byte v[2:3], v28 offset:64 nt
	flat_store_byte v[2:3], v29 offset:128 nt
	;; [unrolled: 1-line block ×14, first 2 shown]
	flat_store_byte v[4:5], v21 nt
	flat_store_byte v[4:5], v28 offset:64 nt
	flat_store_byte v[4:5], v29 offset:128 nt
	;; [unrolled: 1-line block ×15, first 2 shown]
	v_lshl_add_u64 v[2:3], v[2:3], 0, v[60:61]
	v_lshl_add_u64 v[4:5], v[4:5], 0, v[60:61]
	s_andn2_b64 exec, exec, s[26:27]
	s_cbranch_execnz .LBB12_187
; %bb.188:                              ;   in Loop: Header=BB12_86 Depth=2
	s_or_b64 exec, exec, s[26:27]
	v_accvgpr_read_b32 v41, a21
	v_accvgpr_read_b32 v35, a25
	;; [unrolled: 1-line block ×8, first 2 shown]
	v_mov_b32_e32 v53, 1
	v_accvgpr_read_b32 v42, a32
	v_accvgpr_read_b32 v28, a23
.LBB12_189:                             ;   in Loop: Header=BB12_86 Depth=2
	s_or_b64 exec, exec, s[24:25]
	v_lshlrev_b32_e32 v2, 10, v30
	v_cmp_ne_u32_e32 vcc, v11, v2
	s_and_saveexec_b64 s[58:59], vcc
	s_cbranch_execz .LBB12_195
; %bb.190:                              ;   in Loop: Header=BB12_86 Depth=2
	v_add_u32_e32 v3, v38, v45
	v_and_b32_e32 v3, 0xffffffc0, v3
	v_sub_u32_e32 v3, v38, v3
	v_lshlrev_b32_e32 v4, 6, v55
	v_sub_u32_e32 v3, v3, v4
	v_add_u32_e32 v2, v2, v3
	v_sub_u32_e32 v8, v11, v2
	v_cmp_lt_i32_e32 vcc, 0, v8
	s_and_b64 exec, exec, vcc
	s_cbranch_execz .LBB12_195
; %bb.191:                              ;   in Loop: Header=BB12_86 Depth=2
	s_trap 2
	ds_read_b64 v[18:19], v0
	ds_read_b128 v[4:7], v0
	v_add_u32_e32 v10, v2, v10
	v_ashrrev_i32_e32 v11, 31, v10
	s_mov_b64 s[60:61], 0
	s_waitcnt lgkmcnt(0)
	v_lshl_add_u64 v[2:3], v[18:19], 0, v[10:11]
	v_lshl_add_u64 v[4:5], v[4:5], 0, v[10:11]
	v_lshl_add_u64 v[6:7], v[6:7], 0, v[10:11]
.LBB12_192:                             ;   Parent Loop BB12_81 Depth=1
                                        ;     Parent Loop BB12_86 Depth=2
                                        ; =>    This Loop Header: Depth=3
                                        ;         Child Loop BB12_193 Depth 4
	flat_load_ubyte v9, v[2:3] nt
	s_mov_b64 s[62:63], -1
	s_mov_b64 s[64:65], 0
	s_waitcnt vmcnt(0)
.LBB12_193:                             ;   Parent Loop BB12_81 Depth=1
                                        ;     Parent Loop BB12_86 Depth=2
                                        ;       Parent Loop BB12_192 Depth=3
                                        ; =>      This Inner Loop Header: Depth=4
	s_cmp_eq_u32 s64, 1
	s_cselect_b64 vcc, -1, 0
	v_cndmask_b32_e32 v11, v5, v7, vcc
	s_cmp_eq_u32 s64, 0
	v_cndmask_b32_e32 v10, v4, v6, vcc
	s_waitcnt lgkmcnt(0)
	flat_store_byte v[10:11], v9 nt
	v_lshl_add_u64 v[10:11], v[10:11], 0, 64
	s_cselect_b64 s[24:25], -1, 0
	s_and_b64 s[26:27], exec, s[62:63]
	s_mov_b64 s[64:65], 1
	s_mov_b64 s[62:63], 0
	v_cndmask_b32_e32 v7, v7, v11, vcc
	v_cndmask_b32_e32 v6, v6, v10, vcc
	v_cndmask_b32_e64 v5, v5, v11, s[24:25]
	v_cndmask_b32_e64 v4, v4, v10, s[24:25]
	s_mov_b64 vcc, s[26:27]
	s_cbranch_vccnz .LBB12_193
; %bb.194:                              ;   in Loop: Header=BB12_192 Depth=3
	v_sub_u32_e32 v8, v8, v16
	v_cmp_gt_i32_e32 vcc, 1, v8
	v_lshl_add_u64 v[4:5], v[4:5], 0, v[12:13]
	v_lshl_add_u64 v[6:7], v[6:7], 0, v[12:13]
	s_or_b64 s[60:61], vcc, s[60:61]
	v_lshl_add_u64 v[2:3], v[56:57], 0, v[2:3]
	s_andn2_b64 exec, exec, s[60:61]
	s_cbranch_execnz .LBB12_192
.LBB12_195:                             ;   in Loop: Header=BB12_86 Depth=2
	s_or_b64 exec, exec, s[58:59]
	v_accvgpr_read_b32 v45, a29
	v_accvgpr_read_b32 v44, a28
	s_or_b64 exec, exec, s[28:29]
	s_branch .LBB12_157
.LBB12_196:                             ;   in Loop: Header=BB12_86 Depth=2
	s_mov_b64 s[24:25], -1
	s_and_saveexec_b64 s[26:27], s[14:15]
	s_cbranch_execz .LBB12_198
; %bb.197:                              ;   in Loop: Header=BB12_86 Depth=2
	ds_read_b32 v2, v0 offset:720
	s_waitcnt lgkmcnt(0)
	v_and_b32_e32 v2, 15, v2
	v_cmp_eq_u32_e32 vcc, 0, v2
	s_orn2_b64 s[24:25], vcc, exec
.LBB12_198:                             ;   in Loop: Header=BB12_86 Depth=2
	s_or_b64 exec, exec, s[26:27]
	s_and_saveexec_b64 s[26:27], s[14:15]
	s_cbranch_execz .LBB12_200
; %bb.199:                              ;   in Loop: Header=BB12_86 Depth=2
	ds_read_b32 v2, v0 offset:784
	s_waitcnt lgkmcnt(0)
	v_and_b32_e32 v2, 15, v2
	v_cmp_eq_u32_e32 vcc, 0, v2
	s_and_b64 s[28:29], s[24:25], vcc
	s_andn2_b64 s[24:25], s[24:25], exec
	s_and_b64 s[28:29], s[28:29], exec
	s_or_b64 s[24:25], s[24:25], s[28:29]
.LBB12_200:                             ;   in Loop: Header=BB12_86 Depth=2
	s_or_b64 exec, exec, s[26:27]
	s_xor_b64 s[24:25], s[24:25], -1
	v_cndmask_b32_e64 v2, 0, 1, s[24:25]
	s_mov_b64 s[28:29], -1
	;;#ASMSTART
	;;#ASMEND
	v_mov_b32_e32 v8, 0
	v_cmp_ne_u32_e32 vcc, 0, v2
	v_mov_b32_e32 v9, v23
	v_mov_b32_e32 v10, v0
	;; [unrolled: 1-line block ×3, first 2 shown]
	s_cbranch_vccz .LBB12_203
; %bb.201:                              ;   in Loop: Header=BB12_86 Depth=2
	s_and_saveexec_b64 s[24:25], s[28:29]
	s_cbranch_execnz .LBB12_216
.LBB12_202:                             ;   in Loop: Header=BB12_86 Depth=2
	s_or_b64 exec, exec, s[24:25]
	s_and_saveexec_b64 s[24:25], s[4:5]
	s_cbranch_execz .LBB12_232
	s_branch .LBB12_158
.LBB12_203:                             ;   in Loop: Header=BB12_86 Depth=2
	v_ashrrev_i32_e32 v2, 31, v23
	v_lshrrev_b32_e32 v2, 20, v2
	v_add_u32_e32 v2, v23, v2
	v_ashrrev_i32_e32 v6, 12, v2
	v_sub_u32_e32 v7, v6, v28
	v_cmp_lt_i32_e32 vcc, 0, v7
	s_and_saveexec_b64 s[24:25], vcc
	s_cbranch_execz .LBB12_207
; %bb.204:                              ;   in Loop: Header=BB12_86 Depth=2
	s_trap 2
	ds_read_b64 v[2:3], v0
	s_mov_b64 s[26:27], 0
	s_waitcnt lgkmcnt(0)
	v_mov_b64_e32 v[4:5], v[2:3]
.LBB12_205:                             ;   Parent Loop BB12_81 Depth=1
                                        ;     Parent Loop BB12_86 Depth=2
                                        ; =>    This Inner Loop Header: Depth=3
	v_lshl_add_u64 v[32:33], v[24:25], 0, v[4:5]
	global_load_dwordx4 v[8:11], v[32:33], off nt
	global_load_dwordx4 v[28:31], v[32:33], off offset:1024 nt
	global_load_dwordx4 v[18:21], v[32:33], off offset:2048 nt
	;; [unrolled: 1-line block ×3, first 2 shown]
	v_sub_u32_e32 v7, v7, v48
	v_cmp_gt_i32_e32 vcc, 1, v7
	v_lshl_add_u64 v[32:33], v[24:25], 0, v[2:3]
	v_lshl_add_u64 v[4:5], v[4:5], 0, v[58:59]
	;; [unrolled: 1-line block ×3, first 2 shown]
	s_or_b64 s[26:27], vcc, s[26:27]
	s_waitcnt vmcnt(0)
	global_store_dwordx4 v[32:33], v[8:11], off nt
	global_store_dwordx4 v[32:33], v[28:31], off offset:1024 nt
	global_store_dwordx4 v[32:33], v[18:21], off offset:2048 nt
	global_store_dwordx4 v[32:33], v[42:45], off offset:3072 nt
	s_andn2_b64 exec, exec, s[26:27]
	s_cbranch_execnz .LBB12_205
; %bb.206:                              ;   in Loop: Header=BB12_86 Depth=2
	s_or_b64 exec, exec, s[26:27]
	v_accvgpr_read_b32 v41, a21
	v_accvgpr_read_b32 v33, a27
	;; [unrolled: 1-line block ×10, first 2 shown]
.LBB12_207:                             ;   in Loop: Header=BB12_86 Depth=2
	s_or_b64 exec, exec, s[24:25]
	v_lshlrev_b32_e32 v6, 12, v6
	v_cmp_ne_u32_e32 vcc, v23, v6
	s_mov_b64 s[28:29], 0
	v_mov_b32_e32 v8, 0
                                        ; implicit-def: $vgpr9
                                        ; implicit-def: $vgpr10
                                        ; implicit-def: $vgpr4
	s_and_saveexec_b64 s[26:27], vcc
	s_cbranch_execz .LBB12_215
; %bb.208:                              ;   in Loop: Header=BB12_86 Depth=2
	v_lshlrev_b32_e32 v3, 6, v7
	v_accvgpr_read_b32 v4, a36
	v_sub_u32_e32 v3, v4, v3
	v_ashrrev_i32_e32 v4, 31, v3
	v_lshrrev_b32_e32 v4, 26, v4
	v_add_u32_e32 v4, v3, v4
	v_ashrrev_i32_e32 v5, 6, v4
	v_and_b32_e32 v4, 0xffffffc0, v4
	v_sub_u32_e32 v7, v3, v4
	v_sub_u32_e32 v2, v23, v6
	v_lshlrev_b32_e32 v3, 4, v7
	v_lshl_add_u32 v4, v5, 10, v3
	v_ashrrev_i32_e32 v3, 31, v2
	v_lshrrev_b32_e32 v3, 22, v3
	v_add_u32_e32 v3, v2, v3
	v_and_b32_e32 v11, 0xfffffc00, v3
	v_sub_u32_e32 v21, v2, v11
	v_ashrrev_i32_e32 v9, 10, v3
	v_cmp_lt_i32_e32 vcc, 15, v21
	v_sub_u32_e32 v8, v2, v4
	s_nop 0
	v_addc_co_u32_e64 v2, s[24:25], 0, v9, vcc
	v_sub_u32_e32 v20, v2, v5
	v_cmp_lt_i32_e64 s[24:25], 15, v8
	s_and_saveexec_b64 s[28:29], s[24:25]
	s_cbranch_execz .LBB12_212
; %bb.209:                              ;   in Loop: Header=BB12_86 Depth=2
	s_trap 2
	ds_read_b64 v[2:3], v0
	v_add_u32_e32 v4, v4, v6
	v_ashrrev_i32_e32 v5, 31, v4
	s_mov_b64 s[58:59], 0
.LBB12_210:                             ;   Parent Loop BB12_81 Depth=1
                                        ;     Parent Loop BB12_86 Depth=2
                                        ; =>    This Inner Loop Header: Depth=3
	s_waitcnt lgkmcnt(0)
	v_lshl_add_u64 v[18:19], v[2:3], 0, v[4:5]
	global_load_dwordx4 v[28:31], v[18:19], off nt
	v_sub_u32_e32 v8, v8, v22
	v_cmp_gt_i32_e64 s[24:25], 16, v8
	v_sub_u32_e32 v20, v20, v48
	v_lshl_add_u64 v[4:5], v[4:5], 0, v[60:61]
	s_or_b64 s[58:59], s[24:25], s[58:59]
	s_waitcnt vmcnt(0)
	global_store_dwordx4 v[18:19], v[28:31], off nt
	s_andn2_b64 exec, exec, s[58:59]
	s_cbranch_execnz .LBB12_210
; %bb.211:                              ;   in Loop: Header=BB12_86 Depth=2
	s_or_b64 exec, exec, s[58:59]
	v_accvgpr_read_b32 v28, a23
.LBB12_212:                             ;   in Loop: Header=BB12_86 Depth=2
	s_or_b64 exec, exec, s[28:29]
	v_and_b32_e32 v2, 15, v23
	v_cndmask_b32_e32 v9, v21, v2, vcc
	v_cmp_ne_u32_e64 s[24:25], 0, v9
	s_mov_b64 s[28:29], 0
	v_mov_b32_e32 v8, 0
                                        ; implicit-def: $vgpr10
                                        ; implicit-def: $vgpr4
	s_and_saveexec_b64 s[58:59], s[24:25]
	s_cbranch_execz .LBB12_214
; %bb.213:                              ;   in Loop: Header=BB12_86 Depth=2
	v_sub_u32_e32 v2, v21, v2
	v_cndmask_b32_e32 v2, 0, v2, vcc
	v_cmp_lt_i32_e32 vcc, 0, v20
	v_add3_u32 v8, v11, v6, v2
	s_mov_b64 s[28:29], exec
	v_cndmask_b32_e32 v2, 0, v48, vcc
	v_sub_u32_e32 v2, v2, v20
	v_lshl_add_u32 v10, v2, 6, v7
	v_ashrrev_i32_e32 v2, 31, v10
	v_lshrrev_b32_e32 v2, 26, v2
	v_add_u32_e32 v2, v10, v2
	v_ashrrev_i32_e32 v4, 6, v2
.LBB12_214:                             ;   in Loop: Header=BB12_86 Depth=2
	s_or_b64 exec, exec, s[58:59]
	s_and_b64 s[28:29], s[28:29], exec
.LBB12_215:                             ;   in Loop: Header=BB12_86 Depth=2
	s_or_b64 exec, exec, s[26:27]
	s_and_saveexec_b64 s[24:25], s[28:29]
	s_cbranch_execz .LBB12_202
.LBB12_216:                             ;   in Loop: Header=BB12_86 Depth=2
	v_ashrrev_i32_e32 v2, 31, v9
	v_lshrrev_b32_e32 v2, 22, v2
	v_add_u32_e32 v2, v9, v2
	v_ashrrev_i32_e32 v20, 10, v2
	v_sub_u32_e32 v11, v20, v4
	v_cmp_lt_i32_e32 vcc, 0, v11
	s_and_saveexec_b64 s[26:27], vcc
	s_cbranch_execz .LBB12_220
; %bb.217:                              ;   in Loop: Header=BB12_86 Depth=2
	v_ashrrev_i32_e32 v5, 31, v10
	s_trap 2
	ds_read_b64 v[2:3], v0
	v_lshrrev_b32_e32 v5, 26, v5
	v_add_u32_e32 v5, v10, v5
	v_and_b32_e32 v5, 0xffffffc0, v5
	v_sub_u32_e32 v5, v10, v5
	v_lshlrev_b32_e32 v4, 10, v4
	v_add3_u32 v4, v8, v5, v4
	v_ashrrev_i32_e32 v5, 31, v4
	s_mov_b64 s[28:29], 0
	s_waitcnt lgkmcnt(0)
	v_mov_b64_e32 v[6:7], v[2:3]
.LBB12_218:                             ;   Parent Loop BB12_81 Depth=1
                                        ;     Parent Loop BB12_86 Depth=2
                                        ; =>    This Inner Loop Header: Depth=3
	v_lshl_add_u64 v[18:19], v[4:5], 0, v[6:7]
	flat_load_ubyte v21, v[18:19] nt
	flat_load_ubyte v28, v[18:19] offset:64 nt
	flat_load_ubyte v29, v[18:19] offset:128 nt
	;; [unrolled: 1-line block ×15, first 2 shown]
	v_sub_u32_e32 v11, v11, v48
	v_cmp_gt_i32_e32 vcc, 1, v11
	v_lshl_add_u64 v[18:19], v[4:5], 0, v[2:3]
	v_lshl_add_u64 v[6:7], v[6:7], 0, v[60:61]
	;; [unrolled: 1-line block ×3, first 2 shown]
	s_or_b64 s[28:29], vcc, s[28:29]
	s_waitcnt vmcnt(0) lgkmcnt(0)
	flat_store_byte v[18:19], v21 nt
	flat_store_byte v[18:19], v28 offset:64 nt
	flat_store_byte v[18:19], v29 offset:128 nt
	;; [unrolled: 1-line block ×15, first 2 shown]
	s_andn2_b64 exec, exec, s[28:29]
	s_cbranch_execnz .LBB12_218
; %bb.219:                              ;   in Loop: Header=BB12_86 Depth=2
	s_or_b64 exec, exec, s[28:29]
	v_accvgpr_read_b32 v41, a21
	v_accvgpr_read_b32 v35, a25
	;; [unrolled: 1-line block ×8, first 2 shown]
	v_mov_b32_e32 v53, 1
	v_accvgpr_read_b32 v42, a32
	v_accvgpr_read_b32 v28, a23
.LBB12_220:                             ;   in Loop: Header=BB12_86 Depth=2
	s_or_b64 exec, exec, s[26:27]
	v_lshlrev_b32_e32 v2, 10, v20
	v_cmp_ne_u32_e32 vcc, v9, v2
	s_and_saveexec_b64 s[26:27], vcc
	s_cbranch_execz .LBB12_224
; %bb.221:                              ;   in Loop: Header=BB12_86 Depth=2
	v_ashrrev_i32_e32 v3, 31, v10
	v_lshrrev_b32_e32 v3, 26, v3
	v_add_u32_e32 v3, v10, v3
	v_and_b32_e32 v3, 0xffffffc0, v3
	v_sub_u32_e32 v3, v10, v3
	v_lshlrev_b32_e32 v4, 6, v11
	v_sub_u32_e32 v3, v3, v4
	v_add_u32_e32 v4, v2, v3
	v_sub_u32_e32 v6, v9, v4
	v_cmp_lt_i32_e32 vcc, 0, v6
	s_and_b64 exec, exec, vcc
	s_cbranch_execz .LBB12_224
; %bb.222:                              ;   in Loop: Header=BB12_86 Depth=2
	s_trap 2
	ds_read_b64 v[2:3], v0
	v_add_u32_e32 v4, v4, v8
	v_ashrrev_i32_e32 v5, 31, v4
	s_mov_b64 s[28:29], 0
.LBB12_223:                             ;   Parent Loop BB12_81 Depth=1
                                        ;     Parent Loop BB12_86 Depth=2
                                        ; =>    This Inner Loop Header: Depth=3
	s_waitcnt lgkmcnt(0)
	v_lshl_add_u64 v[8:9], v[2:3], 0, v[4:5]
	flat_load_ubyte v7, v[8:9] nt
	v_sub_u32_e32 v6, v6, v16
	v_cmp_gt_i32_e32 vcc, 1, v6
	v_lshl_add_u64 v[4:5], v[4:5], 0, v[56:57]
	s_or_b64 s[28:29], vcc, s[28:29]
	s_waitcnt vmcnt(0) lgkmcnt(0)
	flat_store_byte v[8:9], v7 nt
	s_andn2_b64 exec, exec, s[28:29]
	s_cbranch_execnz .LBB12_223
.LBB12_224:                             ;   in Loop: Header=BB12_86 Depth=2
	s_or_b64 exec, exec, s[26:27]
	s_or_b64 exec, exec, s[24:25]
	s_and_saveexec_b64 s[24:25], s[4:5]
	s_cbranch_execz .LBB12_232
	s_branch .LBB12_158
.LBB12_225:                             ;   in Loop: Header=BB12_86 Depth=2
	s_or_b64 exec, exec, s[60:61]
	s_and_saveexec_b64 vcc, s[62:63]
	s_xor_b64 vcc, exec, vcc
	s_cbranch_execz .LBB12_227
; %bb.226:                              ;   in Loop: Header=BB12_86 Depth=2
	ds_write_b32 v0, v53
	s_trap 2
.LBB12_227:                             ;   in Loop: Header=BB12_86 Depth=2
	s_or_b64 exec, exec, s[58:59]
	;;#ASMSTART
	s_wakeup
	;;#ASMEND
.LBB12_228:                             ;   in Loop: Header=BB12_86 Depth=2
	s_or_b64 exec, exec, s[28:29]
.LBB12_229:                             ;   in Loop: Header=BB12_86 Depth=2
	s_andn2_saveexec_b64 s[26:27], s[26:27]
	s_cbranch_execz .LBB12_231
; %bb.230:                              ;   in Loop: Header=BB12_86 Depth=2
	s_waitcnt lgkmcnt(0)
	s_barrier
.LBB12_231:                             ;   in Loop: Header=BB12_86 Depth=2
	s_or_b64 exec, exec, s[26:27]
.LBB12_232:                             ;   in Loop: Header=BB12_86 Depth=2
	s_or_b64 exec, exec, s[24:25]
	v_and_b32_e32 v2, 16, v62
	s_and_saveexec_b64 s[24:25], s[20:21]
	s_xor_b64 s[26:27], exec, s[24:25]
	s_cbranch_execz .LBB12_237
; %bb.233:                              ;   in Loop: Header=BB12_86 Depth=2
	v_and_b32_e32 v3, 16, v62
	v_cmp_lt_i32_e32 vcc, 0, v23
	v_cmp_ne_u32_e64 s[24:25], 0, v3
	v_and_b32_e32 v2, 16, v62
	s_and_b64 s[28:29], s[24:25], vcc
	s_and_saveexec_b64 s[24:25], s[28:29]
	s_cbranch_execz .LBB12_235
; %bb.234:                              ;   in Loop: Header=BB12_86 Depth=2
	v_mov_b32_e32 v2, 1
	buffer_wbl2 sc1
	s_waitcnt vmcnt(0) lgkmcnt(0)
	buffer_inv sc1
.LBB12_235:                             ;   in Loop: Header=BB12_86 Depth=2
	s_or_b64 exec, exec, s[24:25]
	s_andn2_saveexec_b64 s[24:25], s[26:27]
	s_cbranch_execnz .LBB12_238
.LBB12_236:                             ;   in Loop: Header=BB12_86 Depth=2
	s_or_b64 exec, exec, s[24:25]
	v_cmp_ne_u32_e32 vcc, 0, v2
	s_and_saveexec_b64 s[24:25], vcc
	s_cbranch_execz .LBB12_85
	s_branch .LBB12_256
.LBB12_237:                             ;   in Loop: Header=BB12_86 Depth=2
	s_andn2_saveexec_b64 s[24:25], s[26:27]
	s_cbranch_execz .LBB12_236
.LBB12_238:                             ;   in Loop: Header=BB12_86 Depth=2
	s_and_saveexec_b64 s[26:27], s[40:41]
	s_xor_b64 s[26:27], exec, s[26:27]
	s_cbranch_execz .LBB12_253
; %bb.239:                              ;   in Loop: Header=BB12_86 Depth=2
	s_and_saveexec_b64 s[28:29], s[12:13]
	s_cbranch_execz .LBB12_252
; %bb.240:                              ;   in Loop: Header=BB12_86 Depth=2
	s_mov_b64 s[60:61], exec
	v_mbcnt_lo_u32_b32 v3, s60, 0
	v_mbcnt_hi_u32_b32 v3, s61, v3
	v_cmp_eq_u32_e32 vcc, 0, v3
	;;#ASMSTART
	s_waitcnt lgkmcnt(0) vmcnt(0)
	;;#ASMEND
	s_and_saveexec_b64 s[58:59], vcc
	s_cbranch_execz .LBB12_242
; %bb.241:                              ;   in Loop: Header=BB12_86 Depth=2
	s_bcnt1_i32_b64 vcc_lo, s[60:61]
	v_mov_b32_e32 v38, vcc_lo
	ds_add_u64 v0, v[38:39]
	s_trap 2
.LBB12_242:                             ;   in Loop: Header=BB12_86 Depth=2
	s_or_b64 exec, exec, s[58:59]
	s_trap 2
	ds_read_b64 v[4:5], v0
	v_lshl_add_u64 v[14:15], v[14:15], 0, v[48:49]
	s_waitcnt lgkmcnt(0)
	v_cmp_lt_u64_e32 vcc, v[4:5], v[14:15]
	s_and_saveexec_b64 s[58:59], vcc
	s_cbranch_execz .LBB12_251
; %bb.243:                              ;   in Loop: Header=BB12_86 Depth=2
	s_mov_b32 s77, 0
	s_mov_b64 s[60:61], 0
                                        ; implicit-def: $sgpr62_sgpr63
                                        ; implicit-def: $sgpr64_sgpr65
	s_branch .LBB12_245
.LBB12_244:                             ;   in Loop: Header=BB12_245 Depth=3
	s_or_b64 exec, exec, s[68:69]
	s_and_b64 vcc, exec, vcc
	s_or_b64 s[60:61], vcc, s[60:61]
	s_andn2_b64 vcc, s[62:63], exec
	s_and_b64 s[62:63], s[64:65], exec
	s_or_b64 s[62:63], vcc, s[62:63]
	s_andn2_b64 exec, exec, s[60:61]
	s_cbranch_execz .LBB12_249
.LBB12_245:                             ;   Parent Loop BB12_81 Depth=1
                                        ;     Parent Loop BB12_86 Depth=2
                                        ; =>    This Inner Loop Header: Depth=3
	s_add_i32 s77, s77, 1
	s_cmpk_lg_i32 s77, 0x2710
	s_cselect_b64 s[66:67], -1, 0
	s_and_b64 vcc, exec, s[66:67]
                                        ; implicit-def: $sgpr68_sgpr69
	s_cbranch_vccnz .LBB12_247
; %bb.246:                              ;   in Loop: Header=BB12_245 Depth=3
	s_trap 2
	ds_read_b64 v[4:5], v0
	s_andn2_b64 s[66:67], s[66:67], exec
	s_mov_b32 s77, 0
	s_mov_b64 s[68:69], -1
	s_waitcnt vmcnt(0) lgkmcnt(0)
	flat_load_dword v3, v[4:5] sc0 sc1
	s_waitcnt vmcnt(0) lgkmcnt(0)
	buffer_inv sc0 sc1
	v_cmp_eq_u32_e32 vcc, 0, v3
	s_and_b64 vcc, vcc, exec
	s_or_b64 s[66:67], s[66:67], vcc
.LBB12_247:                             ;   in Loop: Header=BB12_245 Depth=3
	s_andn2_b64 s[64:65], s[64:65], exec
	s_and_b64 s[68:69], s[68:69], exec
	s_mov_b64 vcc, -1
	s_or_b64 s[64:65], s[64:65], s[68:69]
	s_and_saveexec_b64 s[68:69], s[66:67]
	s_cbranch_execz .LBB12_244
; %bb.248:                              ;   in Loop: Header=BB12_245 Depth=3
	s_sleep 1
	s_trap 2
	ds_read_b64 v[4:5], v0
	s_andn2_b64 s[64:65], s[64:65], exec
	s_waitcnt lgkmcnt(0)
	v_cmp_ge_u64_e32 vcc, v[4:5], v[14:15]
	s_orn2_b64 vcc, vcc, exec
	s_branch .LBB12_244
.LBB12_249:                             ;   in Loop: Header=BB12_86 Depth=2
	s_or_b64 exec, exec, s[60:61]
	s_and_saveexec_b64 vcc, s[62:63]
	s_xor_b64 vcc, exec, vcc
	s_cbranch_execz .LBB12_251
; %bb.250:                              ;   in Loop: Header=BB12_86 Depth=2
	ds_write_b32 v0, v53
	s_trap 2
.LBB12_251:                             ;   in Loop: Header=BB12_86 Depth=2
	s_or_b64 exec, exec, s[58:59]
	;;#ASMSTART
	s_wakeup
	;;#ASMEND
.LBB12_252:                             ;   in Loop: Header=BB12_86 Depth=2
	s_or_b64 exec, exec, s[28:29]
.LBB12_253:                             ;   in Loop: Header=BB12_86 Depth=2
	s_andn2_saveexec_b64 s[26:27], s[26:27]
	s_cbranch_execz .LBB12_255
; %bb.254:                              ;   in Loop: Header=BB12_86 Depth=2
	;;#ASMSTART
	s_waitcnt lgkmcnt(0) vmcnt(0)
	;;#ASMEND
	s_barrier
.LBB12_255:                             ;   in Loop: Header=BB12_86 Depth=2
	s_or_b64 exec, exec, s[26:27]
	s_or_b64 exec, exec, s[24:25]
	v_cmp_ne_u32_e32 vcc, 0, v2
	s_and_saveexec_b64 s[24:25], vcc
	s_cbranch_execz .LBB12_85
.LBB12_256:                             ;   in Loop: Header=BB12_86 Depth=2
	s_and_saveexec_b64 s[26:27], s[10:11]
	s_cbranch_execz .LBB12_84
; %bb.257:                              ;   in Loop: Header=BB12_86 Depth=2
	flat_store_dword v[32:33], v53 sc0 sc1
	s_branch .LBB12_84
.LBB12_258:                             ;   in Loop: Header=BB12_81 Depth=1
	s_andn2_saveexec_b64 s[26:27], s[50:51]
	s_cbranch_execz .LBB12_546
.LBB12_259:                             ;   in Loop: Header=BB12_81 Depth=1
	v_mov_b32_e32 v3, 0
	v_mov_b32_e32 v4, v54
	;; [unrolled: 1-line block ×3, first 2 shown]
	s_and_saveexec_b64 s[28:29], s[22:23]
	s_cbranch_execz .LBB12_473
; %bb.260:                              ;   in Loop: Header=BB12_81 Depth=1
	s_mov_b32 s76, 1
	s_mov_b64 s[52:53], -1
	s_mov_b64 s[50:51], 0
	v_mov_b32_e32 v2, 0
	v_mov_b32_e32 v4, v54
	s_branch .LBB12_263
.LBB12_261:                             ;   in Loop: Header=BB12_263 Depth=2
	s_or_b64 exec, exec, vcc
	v_lshl_add_u64 v[50:51], v[50:51], 0, 2
	flat_store_dwordx2 v[26:27], v[50:51] sc0 sc1
.LBB12_262:                             ;   in Loop: Header=BB12_263 Depth=2
	s_or_b64 exec, exec, s[24:25]
	v_add_u32_e32 v2, v4, v2
	v_cmp_ge_i32_e32 vcc, v2, v1
	s_xor_b64 s[24:25], s[52:53], -1
	s_or_b64 s[24:25], s[24:25], vcc
	s_and_b64 s[24:25], exec, s[24:25]
	s_or_b64 s[50:51], s[24:25], s[50:51]
	s_mov_b64 s[52:53], 0
	v_mov_b32_e32 v3, s76
	s_mov_b32 s76, 2
	s_andn2_b64 exec, exec, s[50:51]
	s_cbranch_execz .LBB12_472
.LBB12_263:                             ;   Parent Loop BB12_81 Depth=1
                                        ; =>  This Loop Header: Depth=2
                                        ;       Child Loop BB12_271 Depth 3
                                        ;       Child Loop BB12_295 Depth 3
	;; [unrolled: 1-line block ×9, first 2 shown]
	s_and_saveexec_b64 s[24:25], s[0:1]
	s_cbranch_execz .LBB12_265
; %bb.264:                              ;   in Loop: Header=BB12_263 Depth=2
	s_trap 2
	ds_read_b64 v[6:7], v0
	v_accvgpr_read_b32 v8, a40
	v_accvgpr_read_b32 v9, a41
	v_ashrrev_i32_e32 v3, 31, v2
	v_mov_b32_e32 v38, v39
	s_waitcnt lgkmcnt(0)
	v_lshl_add_u64 v[6:7], v[6:7], 0, v[8:9]
	v_lshl_add_u64 v[6:7], v[6:7], 0, v[2:3]
	ds_write_b64 v0, v[6:7]
	ds_write_b64 v0, v[38:39]
.LBB12_265:                             ;   in Loop: Header=BB12_263 Depth=2
	s_or_b64 exec, exec, s[24:25]
	v_and_b32_e32 v3, 8, v62
	v_cmp_ne_u32_e32 vcc, 0, v3
	s_mov_b64 s[54:55], -1
	v_lshl_add_u64 v[8:9], v[50:51], 0, 2
	s_and_saveexec_b64 s[24:25], vcc
	s_cbranch_execz .LBB12_277
; %bb.266:                              ;   in Loop: Header=BB12_263 Depth=2
	v_lshl_add_u64 v[10:11], v[36:37], 0, 8
	v_lshl_add_u64 v[6:7], v[50:51], 0, 2
	v_cmp_lt_u64_e32 vcc, v[10:11], v[6:7]
	v_mov_b32_e32 v3, 1
	s_and_saveexec_b64 s[54:55], vcc
	s_cbranch_execz .LBB12_276
; %bb.267:                              ;   in Loop: Header=BB12_263 Depth=2
	s_mov_b64 s[56:57], 0
	v_mov_b32_e32 v3, 0
                                        ; implicit-def: $sgpr58_sgpr59
	s_branch .LBB12_271
.LBB12_268:                             ;   in Loop: Header=BB12_271 Depth=3
	s_or_b64 exec, exec, s[66:67]
	v_mov_b32_e32 v5, 0
	s_orn2_b64 s[64:65], s[64:65], exec
.LBB12_269:                             ;   in Loop: Header=BB12_271 Depth=3
	s_or_b64 exec, exec, s[62:63]
	s_andn2_b64 vcc, s[58:59], exec
	s_and_b64 s[58:59], s[64:65], exec
	s_or_b64 s[58:59], vcc, s[58:59]
	v_mov_b32_e32 v3, v5
.LBB12_270:                             ;   in Loop: Header=BB12_271 Depth=3
	s_or_b64 exec, exec, s[60:61]
	s_waitcnt vmcnt(0) lgkmcnt(0)
	v_lshl_add_u64 v[10:11], v[36:37], 0, 8
	v_cmp_ge_u64_e32 vcc, v[10:11], v[6:7]
	s_xor_b64 s[60:61], s[58:59], -1
	s_or_b64 vcc, s[60:61], vcc
	s_and_b64 vcc, exec, vcc
	s_or_b64 s[56:57], vcc, s[56:57]
	s_andn2_b64 exec, exec, s[56:57]
	s_cbranch_execz .LBB12_275
.LBB12_271:                             ;   Parent Loop BB12_81 Depth=1
                                        ;     Parent Loop BB12_263 Depth=2
                                        ; =>    This Inner Loop Header: Depth=3
	s_sleep 1
	flat_load_dwordx2 v[36:37], v[26:27] sc0 sc1
	v_and_b32_e32 v5, 64, v62
	v_cmp_eq_u32_e32 vcc, 0, v5
	s_andn2_b64 s[58:59], s[58:59], exec
	s_and_saveexec_b64 s[60:61], vcc
	s_cbranch_execz .LBB12_270
; %bb.272:                              ;   in Loop: Header=BB12_271 Depth=3
	v_add_u32_e32 v5, 1, v3
	v_cmp_lt_i32_e32 vcc, s72, v3
	s_mov_b64 s[64:65], -1
	s_and_saveexec_b64 s[62:63], vcc
	s_cbranch_execz .LBB12_269
; %bb.273:                              ;   in Loop: Header=BB12_271 Depth=3
	s_trap 2
	ds_read_b64 v[10:11], v0
	s_waitcnt vmcnt(0) lgkmcnt(0)
	flat_load_dword v3, v[10:11] sc0 sc1
	s_waitcnt vmcnt(0) lgkmcnt(0)
	buffer_inv sc0 sc1
	v_cmp_ne_u32_e32 vcc, 0, v3
	s_and_saveexec_b64 s[66:67], vcc
	s_cbranch_execz .LBB12_268
; %bb.274:                              ;   in Loop: Header=BB12_271 Depth=3
	v_or_b32_e32 v62, 64, v62
	s_xor_b64 s[64:65], exec, -1
	ds_write_b32 v0, v3
	s_trap 2
	s_branch .LBB12_268
.LBB12_275:                             ;   in Loop: Header=BB12_263 Depth=2
	s_or_b64 exec, exec, s[56:57]
	v_and_b32_e32 v3, 8, v62
.LBB12_276:                             ;   in Loop: Header=BB12_263 Depth=2
	s_or_b64 exec, exec, s[54:55]
	v_cmp_eq_u32_e32 vcc, 0, v3
	s_orn2_b64 s[54:55], vcc, exec
	;;#ASMSTART
	s_wakeup
	;;#ASMEND
.LBB12_277:                             ;   in Loop: Header=BB12_263 Depth=2
	s_or_b64 exec, exec, s[24:25]
	v_sub_u32_e32 v3, v1, v2
	s_xor_b64 s[24:25], s[54:55], -1
	v_min_i32_e32 v4, v4, v3
	s_and_saveexec_b64 s[54:55], s[24:25]
	s_cbranch_execz .LBB12_287
; %bb.278:                              ;   in Loop: Header=BB12_263 Depth=2
	v_and_b32_e32 v3, 0x100, v62
	v_cmp_ne_u32_e32 vcc, 0, v3
	v_and_b32_e32 v3, 7, v50
	s_mov_b64 s[24:25], -1
                                        ; implicit-def: $vgpr6_vgpr7
	s_and_saveexec_b64 s[56:57], vcc
	s_cbranch_execz .LBB12_282
; %bb.279:                              ;   in Loop: Header=BB12_263 Depth=2
	v_mad_u64_u32 v[10:11], s[24:25], v3, 24, v[40:41]
	flat_load_dword v6, v[10:11]
	v_ashrrev_i32_e32 v5, 31, v4
	flat_store_dwordx2 v[10:11], v[4:5] offset:8
	s_waitcnt vmcnt(0) lgkmcnt(0)
	v_cmp_ne_u32_e32 vcc, 1, v6
	v_cmp_eq_u32_e64 s[24:25], 1, v6
                                        ; implicit-def: $vgpr6_vgpr7
	s_and_saveexec_b64 s[58:59], s[24:25]
	s_cbranch_execz .LBB12_281
; %bb.280:                              ;   in Loop: Header=BB12_263 Depth=2
	flat_load_dword v6, v[10:11] offset:4 sc0 sc1
	s_waitcnt vmcnt(0) lgkmcnt(0)
	v_ashrrev_i32_e32 v7, 31, v6
.LBB12_281:                             ;   in Loop: Header=BB12_263 Depth=2
	s_or_b64 exec, exec, s[58:59]
	s_orn2_b64 s[24:25], vcc, exec
.LBB12_282:                             ;   in Loop: Header=BB12_263 Depth=2
	s_or_b64 exec, exec, s[56:57]
	s_and_saveexec_b64 vcc, s[24:25]
; %bb.283:                              ;   in Loop: Header=BB12_263 Depth=2
	v_mad_i64_i32 v[6:7], s[24:25], v3, v52, 0
; %bb.284:                              ;   in Loop: Header=BB12_263 Depth=2
	s_or_b64 exec, exec, vcc
	v_and_b32_e32 v3, 0x2000, v62
	v_lshl_add_u64 v[6:7], v[34:35], 0, v[6:7]
	v_cmp_ne_u32_e32 vcc, 0, v3
	ds_write_b64 v0, v[6:7] offset:784
	s_and_saveexec_b64 s[24:25], vcc
	s_cbranch_execz .LBB12_286
; %bb.285:                              ;   in Loop: Header=BB12_263 Depth=2
	ds_read_b64 v[6:7], v0 offset:584
	s_waitcnt lgkmcnt(0)
	v_lshl_add_u64 v[6:7], v[6:7], 0, 1
	ds_write_b64 v0, v[6:7] offset:584
.LBB12_286:                             ;   in Loop: Header=BB12_263 Depth=2
	s_or_b64 exec, exec, s[24:25]
	v_mov_b64_e32 v[50:51], v[8:9]
.LBB12_287:                             ;   in Loop: Header=BB12_263 Depth=2
	s_or_b64 exec, exec, s[54:55]
	s_and_saveexec_b64 s[24:25], s[4:5]
	s_cbranch_execz .LBB12_306
; %bb.288:                              ;   in Loop: Header=BB12_263 Depth=2
	s_and_saveexec_b64 vcc, s[40:41]
	s_xor_b64 s[54:55], exec, vcc
	s_cbranch_execz .LBB12_303
; %bb.289:                              ;   in Loop: Header=BB12_263 Depth=2
	s_and_saveexec_b64 s[56:57], s[12:13]
	s_cbranch_execz .LBB12_302
; %bb.290:                              ;   in Loop: Header=BB12_263 Depth=2
	s_mov_b64 s[60:61], exec
	v_mbcnt_lo_u32_b32 v3, s60, 0
	v_mbcnt_hi_u32_b32 v3, s61, v3
	v_cmp_eq_u32_e32 vcc, 0, v3
	s_waitcnt lgkmcnt(0)
	s_and_saveexec_b64 s[58:59], vcc
	s_cbranch_execz .LBB12_292
; %bb.291:                              ;   in Loop: Header=BB12_263 Depth=2
	s_bcnt1_i32_b64 vcc_lo, s[60:61]
	v_mov_b32_e32 v38, vcc_lo
	ds_add_u64 v0, v[38:39]
	s_trap 2
.LBB12_292:                             ;   in Loop: Header=BB12_263 Depth=2
	s_or_b64 exec, exec, s[58:59]
	s_trap 2
	ds_read_b64 v[6:7], v0
	v_lshl_add_u64 v[14:15], v[14:15], 0, v[48:49]
	s_waitcnt lgkmcnt(0)
	v_cmp_lt_u64_e32 vcc, v[6:7], v[14:15]
	s_and_saveexec_b64 s[58:59], vcc
	s_cbranch_execz .LBB12_301
; %bb.293:                              ;   in Loop: Header=BB12_263 Depth=2
	s_mov_b32 s77, 0
	s_mov_b64 s[60:61], 0
                                        ; implicit-def: $sgpr62_sgpr63
                                        ; implicit-def: $sgpr64_sgpr65
	s_branch .LBB12_295
.LBB12_294:                             ;   in Loop: Header=BB12_295 Depth=3
	s_or_b64 exec, exec, s[68:69]
	s_and_b64 vcc, exec, vcc
	s_or_b64 s[60:61], vcc, s[60:61]
	s_andn2_b64 vcc, s[62:63], exec
	s_and_b64 s[62:63], s[64:65], exec
	s_or_b64 s[62:63], vcc, s[62:63]
	s_andn2_b64 exec, exec, s[60:61]
	s_cbranch_execz .LBB12_299
.LBB12_295:                             ;   Parent Loop BB12_81 Depth=1
                                        ;     Parent Loop BB12_263 Depth=2
                                        ; =>    This Inner Loop Header: Depth=3
	s_add_i32 s77, s77, 1
	s_cmpk_lg_i32 s77, 0x2710
	s_cselect_b64 s[66:67], -1, 0
	s_and_b64 vcc, exec, s[66:67]
                                        ; implicit-def: $sgpr68_sgpr69
	s_cbranch_vccnz .LBB12_297
; %bb.296:                              ;   in Loop: Header=BB12_295 Depth=3
	s_trap 2
	ds_read_b64 v[6:7], v0
	s_andn2_b64 s[66:67], s[66:67], exec
	s_mov_b32 s77, 0
	s_mov_b64 s[68:69], -1
	s_waitcnt vmcnt(0) lgkmcnt(0)
	flat_load_dword v3, v[6:7] sc0 sc1
	s_waitcnt vmcnt(0) lgkmcnt(0)
	buffer_inv sc0 sc1
	v_cmp_eq_u32_e32 vcc, 0, v3
	s_and_b64 vcc, vcc, exec
	s_or_b64 s[66:67], s[66:67], vcc
.LBB12_297:                             ;   in Loop: Header=BB12_295 Depth=3
	s_andn2_b64 s[64:65], s[64:65], exec
	s_and_b64 s[68:69], s[68:69], exec
	s_mov_b64 vcc, -1
	s_or_b64 s[64:65], s[64:65], s[68:69]
	s_and_saveexec_b64 s[68:69], s[66:67]
	s_cbranch_execz .LBB12_294
; %bb.298:                              ;   in Loop: Header=BB12_295 Depth=3
	s_sleep 1
	s_trap 2
	ds_read_b64 v[6:7], v0
	s_andn2_b64 s[64:65], s[64:65], exec
	s_waitcnt lgkmcnt(0)
	v_cmp_ge_u64_e32 vcc, v[6:7], v[14:15]
	s_orn2_b64 vcc, vcc, exec
	s_branch .LBB12_294
.LBB12_299:                             ;   in Loop: Header=BB12_263 Depth=2
	s_or_b64 exec, exec, s[60:61]
	s_and_saveexec_b64 vcc, s[62:63]
	s_xor_b64 vcc, exec, vcc
	s_cbranch_execz .LBB12_301
; %bb.300:                              ;   in Loop: Header=BB12_263 Depth=2
	ds_write_b32 v0, v53
	s_trap 2
.LBB12_301:                             ;   in Loop: Header=BB12_263 Depth=2
	s_or_b64 exec, exec, s[58:59]
	;;#ASMSTART
	s_wakeup
	;;#ASMEND
.LBB12_302:                             ;   in Loop: Header=BB12_263 Depth=2
	s_or_b64 exec, exec, s[56:57]
.LBB12_303:                             ;   in Loop: Header=BB12_263 Depth=2
	s_andn2_saveexec_b64 vcc, s[54:55]
	s_cbranch_execz .LBB12_305
; %bb.304:                              ;   in Loop: Header=BB12_263 Depth=2
	s_waitcnt lgkmcnt(0)
	s_barrier
.LBB12_305:                             ;   in Loop: Header=BB12_263 Depth=2
	s_or_b64 exec, exec, vcc
.LBB12_306:                             ;   in Loop: Header=BB12_263 Depth=2
	s_or_b64 exec, exec, s[24:25]
	s_trap 2
	ds_read_b32 v5, v0
	v_and_b32_e32 v3, 0x4000, v62
	v_cmp_ne_u32_e32 vcc, 0, v3
	s_xor_b64 s[24:25], s[2:3], -1
	s_and_b64 vcc, s[24:25], vcc
	s_and_saveexec_b64 s[24:25], vcc
	s_cbranch_execz .LBB12_325
; %bb.307:                              ;   in Loop: Header=BB12_263 Depth=2
	s_and_saveexec_b64 vcc, s[40:41]
	s_xor_b64 s[54:55], exec, vcc
	s_cbranch_execz .LBB12_322
; %bb.308:                              ;   in Loop: Header=BB12_263 Depth=2
	s_and_saveexec_b64 s[56:57], s[12:13]
	s_cbranch_execz .LBB12_321
; %bb.309:                              ;   in Loop: Header=BB12_263 Depth=2
	s_mov_b64 s[60:61], exec
	v_mbcnt_lo_u32_b32 v3, s60, 0
	v_mbcnt_hi_u32_b32 v3, s61, v3
	v_cmp_eq_u32_e32 vcc, 0, v3
	s_waitcnt lgkmcnt(0)
	s_and_saveexec_b64 s[58:59], vcc
	s_cbranch_execz .LBB12_311
; %bb.310:                              ;   in Loop: Header=BB12_263 Depth=2
	s_bcnt1_i32_b64 vcc_lo, s[60:61]
	v_mov_b32_e32 v38, vcc_lo
	ds_add_u64 v0, v[38:39]
	s_trap 2
.LBB12_311:                             ;   in Loop: Header=BB12_263 Depth=2
	s_or_b64 exec, exec, s[58:59]
	s_trap 2
	ds_read_b64 v[6:7], v0
	v_lshl_add_u64 v[14:15], v[14:15], 0, v[48:49]
	s_waitcnt lgkmcnt(0)
	v_cmp_lt_u64_e32 vcc, v[6:7], v[14:15]
	s_and_saveexec_b64 s[58:59], vcc
	s_cbranch_execz .LBB12_320
; %bb.312:                              ;   in Loop: Header=BB12_263 Depth=2
	s_mov_b32 s77, 0
	s_mov_b64 s[60:61], 0
                                        ; implicit-def: $sgpr62_sgpr63
                                        ; implicit-def: $sgpr64_sgpr65
	s_branch .LBB12_314
.LBB12_313:                             ;   in Loop: Header=BB12_314 Depth=3
	s_or_b64 exec, exec, s[68:69]
	s_and_b64 vcc, exec, vcc
	s_or_b64 s[60:61], vcc, s[60:61]
	s_andn2_b64 vcc, s[62:63], exec
	s_and_b64 s[62:63], s[64:65], exec
	s_or_b64 s[62:63], vcc, s[62:63]
	s_andn2_b64 exec, exec, s[60:61]
	s_cbranch_execz .LBB12_318
.LBB12_314:                             ;   Parent Loop BB12_81 Depth=1
                                        ;     Parent Loop BB12_263 Depth=2
                                        ; =>    This Inner Loop Header: Depth=3
	s_add_i32 s77, s77, 1
	s_cmpk_lg_i32 s77, 0x2710
	s_cselect_b64 s[66:67], -1, 0
	s_and_b64 vcc, exec, s[66:67]
                                        ; implicit-def: $sgpr68_sgpr69
	s_cbranch_vccnz .LBB12_316
; %bb.315:                              ;   in Loop: Header=BB12_314 Depth=3
	s_trap 2
	ds_read_b64 v[6:7], v0
	s_andn2_b64 s[66:67], s[66:67], exec
	s_mov_b32 s77, 0
	s_mov_b64 s[68:69], -1
	s_waitcnt vmcnt(0) lgkmcnt(0)
	flat_load_dword v3, v[6:7] sc0 sc1
	s_waitcnt vmcnt(0) lgkmcnt(0)
	buffer_inv sc0 sc1
	v_cmp_eq_u32_e32 vcc, 0, v3
	s_and_b64 vcc, vcc, exec
	s_or_b64 s[66:67], s[66:67], vcc
.LBB12_316:                             ;   in Loop: Header=BB12_314 Depth=3
	s_andn2_b64 s[64:65], s[64:65], exec
	s_and_b64 s[68:69], s[68:69], exec
	s_mov_b64 vcc, -1
	s_or_b64 s[64:65], s[64:65], s[68:69]
	s_and_saveexec_b64 s[68:69], s[66:67]
	s_cbranch_execz .LBB12_313
; %bb.317:                              ;   in Loop: Header=BB12_314 Depth=3
	s_sleep 1
	s_trap 2
	ds_read_b64 v[6:7], v0
	s_andn2_b64 s[64:65], s[64:65], exec
	s_waitcnt lgkmcnt(0)
	v_cmp_ge_u64_e32 vcc, v[6:7], v[14:15]
	s_orn2_b64 vcc, vcc, exec
	s_branch .LBB12_313
.LBB12_318:                             ;   in Loop: Header=BB12_263 Depth=2
	s_or_b64 exec, exec, s[60:61]
	s_and_saveexec_b64 vcc, s[62:63]
	s_xor_b64 vcc, exec, vcc
	s_cbranch_execz .LBB12_320
; %bb.319:                              ;   in Loop: Header=BB12_263 Depth=2
	ds_write_b32 v0, v53
	s_trap 2
.LBB12_320:                             ;   in Loop: Header=BB12_263 Depth=2
	s_or_b64 exec, exec, s[58:59]
	;;#ASMSTART
	s_wakeup
	;;#ASMEND
.LBB12_321:                             ;   in Loop: Header=BB12_263 Depth=2
	s_or_b64 exec, exec, s[56:57]
.LBB12_322:                             ;   in Loop: Header=BB12_263 Depth=2
	s_andn2_saveexec_b64 vcc, s[54:55]
	s_cbranch_execz .LBB12_324
; %bb.323:                              ;   in Loop: Header=BB12_263 Depth=2
	s_waitcnt lgkmcnt(0)
	s_barrier
.LBB12_324:                             ;   in Loop: Header=BB12_263 Depth=2
	s_or_b64 exec, exec, vcc
.LBB12_325:                             ;   in Loop: Header=BB12_263 Depth=2
	s_or_b64 exec, exec, s[24:25]
	s_trap 2
	ds_read_b64 v[6:7], v0
	v_mov_b32_e32 v3, 0
	s_waitcnt lgkmcnt(0)
	v_readfirstlane_b32 s24, v6
	v_readfirstlane_b32 s25, v7
	s_cmp_eq_u64 s[24:25], 0
	s_cselect_b64 s[24:25], -1, 0
	s_or_b64 s[24:25], s[24:25], s[24:25]
	s_and_b64 vcc, exec, s[24:25]
	s_cbranch_vccnz .LBB12_355
; %bb.326:                              ;   in Loop: Header=BB12_263 Depth=2
	s_mov_b64 s[24:25], -1
	s_and_saveexec_b64 s[54:55], s[14:15]
	s_cbranch_execz .LBB12_328
; %bb.327:                              ;   in Loop: Header=BB12_263 Depth=2
	ds_read_b32 v3, v0 offset:720
	s_waitcnt lgkmcnt(0)
	v_and_b32_e32 v3, 15, v3
	v_cmp_eq_u32_e32 vcc, 0, v3
	s_orn2_b64 s[24:25], vcc, exec
.LBB12_328:                             ;   in Loop: Header=BB12_263 Depth=2
	s_or_b64 exec, exec, s[54:55]
	s_and_saveexec_b64 s[54:55], s[18:19]
	s_cbranch_execz .LBB12_330
; %bb.329:                              ;   in Loop: Header=BB12_263 Depth=2
	ds_read_b32 v3, v0 offset:784
	s_waitcnt lgkmcnt(0)
	v_and_b32_e32 v3, 15, v3
	v_cmp_eq_u32_e32 vcc, 0, v3
	s_and_b64 vcc, s[24:25], vcc
	s_andn2_b64 s[24:25], s[24:25], exec
	s_and_b64 vcc, vcc, exec
	s_or_b64 s[24:25], s[24:25], vcc
.LBB12_330:                             ;   in Loop: Header=BB12_263 Depth=2
	s_or_b64 exec, exec, s[54:55]
	s_xor_b64 s[24:25], s[24:25], -1
	v_cmp_eq_u32_e32 vcc, 0, v5
	v_cndmask_b32_e64 v5, 0, 1, s[24:25]
	;;#ASMSTART
	;;#ASMEND
	v_mov_b32_e32 v18, 0
	v_cndmask_b32_e32 v3, 0, v4, vcc
	s_mov_b64 s[56:57], -1
	v_cmp_ne_u32_e32 vcc, 0, v5
	v_mov_b32_e32 v5, v3
	v_mov_b32_e32 v19, v0
	;; [unrolled: 1-line block ×3, first 2 shown]
	s_cbranch_vccz .LBB12_332
; %bb.331:                              ;   in Loop: Header=BB12_263 Depth=2
	s_and_saveexec_b64 s[24:25], s[56:57]
	s_cbranch_execnz .LBB12_345
	s_branch .LBB12_354
.LBB12_332:                             ;   in Loop: Header=BB12_263 Depth=2
	v_ashrrev_i32_e32 v5, 31, v3
	v_lshrrev_b32_e32 v5, 20, v5
	v_add_u32_e32 v5, v3, v5
	v_ashrrev_i32_e32 v5, 12, v5
	v_sub_u32_e32 v11, v5, v28
	v_cmp_lt_i32_e32 vcc, 0, v11
	s_and_saveexec_b64 s[24:25], vcc
	s_cbranch_execz .LBB12_336
; %bb.333:                              ;   in Loop: Header=BB12_263 Depth=2
	s_trap 2
	ds_read_b64 v[6:7], v0
	s_mov_b64 s[54:55], 0
	s_waitcnt lgkmcnt(0)
	v_mov_b64_e32 v[8:9], v[6:7]
.LBB12_334:                             ;   Parent Loop BB12_81 Depth=1
                                        ;     Parent Loop BB12_263 Depth=2
                                        ; =>    This Inner Loop Header: Depth=3
	v_lshl_add_u64 v[28:29], v[24:25], 0, v[8:9]
	global_load_dwordx4 v[18:21], v[28:29], off nt
	global_load_dwordx4 v[52:55], v[28:29], off offset:1024 nt
	global_load_dwordx4 v[42:45], v[28:29], off offset:2048 nt
	s_nop 0
	global_load_dwordx4 v[28:31], v[28:29], off offset:3072 nt
	v_sub_u32_e32 v11, v11, v48
	v_cmp_gt_i32_e32 vcc, 1, v11
	v_lshl_add_u64 v[32:33], v[24:25], 0, v[6:7]
	v_lshl_add_u64 v[8:9], v[8:9], 0, v[58:59]
	;; [unrolled: 1-line block ×3, first 2 shown]
	s_or_b64 s[54:55], vcc, s[54:55]
	s_waitcnt vmcnt(0)
	global_store_dwordx4 v[32:33], v[18:21], off nt
	global_store_dwordx4 v[32:33], v[52:55], off offset:1024 nt
	global_store_dwordx4 v[32:33], v[42:45], off offset:2048 nt
	global_store_dwordx4 v[32:33], v[28:31], off offset:3072 nt
	s_andn2_b64 exec, exec, s[54:55]
	s_cbranch_execnz .LBB12_334
; %bb.335:                              ;   in Loop: Header=BB12_263 Depth=2
	s_or_b64 exec, exec, s[54:55]
	v_accvgpr_read_b32 v41, a21
	v_accvgpr_read_b32 v33, a27
	v_accvgpr_read_b32 v45, a29
	v_accvgpr_read_b32 v43, a33
	v_accvgpr_read_b32 v40, a20
	v_accvgpr_read_b32 v52, a22
	v_accvgpr_read_b32 v32, a26
	v_accvgpr_read_b32 v17, a7
	v_accvgpr_read_b32 v44, a28
	v_mov_b32_e32 v53, 1
	v_accvgpr_read_b32 v42, a32
	v_accvgpr_read_b32 v28, a23
	;; [unrolled: 1-line block ×3, first 2 shown]
.LBB12_336:                             ;   in Loop: Header=BB12_263 Depth=2
	s_or_b64 exec, exec, s[24:25]
	v_lshlrev_b32_e32 v10, 12, v5
	v_cmp_ne_u32_e32 vcc, v3, v10
	s_mov_b64 s[56:57], 0
	v_mov_b32_e32 v18, 0
                                        ; implicit-def: $vgpr5
                                        ; implicit-def: $vgpr19
                                        ; implicit-def: $vgpr8
	s_and_saveexec_b64 s[54:55], vcc
	s_cbranch_execz .LBB12_344
; %bb.337:                              ;   in Loop: Header=BB12_263 Depth=2
	v_lshlrev_b32_e32 v5, 6, v11
	v_accvgpr_read_b32 v7, a36
	v_sub_u32_e32 v5, v7, v5
	v_ashrrev_i32_e32 v7, 31, v5
	v_lshrrev_b32_e32 v7, 26, v7
	v_add_u32_e32 v7, v5, v7
	v_sub_u32_e32 v6, v3, v10
	v_ashrrev_i32_e32 v9, 6, v7
	v_and_b32_e32 v7, 0xffffffc0, v7
	v_sub_u32_e32 v11, v5, v7
	v_ashrrev_i32_e32 v7, 31, v6
	v_lshrrev_b32_e32 v7, 22, v7
	v_add_u32_e32 v7, v6, v7
	v_and_b32_e32 v20, 0xfffffc00, v7
	v_lshlrev_b32_e32 v5, 4, v11
	v_sub_u32_e32 v23, v6, v20
	v_lshl_add_u32 v8, v9, 10, v5
	v_ashrrev_i32_e32 v18, 10, v7
	v_cmp_lt_i32_e32 vcc, 15, v23
	v_sub_u32_e32 v5, v6, v8
	s_nop 0
	v_addc_co_u32_e64 v6, s[24:25], 0, v18, vcc
	v_sub_u32_e32 v21, v6, v9
	v_cmp_lt_i32_e64 s[24:25], 15, v5
	s_and_saveexec_b64 s[56:57], s[24:25]
	s_cbranch_execz .LBB12_341
; %bb.338:                              ;   in Loop: Header=BB12_263 Depth=2
	s_trap 2
	ds_read_b64 v[6:7], v0
	v_add_u32_e32 v8, v8, v10
	v_ashrrev_i32_e32 v9, 31, v8
	s_mov_b64 s[58:59], 0
.LBB12_339:                             ;   Parent Loop BB12_81 Depth=1
                                        ;     Parent Loop BB12_263 Depth=2
                                        ; =>    This Inner Loop Header: Depth=3
	s_waitcnt lgkmcnt(0)
	v_lshl_add_u64 v[18:19], v[6:7], 0, v[8:9]
	global_load_dwordx4 v[28:31], v[18:19], off nt
	v_sub_u32_e32 v5, v5, v22
	v_cmp_gt_i32_e64 s[24:25], 16, v5
	v_sub_u32_e32 v21, v21, v48
	v_lshl_add_u64 v[8:9], v[8:9], 0, v[60:61]
	s_or_b64 s[58:59], s[24:25], s[58:59]
	s_waitcnt vmcnt(0)
	global_store_dwordx4 v[18:19], v[28:31], off nt
	s_andn2_b64 exec, exec, s[58:59]
	s_cbranch_execnz .LBB12_339
; %bb.340:                              ;   in Loop: Header=BB12_263 Depth=2
	s_or_b64 exec, exec, s[58:59]
	v_accvgpr_read_b32 v28, a23
.LBB12_341:                             ;   in Loop: Header=BB12_263 Depth=2
	s_or_b64 exec, exec, s[56:57]
	v_and_b32_e32 v6, 15, v3
	v_cndmask_b32_e32 v5, v23, v6, vcc
	v_cmp_ne_u32_e64 s[24:25], 0, v5
	s_mov_b64 s[56:57], 0
	v_mov_b32_e32 v18, 0
                                        ; implicit-def: $vgpr19
                                        ; implicit-def: $vgpr8
	s_and_saveexec_b64 s[58:59], s[24:25]
	s_cbranch_execz .LBB12_343
; %bb.342:                              ;   in Loop: Header=BB12_263 Depth=2
	v_sub_u32_e32 v6, v23, v6
	v_cndmask_b32_e32 v6, 0, v6, vcc
	v_cmp_lt_i32_e32 vcc, 0, v21
	v_add3_u32 v18, v20, v10, v6
	s_mov_b64 s[56:57], exec
	v_cndmask_b32_e32 v6, 0, v48, vcc
	v_sub_u32_e32 v6, v6, v21
	v_lshl_add_u32 v19, v6, 6, v11
	v_ashrrev_i32_e32 v6, 31, v19
	v_lshrrev_b32_e32 v6, 26, v6
	v_add_u32_e32 v6, v19, v6
	v_ashrrev_i32_e32 v8, 6, v6
.LBB12_343:                             ;   in Loop: Header=BB12_263 Depth=2
	s_or_b64 exec, exec, s[58:59]
	s_and_b64 s[56:57], s[56:57], exec
.LBB12_344:                             ;   in Loop: Header=BB12_263 Depth=2
	s_or_b64 exec, exec, s[54:55]
	s_and_saveexec_b64 s[24:25], s[56:57]
	s_cbranch_execz .LBB12_354
.LBB12_345:                             ;   in Loop: Header=BB12_263 Depth=2
	v_ashrrev_i32_e32 v6, 31, v5
	v_lshrrev_b32_e32 v6, 22, v6
	v_add_u32_e32 v6, v5, v6
	v_ashrrev_i32_e32 v21, 10, v6
	v_sub_u32_e32 v20, v21, v8
	v_cmp_lt_i32_e32 vcc, 0, v20
	s_and_saveexec_b64 s[54:55], vcc
	s_cbranch_execz .LBB12_349
; %bb.346:                              ;   in Loop: Header=BB12_263 Depth=2
	v_ashrrev_i32_e32 v9, 31, v19
	s_trap 2
	ds_read_b64 v[6:7], v0
	v_lshrrev_b32_e32 v9, 26, v9
	v_add_u32_e32 v9, v19, v9
	v_and_b32_e32 v9, 0xffffffc0, v9
	v_sub_u32_e32 v9, v19, v9
	v_lshlrev_b32_e32 v8, 10, v8
	v_add3_u32 v8, v18, v9, v8
	v_ashrrev_i32_e32 v9, 31, v8
	s_mov_b64 s[56:57], 0
	s_waitcnt lgkmcnt(0)
	v_mov_b64_e32 v[10:11], v[6:7]
.LBB12_347:                             ;   Parent Loop BB12_81 Depth=1
                                        ;     Parent Loop BB12_263 Depth=2
                                        ; =>    This Inner Loop Header: Depth=3
	v_lshl_add_u64 v[28:29], v[8:9], 0, v[10:11]
	flat_load_ubyte v23, v[28:29] nt
	flat_load_ubyte v30, v[28:29] offset:64 nt
	flat_load_ubyte v31, v[28:29] offset:128 nt
	;; [unrolled: 1-line block ×15, first 2 shown]
	v_sub_u32_e32 v20, v20, v48
	v_cmp_gt_i32_e32 vcc, 1, v20
	v_lshl_add_u64 v[28:29], v[8:9], 0, v[6:7]
	v_lshl_add_u64 v[10:11], v[10:11], 0, v[60:61]
	;; [unrolled: 1-line block ×3, first 2 shown]
	s_or_b64 s[56:57], vcc, s[56:57]
	s_waitcnt vmcnt(0) lgkmcnt(0)
	flat_store_byte v[28:29], v23 nt
	flat_store_byte v[28:29], v30 offset:64 nt
	flat_store_byte v[28:29], v31 offset:128 nt
	;; [unrolled: 1-line block ×15, first 2 shown]
	s_andn2_b64 exec, exec, s[56:57]
	s_cbranch_execnz .LBB12_347
; %bb.348:                              ;   in Loop: Header=BB12_263 Depth=2
	s_or_b64 exec, exec, s[56:57]
	v_accvgpr_read_b32 v41, a21
	v_accvgpr_read_b32 v35, a25
	;; [unrolled: 1-line block ×9, first 2 shown]
	v_mov_b32_e32 v53, 1
	v_accvgpr_read_b32 v42, a32
	v_accvgpr_read_b32 v28, a23
	;; [unrolled: 1-line block ×3, first 2 shown]
.LBB12_349:                             ;   in Loop: Header=BB12_263 Depth=2
	s_or_b64 exec, exec, s[54:55]
	v_lshlrev_b32_e32 v6, 10, v21
	v_cmp_ne_u32_e32 vcc, v5, v6
	s_and_saveexec_b64 s[54:55], vcc
	s_cbranch_execz .LBB12_353
; %bb.350:                              ;   in Loop: Header=BB12_263 Depth=2
	v_ashrrev_i32_e32 v7, 31, v19
	v_lshrrev_b32_e32 v7, 26, v7
	v_add_u32_e32 v7, v19, v7
	v_and_b32_e32 v7, 0xffffffc0, v7
	v_sub_u32_e32 v7, v19, v7
	v_lshlrev_b32_e32 v8, 6, v20
	v_sub_u32_e32 v7, v7, v8
	v_add_u32_e32 v8, v6, v7
	v_sub_u32_e32 v5, v5, v8
	v_cmp_lt_i32_e32 vcc, 0, v5
	s_and_b64 exec, exec, vcc
	s_cbranch_execz .LBB12_353
; %bb.351:                              ;   in Loop: Header=BB12_263 Depth=2
	s_trap 2
	ds_read_b64 v[6:7], v0
	v_add_u32_e32 v8, v8, v18
	v_ashrrev_i32_e32 v9, 31, v8
	s_mov_b64 s[56:57], 0
.LBB12_352:                             ;   Parent Loop BB12_81 Depth=1
                                        ;     Parent Loop BB12_263 Depth=2
                                        ; =>    This Inner Loop Header: Depth=3
	s_waitcnt lgkmcnt(0)
	v_lshl_add_u64 v[10:11], v[6:7], 0, v[8:9]
	flat_load_ubyte v18, v[10:11] nt
	v_sub_u32_e32 v5, v5, v16
	v_cmp_gt_i32_e32 vcc, 1, v5
	v_lshl_add_u64 v[8:9], v[8:9], 0, v[56:57]
	s_or_b64 s[56:57], vcc, s[56:57]
	s_waitcnt vmcnt(0) lgkmcnt(0)
	flat_store_byte v[10:11], v18 nt
	s_andn2_b64 exec, exec, s[56:57]
	s_cbranch_execnz .LBB12_352
.LBB12_353:                             ;   in Loop: Header=BB12_263 Depth=2
	s_or_b64 exec, exec, s[54:55]
.LBB12_354:                             ;   in Loop: Header=BB12_263 Depth=2
	s_or_b64 exec, exec, s[24:25]
.LBB12_355:                             ;   in Loop: Header=BB12_263 Depth=2
	s_and_saveexec_b64 s[24:25], s[4:5]
	s_cbranch_execz .LBB12_374
; %bb.356:                              ;   in Loop: Header=BB12_263 Depth=2
	s_and_saveexec_b64 vcc, s[40:41]
	s_xor_b64 s[54:55], exec, vcc
	s_cbranch_execz .LBB12_371
; %bb.357:                              ;   in Loop: Header=BB12_263 Depth=2
	s_and_saveexec_b64 s[56:57], s[12:13]
	s_cbranch_execz .LBB12_370
; %bb.358:                              ;   in Loop: Header=BB12_263 Depth=2
	s_mov_b64 s[60:61], exec
	v_mbcnt_lo_u32_b32 v5, s60, 0
	v_mbcnt_hi_u32_b32 v5, s61, v5
	v_cmp_eq_u32_e32 vcc, 0, v5
	s_waitcnt lgkmcnt(0)
	s_and_saveexec_b64 s[58:59], vcc
	s_cbranch_execz .LBB12_360
; %bb.359:                              ;   in Loop: Header=BB12_263 Depth=2
	s_bcnt1_i32_b64 vcc_lo, s[60:61]
	v_mov_b32_e32 v38, vcc_lo
	ds_add_u64 v0, v[38:39]
	s_trap 2
.LBB12_360:                             ;   in Loop: Header=BB12_263 Depth=2
	s_or_b64 exec, exec, s[58:59]
	s_trap 2
	ds_read_b64 v[6:7], v0
	v_lshl_add_u64 v[14:15], v[14:15], 0, v[48:49]
	s_waitcnt lgkmcnt(0)
	v_cmp_lt_u64_e32 vcc, v[6:7], v[14:15]
	s_and_saveexec_b64 s[58:59], vcc
	s_cbranch_execz .LBB12_369
; %bb.361:                              ;   in Loop: Header=BB12_263 Depth=2
	s_mov_b32 s77, 0
	s_mov_b64 s[60:61], 0
                                        ; implicit-def: $sgpr62_sgpr63
                                        ; implicit-def: $sgpr64_sgpr65
	s_branch .LBB12_363
.LBB12_362:                             ;   in Loop: Header=BB12_363 Depth=3
	s_or_b64 exec, exec, s[68:69]
	s_and_b64 vcc, exec, vcc
	s_or_b64 s[60:61], vcc, s[60:61]
	s_andn2_b64 vcc, s[62:63], exec
	s_and_b64 s[62:63], s[64:65], exec
	s_or_b64 s[62:63], vcc, s[62:63]
	s_andn2_b64 exec, exec, s[60:61]
	s_cbranch_execz .LBB12_367
.LBB12_363:                             ;   Parent Loop BB12_81 Depth=1
                                        ;     Parent Loop BB12_263 Depth=2
                                        ; =>    This Inner Loop Header: Depth=3
	s_add_i32 s77, s77, 1
	s_cmpk_lg_i32 s77, 0x2710
	s_cselect_b64 s[66:67], -1, 0
	s_and_b64 vcc, exec, s[66:67]
                                        ; implicit-def: $sgpr68_sgpr69
	s_cbranch_vccnz .LBB12_365
; %bb.364:                              ;   in Loop: Header=BB12_363 Depth=3
	s_trap 2
	ds_read_b64 v[6:7], v0
	s_andn2_b64 s[66:67], s[66:67], exec
	s_mov_b32 s77, 0
	s_mov_b64 s[68:69], -1
	s_waitcnt vmcnt(0) lgkmcnt(0)
	flat_load_dword v5, v[6:7] sc0 sc1
	s_waitcnt vmcnt(0) lgkmcnt(0)
	buffer_inv sc0 sc1
	v_cmp_eq_u32_e32 vcc, 0, v5
	s_and_b64 vcc, vcc, exec
	s_or_b64 s[66:67], s[66:67], vcc
.LBB12_365:                             ;   in Loop: Header=BB12_363 Depth=3
	s_andn2_b64 s[64:65], s[64:65], exec
	s_and_b64 s[68:69], s[68:69], exec
	s_mov_b64 vcc, -1
	s_or_b64 s[64:65], s[64:65], s[68:69]
	s_and_saveexec_b64 s[68:69], s[66:67]
	s_cbranch_execz .LBB12_362
; %bb.366:                              ;   in Loop: Header=BB12_363 Depth=3
	s_sleep 1
	s_trap 2
	ds_read_b64 v[6:7], v0
	s_andn2_b64 s[64:65], s[64:65], exec
	s_waitcnt lgkmcnt(0)
	v_cmp_ge_u64_e32 vcc, v[6:7], v[14:15]
	s_orn2_b64 vcc, vcc, exec
	s_branch .LBB12_362
.LBB12_367:                             ;   in Loop: Header=BB12_263 Depth=2
	s_or_b64 exec, exec, s[60:61]
	s_and_saveexec_b64 vcc, s[62:63]
	s_xor_b64 vcc, exec, vcc
	s_cbranch_execz .LBB12_369
; %bb.368:                              ;   in Loop: Header=BB12_263 Depth=2
	ds_write_b32 v0, v53
	s_trap 2
.LBB12_369:                             ;   in Loop: Header=BB12_263 Depth=2
	s_or_b64 exec, exec, s[58:59]
	;;#ASMSTART
	s_wakeup
	;;#ASMEND
.LBB12_370:                             ;   in Loop: Header=BB12_263 Depth=2
	s_or_b64 exec, exec, s[56:57]
.LBB12_371:                             ;   in Loop: Header=BB12_263 Depth=2
	s_andn2_saveexec_b64 vcc, s[54:55]
	s_cbranch_execz .LBB12_373
; %bb.372:                              ;   in Loop: Header=BB12_263 Depth=2
	s_waitcnt lgkmcnt(0)
	s_barrier
.LBB12_373:                             ;   in Loop: Header=BB12_263 Depth=2
	s_or_b64 exec, exec, vcc
.LBB12_374:                             ;   in Loop: Header=BB12_263 Depth=2
	s_or_b64 exec, exec, s[24:25]
	v_and_b32_e32 v5, 16, v62
	s_and_saveexec_b64 s[24:25], s[20:21]
	s_xor_b64 s[54:55], exec, s[24:25]
	s_cbranch_execz .LBB12_379
; %bb.375:                              ;   in Loop: Header=BB12_263 Depth=2
	v_cmp_lt_i32_e32 vcc, 0, v3
	v_and_b32_e32 v3, 16, v62
	v_cmp_ne_u32_e64 s[24:25], 0, v3
	v_and_b32_e32 v5, 16, v62
	s_and_b64 vcc, s[24:25], vcc
	s_and_saveexec_b64 s[24:25], vcc
	s_cbranch_execz .LBB12_377
; %bb.376:                              ;   in Loop: Header=BB12_263 Depth=2
	v_mov_b32_e32 v5, 1
	buffer_wbl2 sc1
	s_waitcnt vmcnt(0) lgkmcnt(0)
	buffer_inv sc1
.LBB12_377:                             ;   in Loop: Header=BB12_263 Depth=2
	s_or_b64 exec, exec, s[24:25]
	s_andn2_saveexec_b64 s[24:25], s[54:55]
	s_cbranch_execnz .LBB12_380
.LBB12_378:                             ;   in Loop: Header=BB12_263 Depth=2
	s_or_b64 exec, exec, s[24:25]
	v_cmp_ne_u32_e32 vcc, 0, v5
	s_and_saveexec_b64 s[24:25], vcc
	s_cbranch_execz .LBB12_262
	s_branch .LBB12_398
.LBB12_379:                             ;   in Loop: Header=BB12_263 Depth=2
	s_andn2_saveexec_b64 s[24:25], s[54:55]
	s_cbranch_execz .LBB12_378
.LBB12_380:                             ;   in Loop: Header=BB12_263 Depth=2
	s_and_saveexec_b64 vcc, s[40:41]
	s_xor_b64 s[54:55], exec, vcc
	s_cbranch_execz .LBB12_395
; %bb.381:                              ;   in Loop: Header=BB12_263 Depth=2
	s_and_saveexec_b64 s[56:57], s[12:13]
	s_cbranch_execz .LBB12_394
; %bb.382:                              ;   in Loop: Header=BB12_263 Depth=2
	s_mov_b64 s[60:61], exec
	v_mbcnt_lo_u32_b32 v3, s60, 0
	v_mbcnt_hi_u32_b32 v3, s61, v3
	v_cmp_eq_u32_e32 vcc, 0, v3
	;;#ASMSTART
	s_waitcnt lgkmcnt(0) vmcnt(0)
	;;#ASMEND
	s_and_saveexec_b64 s[58:59], vcc
	s_cbranch_execz .LBB12_384
; %bb.383:                              ;   in Loop: Header=BB12_263 Depth=2
	s_bcnt1_i32_b64 vcc_lo, s[60:61]
	v_mov_b32_e32 v38, vcc_lo
	ds_add_u64 v0, v[38:39]
	s_trap 2
.LBB12_384:                             ;   in Loop: Header=BB12_263 Depth=2
	s_or_b64 exec, exec, s[58:59]
	s_trap 2
	ds_read_b64 v[6:7], v0
	v_lshl_add_u64 v[14:15], v[14:15], 0, v[48:49]
	s_waitcnt lgkmcnt(0)
	v_cmp_lt_u64_e32 vcc, v[6:7], v[14:15]
	s_and_saveexec_b64 s[58:59], vcc
	s_cbranch_execz .LBB12_393
; %bb.385:                              ;   in Loop: Header=BB12_263 Depth=2
	s_mov_b32 s77, 0
	s_mov_b64 s[60:61], 0
                                        ; implicit-def: $sgpr62_sgpr63
                                        ; implicit-def: $sgpr64_sgpr65
	s_branch .LBB12_387
.LBB12_386:                             ;   in Loop: Header=BB12_387 Depth=3
	s_or_b64 exec, exec, s[68:69]
	s_and_b64 vcc, exec, vcc
	s_or_b64 s[60:61], vcc, s[60:61]
	s_andn2_b64 vcc, s[62:63], exec
	s_and_b64 s[62:63], s[64:65], exec
	s_or_b64 s[62:63], vcc, s[62:63]
	s_andn2_b64 exec, exec, s[60:61]
	s_cbranch_execz .LBB12_391
.LBB12_387:                             ;   Parent Loop BB12_81 Depth=1
                                        ;     Parent Loop BB12_263 Depth=2
                                        ; =>    This Inner Loop Header: Depth=3
	s_add_i32 s77, s77, 1
	s_cmpk_lg_i32 s77, 0x2710
	s_cselect_b64 s[66:67], -1, 0
	s_and_b64 vcc, exec, s[66:67]
                                        ; implicit-def: $sgpr68_sgpr69
	s_cbranch_vccnz .LBB12_389
; %bb.388:                              ;   in Loop: Header=BB12_387 Depth=3
	s_trap 2
	ds_read_b64 v[6:7], v0
	s_andn2_b64 s[66:67], s[66:67], exec
	s_mov_b32 s77, 0
	s_mov_b64 s[68:69], -1
	s_waitcnt vmcnt(0) lgkmcnt(0)
	flat_load_dword v3, v[6:7] sc0 sc1
	s_waitcnt vmcnt(0) lgkmcnt(0)
	buffer_inv sc0 sc1
	v_cmp_eq_u32_e32 vcc, 0, v3
	s_and_b64 vcc, vcc, exec
	s_or_b64 s[66:67], s[66:67], vcc
.LBB12_389:                             ;   in Loop: Header=BB12_387 Depth=3
	s_andn2_b64 s[64:65], s[64:65], exec
	s_and_b64 s[68:69], s[68:69], exec
	s_mov_b64 vcc, -1
	s_or_b64 s[64:65], s[64:65], s[68:69]
	s_and_saveexec_b64 s[68:69], s[66:67]
	s_cbranch_execz .LBB12_386
; %bb.390:                              ;   in Loop: Header=BB12_387 Depth=3
	s_sleep 1
	s_trap 2
	ds_read_b64 v[6:7], v0
	s_andn2_b64 s[64:65], s[64:65], exec
	s_waitcnt lgkmcnt(0)
	v_cmp_ge_u64_e32 vcc, v[6:7], v[14:15]
	s_orn2_b64 vcc, vcc, exec
	s_branch .LBB12_386
.LBB12_391:                             ;   in Loop: Header=BB12_263 Depth=2
	s_or_b64 exec, exec, s[60:61]
	s_and_saveexec_b64 vcc, s[62:63]
	s_xor_b64 vcc, exec, vcc
	s_cbranch_execz .LBB12_393
; %bb.392:                              ;   in Loop: Header=BB12_263 Depth=2
	ds_write_b32 v0, v53
	s_trap 2
.LBB12_393:                             ;   in Loop: Header=BB12_263 Depth=2
	s_or_b64 exec, exec, s[58:59]
	;;#ASMSTART
	s_wakeup
	;;#ASMEND
.LBB12_394:                             ;   in Loop: Header=BB12_263 Depth=2
	s_or_b64 exec, exec, s[56:57]
.LBB12_395:                             ;   in Loop: Header=BB12_263 Depth=2
	s_andn2_saveexec_b64 vcc, s[54:55]
	s_cbranch_execz .LBB12_397
; %bb.396:                              ;   in Loop: Header=BB12_263 Depth=2
	;;#ASMSTART
	s_waitcnt lgkmcnt(0) vmcnt(0)
	;;#ASMEND
	s_barrier
.LBB12_397:                             ;   in Loop: Header=BB12_263 Depth=2
	s_or_b64 exec, exec, vcc
	s_or_b64 exec, exec, s[24:25]
	v_cmp_ne_u32_e32 vcc, 0, v5
	s_and_saveexec_b64 s[24:25], vcc
	s_cbranch_execz .LBB12_262
.LBB12_398:                             ;   in Loop: Header=BB12_263 Depth=2
	s_and_saveexec_b64 vcc, s[10:11]
	s_cbranch_execz .LBB12_261
; %bb.399:                              ;   in Loop: Header=BB12_263 Depth=2
	flat_store_dword v[32:33], v53 sc0 sc1
	s_branch .LBB12_261
.LBB12_400:                             ;   in Loop: Header=BB12_81 Depth=1
	s_or_b64 exec, exec, s[54:55]
.LBB12_401:                             ;   in Loop: Header=BB12_81 Depth=1
	s_or_b64 exec, exec, s[52:53]
	v_cmp_gt_i32_e32 vcc, 2, v2
	s_and_saveexec_b64 s[26:27], vcc
	s_cbranch_execz .LBB12_545
; %bb.402:                              ;   in Loop: Header=BB12_81 Depth=1
	v_cmp_eq_u32_e64 s[24:25], 0, v2
	s_mov_b64 s[28:29], 0
	s_branch .LBB12_405
.LBB12_403:                             ;   in Loop: Header=BB12_405 Depth=2
	s_or_b64 exec, exec, vcc
	v_lshl_add_u64 v[50:51], v[50:51], 0, 2
	flat_store_dwordx2 v[26:27], v[50:51] sc0 sc1
.LBB12_404:                             ;   in Loop: Header=BB12_405 Depth=2
	s_or_b64 exec, exec, s[24:25]
	v_add_u32_e32 v54, v52, v54
	s_mov_b64 s[24:25], 0
	s_andn2_b64 exec, exec, s[28:29]
	s_cbranch_execz .LBB12_544
.LBB12_405:                             ;   Parent Loop BB12_81 Depth=1
                                        ; =>  This Loop Header: Depth=2
                                        ;       Child Loop BB12_411 Depth 3
                                        ;       Child Loop BB12_435 Depth 3
	;; [unrolled: 1-line block ×3, first 2 shown]
	v_and_b32_e32 v2, 8, v62
	s_mov_b64 s[54:55], -1
	v_cmp_ne_u32_e32 vcc, 0, v2
	v_lshl_add_u64 v[2:3], v[50:51], 0, 2
	s_and_saveexec_b64 s[52:53], vcc
	s_cbranch_execz .LBB12_417
; %bb.406:                              ;   in Loop: Header=BB12_405 Depth=2
	v_lshl_add_u64 v[6:7], v[36:37], 0, 8
	v_lshl_add_u64 v[4:5], v[50:51], 0, 2
	v_cmp_lt_u64_e32 vcc, v[6:7], v[4:5]
	v_mov_b32_e32 v6, 1
	s_and_saveexec_b64 s[54:55], vcc
	s_cbranch_execz .LBB12_416
; %bb.407:                              ;   in Loop: Header=BB12_405 Depth=2
	s_mov_b64 s[56:57], 0
	v_mov_b32_e32 v6, 0
                                        ; implicit-def: $sgpr58_sgpr59
	s_branch .LBB12_411
.LBB12_408:                             ;   in Loop: Header=BB12_411 Depth=3
	s_or_b64 exec, exec, s[66:67]
	v_mov_b32_e32 v7, 0
	s_orn2_b64 s[64:65], s[64:65], exec
.LBB12_409:                             ;   in Loop: Header=BB12_411 Depth=3
	s_or_b64 exec, exec, s[62:63]
	s_andn2_b64 vcc, s[58:59], exec
	s_and_b64 s[58:59], s[64:65], exec
	s_or_b64 s[58:59], vcc, s[58:59]
	v_mov_b32_e32 v6, v7
.LBB12_410:                             ;   in Loop: Header=BB12_411 Depth=3
	s_or_b64 exec, exec, s[60:61]
	s_waitcnt vmcnt(0) lgkmcnt(0)
	v_lshl_add_u64 v[8:9], v[36:37], 0, 8
	v_cmp_ge_u64_e32 vcc, v[8:9], v[4:5]
	s_xor_b64 s[60:61], s[58:59], -1
	s_or_b64 vcc, s[60:61], vcc
	s_and_b64 vcc, exec, vcc
	s_or_b64 s[56:57], vcc, s[56:57]
	s_andn2_b64 exec, exec, s[56:57]
	s_cbranch_execz .LBB12_415
.LBB12_411:                             ;   Parent Loop BB12_81 Depth=1
                                        ;     Parent Loop BB12_405 Depth=2
                                        ; =>    This Inner Loop Header: Depth=3
	s_sleep 1
	flat_load_dwordx2 v[36:37], v[26:27] sc0 sc1
	v_and_b32_e32 v7, 64, v62
	v_cmp_eq_u32_e32 vcc, 0, v7
	s_andn2_b64 s[58:59], s[58:59], exec
	s_and_saveexec_b64 s[60:61], vcc
	s_cbranch_execz .LBB12_410
; %bb.412:                              ;   in Loop: Header=BB12_411 Depth=3
	v_add_u32_e32 v7, 1, v6
	v_cmp_lt_i32_e32 vcc, s72, v6
	s_mov_b64 s[64:65], -1
	s_and_saveexec_b64 s[62:63], vcc
	s_cbranch_execz .LBB12_409
; %bb.413:                              ;   in Loop: Header=BB12_411 Depth=3
	s_trap 2
	ds_read_b64 v[6:7], v0
	s_waitcnt vmcnt(0) lgkmcnt(0)
	flat_load_dword v6, v[6:7] sc0 sc1
	s_waitcnt vmcnt(0) lgkmcnt(0)
	buffer_inv sc0 sc1
	v_cmp_ne_u32_e32 vcc, 0, v6
	s_and_saveexec_b64 s[66:67], vcc
	s_cbranch_execz .LBB12_408
; %bb.414:                              ;   in Loop: Header=BB12_411 Depth=3
	v_or_b32_e32 v62, 64, v62
	s_xor_b64 s[64:65], exec, -1
	ds_write_b32 v0, v6
	s_trap 2
	s_branch .LBB12_408
.LBB12_415:                             ;   in Loop: Header=BB12_405 Depth=2
	s_or_b64 exec, exec, s[56:57]
	v_and_b32_e32 v6, 8, v62
.LBB12_416:                             ;   in Loop: Header=BB12_405 Depth=2
	s_or_b64 exec, exec, s[54:55]
	v_cmp_eq_u32_e32 vcc, 0, v6
	s_orn2_b64 s[54:55], vcc, exec
	;;#ASMSTART
	s_wakeup
	;;#ASMEND
.LBB12_417:                             ;   in Loop: Header=BB12_405 Depth=2
	s_or_b64 exec, exec, s[52:53]
	s_xor_b64 s[24:25], s[24:25], -1
	s_and_b64 s[24:25], exec, s[24:25]
	s_or_b64 s[28:29], s[24:25], s[28:29]
	v_sub_u32_e32 v4, v1, v54
	s_xor_b64 s[24:25], s[54:55], -1
	v_min_i32_e32 v52, v52, v4
	s_and_saveexec_b64 s[52:53], s[24:25]
	s_cbranch_execz .LBB12_427
; %bb.418:                              ;   in Loop: Header=BB12_405 Depth=2
	v_and_b32_e32 v4, 0x100, v62
	v_cmp_ne_u32_e32 vcc, 0, v4
	v_and_b32_e32 v8, 7, v50
	s_mov_b64 s[24:25], -1
                                        ; implicit-def: $vgpr4_vgpr5
	s_and_saveexec_b64 s[54:55], vcc
	s_cbranch_execz .LBB12_422
; %bb.419:                              ;   in Loop: Header=BB12_405 Depth=2
	v_mad_u64_u32 v[6:7], s[24:25], v8, 24, v[40:41]
	flat_load_dword v4, v[6:7]
	v_ashrrev_i32_e32 v53, 31, v52
	flat_store_dwordx2 v[6:7], v[52:53] offset:8
	s_waitcnt vmcnt(0) lgkmcnt(0)
	v_cmp_ne_u32_e32 vcc, 1, v4
	v_cmp_eq_u32_e64 s[24:25], 1, v4
                                        ; implicit-def: $vgpr4_vgpr5
	s_and_saveexec_b64 s[56:57], s[24:25]
	s_cbranch_execz .LBB12_421
; %bb.420:                              ;   in Loop: Header=BB12_405 Depth=2
	flat_load_dword v4, v[6:7] offset:4 sc0 sc1
	s_waitcnt vmcnt(0) lgkmcnt(0)
	v_ashrrev_i32_e32 v5, 31, v4
.LBB12_421:                             ;   in Loop: Header=BB12_405 Depth=2
	s_or_b64 exec, exec, s[56:57]
	s_orn2_b64 s[24:25], vcc, exec
	v_mov_b32_e32 v53, 1
.LBB12_422:                             ;   in Loop: Header=BB12_405 Depth=2
	s_or_b64 exec, exec, s[54:55]
	s_and_saveexec_b64 vcc, s[24:25]
; %bb.423:                              ;   in Loop: Header=BB12_405 Depth=2
	v_accvgpr_read_b32 v4, a22
	v_mad_i64_i32 v[4:5], s[24:25], v8, v4, 0
; %bb.424:                              ;   in Loop: Header=BB12_405 Depth=2
	s_or_b64 exec, exec, vcc
	v_lshl_add_u64 v[4:5], v[34:35], 0, v[4:5]
	ds_write_b64 v0, v[4:5] offset:792
	v_and_b32_e32 v4, 0x2000, v62
	v_cmp_ne_u32_e32 vcc, 0, v4
	s_and_saveexec_b64 s[24:25], vcc
	s_cbranch_execz .LBB12_426
; %bb.425:                              ;   in Loop: Header=BB12_405 Depth=2
	ds_read_b64 v[4:5], v0 offset:584
	s_waitcnt lgkmcnt(0)
	v_lshl_add_u64 v[4:5], v[4:5], 0, 1
	ds_write_b64 v0, v[4:5] offset:584
.LBB12_426:                             ;   in Loop: Header=BB12_405 Depth=2
	s_or_b64 exec, exec, s[24:25]
	v_mov_b64_e32 v[50:51], v[2:3]
.LBB12_427:                             ;   in Loop: Header=BB12_405 Depth=2
	s_or_b64 exec, exec, s[52:53]
	s_and_saveexec_b64 s[24:25], s[4:5]
	s_cbranch_execz .LBB12_446
; %bb.428:                              ;   in Loop: Header=BB12_405 Depth=2
	s_and_saveexec_b64 vcc, s[40:41]
	s_xor_b64 s[52:53], exec, vcc
	s_cbranch_execz .LBB12_443
; %bb.429:                              ;   in Loop: Header=BB12_405 Depth=2
	s_and_saveexec_b64 s[54:55], s[12:13]
	s_cbranch_execz .LBB12_442
; %bb.430:                              ;   in Loop: Header=BB12_405 Depth=2
	s_mov_b64 s[58:59], exec
	v_mbcnt_lo_u32_b32 v2, s58, 0
	v_mbcnt_hi_u32_b32 v2, s59, v2
	v_cmp_eq_u32_e32 vcc, 0, v2
	s_waitcnt lgkmcnt(0)
	s_and_saveexec_b64 s[56:57], vcc
	s_cbranch_execz .LBB12_432
; %bb.431:                              ;   in Loop: Header=BB12_405 Depth=2
	s_bcnt1_i32_b64 vcc_lo, s[58:59]
	v_mov_b32_e32 v38, vcc_lo
	ds_add_u64 v0, v[38:39]
	s_trap 2
.LBB12_432:                             ;   in Loop: Header=BB12_405 Depth=2
	s_or_b64 exec, exec, s[56:57]
	s_trap 2
	ds_read_b64 v[2:3], v0
	v_lshl_add_u64 v[14:15], v[14:15], 0, v[48:49]
	s_waitcnt lgkmcnt(0)
	v_cmp_lt_u64_e32 vcc, v[2:3], v[14:15]
	s_and_saveexec_b64 s[56:57], vcc
	s_cbranch_execz .LBB12_441
; %bb.433:                              ;   in Loop: Header=BB12_405 Depth=2
	s_mov_b32 s68, 0
	s_mov_b64 s[58:59], 0
                                        ; implicit-def: $sgpr60_sgpr61
                                        ; implicit-def: $sgpr62_sgpr63
	s_branch .LBB12_435
.LBB12_434:                             ;   in Loop: Header=BB12_435 Depth=3
	s_or_b64 exec, exec, s[66:67]
	s_and_b64 vcc, exec, vcc
	s_or_b64 s[58:59], vcc, s[58:59]
	s_andn2_b64 vcc, s[60:61], exec
	s_and_b64 s[60:61], s[62:63], exec
	s_or_b64 s[60:61], vcc, s[60:61]
	s_andn2_b64 exec, exec, s[58:59]
	s_cbranch_execz .LBB12_439
.LBB12_435:                             ;   Parent Loop BB12_81 Depth=1
                                        ;     Parent Loop BB12_405 Depth=2
                                        ; =>    This Inner Loop Header: Depth=3
	s_add_i32 s68, s68, 1
	s_cmpk_lg_i32 s68, 0x2710
	s_cselect_b64 s[64:65], -1, 0
	s_and_b64 vcc, exec, s[64:65]
                                        ; implicit-def: $sgpr66_sgpr67
	s_cbranch_vccnz .LBB12_437
; %bb.436:                              ;   in Loop: Header=BB12_435 Depth=3
	s_trap 2
	ds_read_b64 v[2:3], v0
	s_andn2_b64 s[64:65], s[64:65], exec
	s_mov_b32 s68, 0
	s_mov_b64 s[66:67], -1
	s_waitcnt vmcnt(0) lgkmcnt(0)
	flat_load_dword v2, v[2:3] sc0 sc1
	s_waitcnt vmcnt(0) lgkmcnt(0)
	buffer_inv sc0 sc1
	v_cmp_eq_u32_e32 vcc, 0, v2
	s_and_b64 vcc, vcc, exec
	s_or_b64 s[64:65], s[64:65], vcc
.LBB12_437:                             ;   in Loop: Header=BB12_435 Depth=3
	s_andn2_b64 s[62:63], s[62:63], exec
	s_and_b64 s[66:67], s[66:67], exec
	s_mov_b64 vcc, -1
	s_or_b64 s[62:63], s[62:63], s[66:67]
	s_and_saveexec_b64 s[66:67], s[64:65]
	s_cbranch_execz .LBB12_434
; %bb.438:                              ;   in Loop: Header=BB12_435 Depth=3
	s_sleep 1
	s_trap 2
	ds_read_b64 v[2:3], v0
	s_andn2_b64 s[62:63], s[62:63], exec
	s_waitcnt lgkmcnt(0)
	v_cmp_ge_u64_e32 vcc, v[2:3], v[14:15]
	s_orn2_b64 vcc, vcc, exec
	s_branch .LBB12_434
.LBB12_439:                             ;   in Loop: Header=BB12_405 Depth=2
	s_or_b64 exec, exec, s[58:59]
	s_and_saveexec_b64 vcc, s[60:61]
	s_xor_b64 vcc, exec, vcc
	s_cbranch_execz .LBB12_441
; %bb.440:                              ;   in Loop: Header=BB12_405 Depth=2
	ds_write_b32 v0, v53
	s_trap 2
.LBB12_441:                             ;   in Loop: Header=BB12_405 Depth=2
	s_or_b64 exec, exec, s[56:57]
	;;#ASMSTART
	s_wakeup
	;;#ASMEND
.LBB12_442:                             ;   in Loop: Header=BB12_405 Depth=2
	s_or_b64 exec, exec, s[54:55]
.LBB12_443:                             ;   in Loop: Header=BB12_405 Depth=2
	s_andn2_saveexec_b64 vcc, s[52:53]
	s_cbranch_execz .LBB12_445
; %bb.444:                              ;   in Loop: Header=BB12_405 Depth=2
	s_waitcnt lgkmcnt(0)
	s_barrier
.LBB12_445:                             ;   in Loop: Header=BB12_405 Depth=2
	s_or_b64 exec, exec, vcc
.LBB12_446:                             ;   in Loop: Header=BB12_405 Depth=2
	s_or_b64 exec, exec, s[24:25]
	v_and_b32_e32 v2, 16, v62
	s_and_saveexec_b64 s[24:25], s[20:21]
	s_xor_b64 s[24:25], exec, s[24:25]
	s_cbranch_execz .LBB12_451
; %bb.447:                              ;   in Loop: Header=BB12_405 Depth=2
	s_trap 2
	ds_read_b32 v3, v0
	v_cmp_lt_i32_e32 vcc, 0, v52
	v_and_b32_e32 v4, 16, v62
	v_and_b32_e32 v2, 16, v62
	s_waitcnt lgkmcnt(0)
	v_readfirstlane_b32 s52, v3
	s_cmp_eq_u32 s52, 0
	s_cselect_b64 s[52:53], -1, 0
	s_and_b64 s[52:53], vcc, s[52:53]
	v_cmp_ne_u32_e32 vcc, 0, v4
	s_and_b64 s[52:53], vcc, s[52:53]
	s_and_saveexec_b64 vcc, s[52:53]
	s_cbranch_execz .LBB12_449
; %bb.448:                              ;   in Loop: Header=BB12_405 Depth=2
	v_mov_b32_e32 v2, 1
	buffer_wbl2 sc1
	s_waitcnt vmcnt(0)
	buffer_inv sc1
.LBB12_449:                             ;   in Loop: Header=BB12_405 Depth=2
	s_or_b64 exec, exec, vcc
	s_andn2_saveexec_b64 s[24:25], s[24:25]
	s_cbranch_execnz .LBB12_452
.LBB12_450:                             ;   in Loop: Header=BB12_405 Depth=2
	s_or_b64 exec, exec, s[24:25]
	v_cmp_ne_u32_e32 vcc, 0, v2
	s_and_saveexec_b64 s[24:25], vcc
	s_cbranch_execz .LBB12_404
	s_branch .LBB12_470
.LBB12_451:                             ;   in Loop: Header=BB12_405 Depth=2
	s_andn2_saveexec_b64 s[24:25], s[24:25]
	s_cbranch_execz .LBB12_450
.LBB12_452:                             ;   in Loop: Header=BB12_405 Depth=2
	s_and_saveexec_b64 vcc, s[40:41]
	s_xor_b64 s[52:53], exec, vcc
	s_cbranch_execz .LBB12_467
; %bb.453:                              ;   in Loop: Header=BB12_405 Depth=2
	s_and_saveexec_b64 s[54:55], s[12:13]
	s_cbranch_execz .LBB12_466
; %bb.454:                              ;   in Loop: Header=BB12_405 Depth=2
	s_mov_b64 s[58:59], exec
	v_mbcnt_lo_u32_b32 v3, s58, 0
	v_mbcnt_hi_u32_b32 v3, s59, v3
	v_cmp_eq_u32_e32 vcc, 0, v3
	;;#ASMSTART
	s_waitcnt lgkmcnt(0) vmcnt(0)
	;;#ASMEND
	s_and_saveexec_b64 s[56:57], vcc
	s_cbranch_execz .LBB12_456
; %bb.455:                              ;   in Loop: Header=BB12_405 Depth=2
	s_bcnt1_i32_b64 vcc_lo, s[58:59]
	v_mov_b32_e32 v38, vcc_lo
	ds_add_u64 v0, v[38:39]
	s_trap 2
.LBB12_456:                             ;   in Loop: Header=BB12_405 Depth=2
	s_or_b64 exec, exec, s[56:57]
	s_trap 2
	ds_read_b64 v[4:5], v0
	v_lshl_add_u64 v[14:15], v[14:15], 0, v[48:49]
	s_waitcnt lgkmcnt(0)
	v_cmp_lt_u64_e32 vcc, v[4:5], v[14:15]
	s_and_saveexec_b64 s[56:57], vcc
	s_cbranch_execz .LBB12_465
; %bb.457:                              ;   in Loop: Header=BB12_405 Depth=2
	s_mov_b32 s68, 0
	s_mov_b64 s[58:59], 0
                                        ; implicit-def: $sgpr60_sgpr61
                                        ; implicit-def: $sgpr62_sgpr63
	s_branch .LBB12_459
.LBB12_458:                             ;   in Loop: Header=BB12_459 Depth=3
	s_or_b64 exec, exec, s[66:67]
	s_and_b64 vcc, exec, vcc
	s_or_b64 s[58:59], vcc, s[58:59]
	s_andn2_b64 vcc, s[60:61], exec
	s_and_b64 s[60:61], s[62:63], exec
	s_or_b64 s[60:61], vcc, s[60:61]
	s_andn2_b64 exec, exec, s[58:59]
	s_cbranch_execz .LBB12_463
.LBB12_459:                             ;   Parent Loop BB12_81 Depth=1
                                        ;     Parent Loop BB12_405 Depth=2
                                        ; =>    This Inner Loop Header: Depth=3
	s_add_i32 s68, s68, 1
	s_cmpk_lg_i32 s68, 0x2710
	s_cselect_b64 s[64:65], -1, 0
	s_and_b64 vcc, exec, s[64:65]
                                        ; implicit-def: $sgpr66_sgpr67
	s_cbranch_vccnz .LBB12_461
; %bb.460:                              ;   in Loop: Header=BB12_459 Depth=3
	s_trap 2
	ds_read_b64 v[4:5], v0
	s_andn2_b64 s[64:65], s[64:65], exec
	s_mov_b32 s68, 0
	s_mov_b64 s[66:67], -1
	s_waitcnt vmcnt(0) lgkmcnt(0)
	flat_load_dword v3, v[4:5] sc0 sc1
	s_waitcnt vmcnt(0) lgkmcnt(0)
	buffer_inv sc0 sc1
	v_cmp_eq_u32_e32 vcc, 0, v3
	s_and_b64 vcc, vcc, exec
	s_or_b64 s[64:65], s[64:65], vcc
.LBB12_461:                             ;   in Loop: Header=BB12_459 Depth=3
	s_andn2_b64 s[62:63], s[62:63], exec
	s_and_b64 s[66:67], s[66:67], exec
	s_mov_b64 vcc, -1
	s_or_b64 s[62:63], s[62:63], s[66:67]
	s_and_saveexec_b64 s[66:67], s[64:65]
	s_cbranch_execz .LBB12_458
; %bb.462:                              ;   in Loop: Header=BB12_459 Depth=3
	s_sleep 1
	s_trap 2
	ds_read_b64 v[4:5], v0
	s_andn2_b64 s[62:63], s[62:63], exec
	s_waitcnt lgkmcnt(0)
	v_cmp_ge_u64_e32 vcc, v[4:5], v[14:15]
	s_orn2_b64 vcc, vcc, exec
	s_branch .LBB12_458
.LBB12_463:                             ;   in Loop: Header=BB12_405 Depth=2
	s_or_b64 exec, exec, s[58:59]
	s_and_saveexec_b64 vcc, s[60:61]
	s_xor_b64 vcc, exec, vcc
	s_cbranch_execz .LBB12_465
; %bb.464:                              ;   in Loop: Header=BB12_405 Depth=2
	ds_write_b32 v0, v53
	s_trap 2
.LBB12_465:                             ;   in Loop: Header=BB12_405 Depth=2
	s_or_b64 exec, exec, s[56:57]
	;;#ASMSTART
	s_wakeup
	;;#ASMEND
.LBB12_466:                             ;   in Loop: Header=BB12_405 Depth=2
	s_or_b64 exec, exec, s[54:55]
.LBB12_467:                             ;   in Loop: Header=BB12_405 Depth=2
	s_andn2_saveexec_b64 vcc, s[52:53]
	s_cbranch_execz .LBB12_469
; %bb.468:                              ;   in Loop: Header=BB12_405 Depth=2
	;;#ASMSTART
	s_waitcnt lgkmcnt(0) vmcnt(0)
	;;#ASMEND
	s_barrier
.LBB12_469:                             ;   in Loop: Header=BB12_405 Depth=2
	s_or_b64 exec, exec, vcc
	s_or_b64 exec, exec, s[24:25]
	v_cmp_ne_u32_e32 vcc, 0, v2
	s_and_saveexec_b64 s[24:25], vcc
	s_cbranch_execz .LBB12_404
.LBB12_470:                             ;   in Loop: Header=BB12_405 Depth=2
	s_and_saveexec_b64 vcc, s[10:11]
	s_cbranch_execz .LBB12_403
; %bb.471:                              ;   in Loop: Header=BB12_405 Depth=2
	flat_store_dword v[32:33], v53 sc0 sc1
	s_branch .LBB12_403
.LBB12_472:                             ;   in Loop: Header=BB12_81 Depth=1
	s_or_b64 exec, exec, s[50:51]
.LBB12_473:                             ;   in Loop: Header=BB12_81 Depth=1
	s_or_b64 exec, exec, s[28:29]
	v_cmp_gt_i32_e32 vcc, 2, v3
	s_and_saveexec_b64 s[28:29], vcc
	s_cbranch_execz .LBB12_805
; %bb.474:                              ;   in Loop: Header=BB12_81 Depth=1
	v_cmp_eq_u32_e64 s[24:25], 0, v3
	s_mov_b64 s[50:51], 0
	s_branch .LBB12_477
.LBB12_475:                             ;   in Loop: Header=BB12_477 Depth=2
	s_or_b64 exec, exec, vcc
	v_lshl_add_u64 v[50:51], v[50:51], 0, 2
	flat_store_dwordx2 v[26:27], v[50:51] sc0 sc1
.LBB12_476:                             ;   in Loop: Header=BB12_477 Depth=2
	s_or_b64 exec, exec, s[24:25]
	v_add_u32_e32 v2, v4, v2
	s_mov_b64 s[24:25], 0
	s_andn2_b64 exec, exec, s[50:51]
	s_cbranch_execz .LBB12_804
.LBB12_477:                             ;   Parent Loop BB12_81 Depth=1
                                        ; =>  This Loop Header: Depth=2
                                        ;       Child Loop BB12_483 Depth 3
                                        ;       Child Loop BB12_507 Depth 3
	;; [unrolled: 1-line block ×3, first 2 shown]
	v_and_b32_e32 v3, 8, v62
	s_mov_b64 s[54:55], -1
	v_cmp_ne_u32_e32 vcc, 0, v3
	v_lshl_add_u64 v[8:9], v[50:51], 0, 2
	s_and_saveexec_b64 s[52:53], vcc
	s_cbranch_execz .LBB12_489
; %bb.478:                              ;   in Loop: Header=BB12_477 Depth=2
	v_lshl_add_u64 v[10:11], v[36:37], 0, 8
	v_lshl_add_u64 v[6:7], v[50:51], 0, 2
	v_cmp_lt_u64_e32 vcc, v[10:11], v[6:7]
	v_mov_b32_e32 v3, 1
	s_and_saveexec_b64 s[54:55], vcc
	s_cbranch_execz .LBB12_488
; %bb.479:                              ;   in Loop: Header=BB12_477 Depth=2
	s_mov_b64 s[56:57], 0
	v_mov_b32_e32 v3, 0
                                        ; implicit-def: $sgpr58_sgpr59
	s_branch .LBB12_483
.LBB12_480:                             ;   in Loop: Header=BB12_483 Depth=3
	s_or_b64 exec, exec, s[66:67]
	v_mov_b32_e32 v5, 0
	s_orn2_b64 s[64:65], s[64:65], exec
.LBB12_481:                             ;   in Loop: Header=BB12_483 Depth=3
	s_or_b64 exec, exec, s[62:63]
	s_andn2_b64 vcc, s[58:59], exec
	s_and_b64 s[58:59], s[64:65], exec
	s_or_b64 s[58:59], vcc, s[58:59]
	v_mov_b32_e32 v3, v5
.LBB12_482:                             ;   in Loop: Header=BB12_483 Depth=3
	s_or_b64 exec, exec, s[60:61]
	s_waitcnt vmcnt(0) lgkmcnt(0)
	v_lshl_add_u64 v[10:11], v[36:37], 0, 8
	v_cmp_ge_u64_e32 vcc, v[10:11], v[6:7]
	s_xor_b64 s[60:61], s[58:59], -1
	s_or_b64 vcc, s[60:61], vcc
	s_and_b64 vcc, exec, vcc
	s_or_b64 s[56:57], vcc, s[56:57]
	s_andn2_b64 exec, exec, s[56:57]
	s_cbranch_execz .LBB12_487
.LBB12_483:                             ;   Parent Loop BB12_81 Depth=1
                                        ;     Parent Loop BB12_477 Depth=2
                                        ; =>    This Inner Loop Header: Depth=3
	s_sleep 1
	flat_load_dwordx2 v[36:37], v[26:27] sc0 sc1
	v_and_b32_e32 v5, 64, v62
	v_cmp_eq_u32_e32 vcc, 0, v5
	s_andn2_b64 s[58:59], s[58:59], exec
	s_and_saveexec_b64 s[60:61], vcc
	s_cbranch_execz .LBB12_482
; %bb.484:                              ;   in Loop: Header=BB12_483 Depth=3
	v_add_u32_e32 v5, 1, v3
	v_cmp_lt_i32_e32 vcc, s72, v3
	s_mov_b64 s[64:65], -1
	s_and_saveexec_b64 s[62:63], vcc
	s_cbranch_execz .LBB12_481
; %bb.485:                              ;   in Loop: Header=BB12_483 Depth=3
	s_trap 2
	ds_read_b64 v[10:11], v0
	s_waitcnt vmcnt(0) lgkmcnt(0)
	flat_load_dword v3, v[10:11] sc0 sc1
	s_waitcnt vmcnt(0) lgkmcnt(0)
	buffer_inv sc0 sc1
	v_cmp_ne_u32_e32 vcc, 0, v3
	s_and_saveexec_b64 s[66:67], vcc
	s_cbranch_execz .LBB12_480
; %bb.486:                              ;   in Loop: Header=BB12_483 Depth=3
	v_or_b32_e32 v62, 64, v62
	s_xor_b64 s[64:65], exec, -1
	ds_write_b32 v0, v3
	s_trap 2
	s_branch .LBB12_480
.LBB12_487:                             ;   in Loop: Header=BB12_477 Depth=2
	s_or_b64 exec, exec, s[56:57]
	v_and_b32_e32 v3, 8, v62
.LBB12_488:                             ;   in Loop: Header=BB12_477 Depth=2
	s_or_b64 exec, exec, s[54:55]
	v_cmp_eq_u32_e32 vcc, 0, v3
	s_orn2_b64 s[54:55], vcc, exec
	;;#ASMSTART
	s_wakeup
	;;#ASMEND
.LBB12_489:                             ;   in Loop: Header=BB12_477 Depth=2
	s_or_b64 exec, exec, s[52:53]
	s_xor_b64 s[24:25], s[24:25], -1
	s_and_b64 s[24:25], exec, s[24:25]
	s_or_b64 s[50:51], s[24:25], s[50:51]
	v_sub_u32_e32 v3, v1, v2
	s_xor_b64 s[24:25], s[54:55], -1
	v_min_i32_e32 v4, v4, v3
	s_and_saveexec_b64 s[52:53], s[24:25]
	s_cbranch_execz .LBB12_499
; %bb.490:                              ;   in Loop: Header=BB12_477 Depth=2
	v_and_b32_e32 v3, 0x100, v62
	v_cmp_ne_u32_e32 vcc, 0, v3
	v_and_b32_e32 v3, 7, v50
	s_mov_b64 s[24:25], -1
                                        ; implicit-def: $vgpr6_vgpr7
	s_and_saveexec_b64 s[54:55], vcc
	s_cbranch_execz .LBB12_494
; %bb.491:                              ;   in Loop: Header=BB12_477 Depth=2
	v_mad_u64_u32 v[10:11], s[24:25], v3, 24, v[40:41]
	flat_load_dword v6, v[10:11]
	v_ashrrev_i32_e32 v5, 31, v4
	flat_store_dwordx2 v[10:11], v[4:5] offset:8
	s_waitcnt vmcnt(0) lgkmcnt(0)
	v_cmp_ne_u32_e32 vcc, 1, v6
	v_cmp_eq_u32_e64 s[24:25], 1, v6
                                        ; implicit-def: $vgpr6_vgpr7
	s_and_saveexec_b64 s[56:57], s[24:25]
	s_cbranch_execz .LBB12_493
; %bb.492:                              ;   in Loop: Header=BB12_477 Depth=2
	flat_load_dword v6, v[10:11] offset:4 sc0 sc1
	s_waitcnt vmcnt(0) lgkmcnt(0)
	v_ashrrev_i32_e32 v7, 31, v6
.LBB12_493:                             ;   in Loop: Header=BB12_477 Depth=2
	s_or_b64 exec, exec, s[56:57]
	s_orn2_b64 s[24:25], vcc, exec
.LBB12_494:                             ;   in Loop: Header=BB12_477 Depth=2
	s_or_b64 exec, exec, s[54:55]
	s_and_saveexec_b64 vcc, s[24:25]
; %bb.495:                              ;   in Loop: Header=BB12_477 Depth=2
	v_mad_i64_i32 v[6:7], s[24:25], v3, v52, 0
; %bb.496:                              ;   in Loop: Header=BB12_477 Depth=2
	s_or_b64 exec, exec, vcc
	v_and_b32_e32 v3, 0x2000, v62
	v_lshl_add_u64 v[6:7], v[34:35], 0, v[6:7]
	v_cmp_ne_u32_e32 vcc, 0, v3
	ds_write_b64 v0, v[6:7] offset:784
	s_and_saveexec_b64 s[24:25], vcc
	s_cbranch_execz .LBB12_498
; %bb.497:                              ;   in Loop: Header=BB12_477 Depth=2
	ds_read_b64 v[6:7], v0 offset:584
	s_waitcnt lgkmcnt(0)
	v_lshl_add_u64 v[6:7], v[6:7], 0, 1
	ds_write_b64 v0, v[6:7] offset:584
.LBB12_498:                             ;   in Loop: Header=BB12_477 Depth=2
	s_or_b64 exec, exec, s[24:25]
	v_mov_b64_e32 v[50:51], v[8:9]
.LBB12_499:                             ;   in Loop: Header=BB12_477 Depth=2
	s_or_b64 exec, exec, s[52:53]
	s_and_saveexec_b64 s[24:25], s[4:5]
	s_cbranch_execz .LBB12_518
; %bb.500:                              ;   in Loop: Header=BB12_477 Depth=2
	s_and_saveexec_b64 vcc, s[40:41]
	s_xor_b64 s[52:53], exec, vcc
	s_cbranch_execz .LBB12_515
; %bb.501:                              ;   in Loop: Header=BB12_477 Depth=2
	s_and_saveexec_b64 s[54:55], s[12:13]
	s_cbranch_execz .LBB12_514
; %bb.502:                              ;   in Loop: Header=BB12_477 Depth=2
	s_mov_b64 s[58:59], exec
	v_mbcnt_lo_u32_b32 v3, s58, 0
	v_mbcnt_hi_u32_b32 v3, s59, v3
	v_cmp_eq_u32_e32 vcc, 0, v3
	s_waitcnt lgkmcnt(0)
	s_and_saveexec_b64 s[56:57], vcc
	s_cbranch_execz .LBB12_504
; %bb.503:                              ;   in Loop: Header=BB12_477 Depth=2
	s_bcnt1_i32_b64 vcc_lo, s[58:59]
	v_mov_b32_e32 v38, vcc_lo
	ds_add_u64 v0, v[38:39]
	s_trap 2
.LBB12_504:                             ;   in Loop: Header=BB12_477 Depth=2
	s_or_b64 exec, exec, s[56:57]
	s_trap 2
	ds_read_b64 v[6:7], v0
	v_lshl_add_u64 v[14:15], v[14:15], 0, v[48:49]
	s_waitcnt lgkmcnt(0)
	v_cmp_lt_u64_e32 vcc, v[6:7], v[14:15]
	s_and_saveexec_b64 s[56:57], vcc
	s_cbranch_execz .LBB12_513
; %bb.505:                              ;   in Loop: Header=BB12_477 Depth=2
	s_mov_b32 s68, 0
	s_mov_b64 s[58:59], 0
                                        ; implicit-def: $sgpr60_sgpr61
                                        ; implicit-def: $sgpr62_sgpr63
	s_branch .LBB12_507
.LBB12_506:                             ;   in Loop: Header=BB12_507 Depth=3
	s_or_b64 exec, exec, s[66:67]
	s_and_b64 vcc, exec, vcc
	s_or_b64 s[58:59], vcc, s[58:59]
	s_andn2_b64 vcc, s[60:61], exec
	s_and_b64 s[60:61], s[62:63], exec
	s_or_b64 s[60:61], vcc, s[60:61]
	s_andn2_b64 exec, exec, s[58:59]
	s_cbranch_execz .LBB12_511
.LBB12_507:                             ;   Parent Loop BB12_81 Depth=1
                                        ;     Parent Loop BB12_477 Depth=2
                                        ; =>    This Inner Loop Header: Depth=3
	s_add_i32 s68, s68, 1
	s_cmpk_lg_i32 s68, 0x2710
	s_cselect_b64 s[64:65], -1, 0
	s_and_b64 vcc, exec, s[64:65]
                                        ; implicit-def: $sgpr66_sgpr67
	s_cbranch_vccnz .LBB12_509
; %bb.508:                              ;   in Loop: Header=BB12_507 Depth=3
	s_trap 2
	ds_read_b64 v[6:7], v0
	s_andn2_b64 s[64:65], s[64:65], exec
	s_mov_b32 s68, 0
	s_mov_b64 s[66:67], -1
	s_waitcnt vmcnt(0) lgkmcnt(0)
	flat_load_dword v3, v[6:7] sc0 sc1
	s_waitcnt vmcnt(0) lgkmcnt(0)
	buffer_inv sc0 sc1
	v_cmp_eq_u32_e32 vcc, 0, v3
	s_and_b64 vcc, vcc, exec
	s_or_b64 s[64:65], s[64:65], vcc
.LBB12_509:                             ;   in Loop: Header=BB12_507 Depth=3
	s_andn2_b64 s[62:63], s[62:63], exec
	s_and_b64 s[66:67], s[66:67], exec
	s_mov_b64 vcc, -1
	s_or_b64 s[62:63], s[62:63], s[66:67]
	s_and_saveexec_b64 s[66:67], s[64:65]
	s_cbranch_execz .LBB12_506
; %bb.510:                              ;   in Loop: Header=BB12_507 Depth=3
	s_sleep 1
	s_trap 2
	ds_read_b64 v[6:7], v0
	s_andn2_b64 s[62:63], s[62:63], exec
	s_waitcnt lgkmcnt(0)
	v_cmp_ge_u64_e32 vcc, v[6:7], v[14:15]
	s_orn2_b64 vcc, vcc, exec
	s_branch .LBB12_506
.LBB12_511:                             ;   in Loop: Header=BB12_477 Depth=2
	s_or_b64 exec, exec, s[58:59]
	s_and_saveexec_b64 vcc, s[60:61]
	s_xor_b64 vcc, exec, vcc
	s_cbranch_execz .LBB12_513
; %bb.512:                              ;   in Loop: Header=BB12_477 Depth=2
	ds_write_b32 v0, v53
	s_trap 2
.LBB12_513:                             ;   in Loop: Header=BB12_477 Depth=2
	s_or_b64 exec, exec, s[56:57]
	;;#ASMSTART
	s_wakeup
	;;#ASMEND
.LBB12_514:                             ;   in Loop: Header=BB12_477 Depth=2
	s_or_b64 exec, exec, s[54:55]
.LBB12_515:                             ;   in Loop: Header=BB12_477 Depth=2
	s_andn2_saveexec_b64 vcc, s[52:53]
	s_cbranch_execz .LBB12_517
; %bb.516:                              ;   in Loop: Header=BB12_477 Depth=2
	s_waitcnt lgkmcnt(0)
	s_barrier
.LBB12_517:                             ;   in Loop: Header=BB12_477 Depth=2
	s_or_b64 exec, exec, vcc
.LBB12_518:                             ;   in Loop: Header=BB12_477 Depth=2
	s_or_b64 exec, exec, s[24:25]
	v_and_b32_e32 v3, 16, v62
	s_and_saveexec_b64 s[24:25], s[20:21]
	s_xor_b64 s[24:25], exec, s[24:25]
	s_cbranch_execz .LBB12_523
; %bb.519:                              ;   in Loop: Header=BB12_477 Depth=2
	s_trap 2
	ds_read_b32 v5, v0
	v_cmp_lt_i32_e32 vcc, 0, v4
	v_and_b32_e32 v6, 16, v62
	v_and_b32_e32 v3, 16, v62
	s_waitcnt lgkmcnt(0)
	v_readfirstlane_b32 s52, v5
	s_cmp_eq_u32 s52, 0
	s_cselect_b64 s[52:53], -1, 0
	s_and_b64 s[52:53], vcc, s[52:53]
	v_cmp_ne_u32_e32 vcc, 0, v6
	s_and_b64 s[52:53], vcc, s[52:53]
	s_and_saveexec_b64 vcc, s[52:53]
	s_cbranch_execz .LBB12_521
; %bb.520:                              ;   in Loop: Header=BB12_477 Depth=2
	v_mov_b32_e32 v3, 1
	buffer_wbl2 sc1
	s_waitcnt vmcnt(0)
	buffer_inv sc1
.LBB12_521:                             ;   in Loop: Header=BB12_477 Depth=2
	s_or_b64 exec, exec, vcc
	s_andn2_saveexec_b64 s[24:25], s[24:25]
	s_cbranch_execnz .LBB12_524
.LBB12_522:                             ;   in Loop: Header=BB12_477 Depth=2
	s_or_b64 exec, exec, s[24:25]
	v_cmp_ne_u32_e32 vcc, 0, v3
	s_and_saveexec_b64 s[24:25], vcc
	s_cbranch_execz .LBB12_476
	s_branch .LBB12_542
.LBB12_523:                             ;   in Loop: Header=BB12_477 Depth=2
	s_andn2_saveexec_b64 s[24:25], s[24:25]
	s_cbranch_execz .LBB12_522
.LBB12_524:                             ;   in Loop: Header=BB12_477 Depth=2
	s_and_saveexec_b64 vcc, s[40:41]
	s_xor_b64 s[52:53], exec, vcc
	s_cbranch_execz .LBB12_539
; %bb.525:                              ;   in Loop: Header=BB12_477 Depth=2
	s_and_saveexec_b64 s[54:55], s[12:13]
	s_cbranch_execz .LBB12_538
; %bb.526:                              ;   in Loop: Header=BB12_477 Depth=2
	s_mov_b64 s[58:59], exec
	v_mbcnt_lo_u32_b32 v5, s58, 0
	v_mbcnt_hi_u32_b32 v5, s59, v5
	v_cmp_eq_u32_e32 vcc, 0, v5
	;;#ASMSTART
	s_waitcnt lgkmcnt(0) vmcnt(0)
	;;#ASMEND
	s_and_saveexec_b64 s[56:57], vcc
	s_cbranch_execz .LBB12_528
; %bb.527:                              ;   in Loop: Header=BB12_477 Depth=2
	s_bcnt1_i32_b64 vcc_lo, s[58:59]
	v_mov_b32_e32 v38, vcc_lo
	ds_add_u64 v0, v[38:39]
	s_trap 2
.LBB12_528:                             ;   in Loop: Header=BB12_477 Depth=2
	s_or_b64 exec, exec, s[56:57]
	s_trap 2
	ds_read_b64 v[6:7], v0
	v_lshl_add_u64 v[14:15], v[14:15], 0, v[48:49]
	s_waitcnt lgkmcnt(0)
	v_cmp_lt_u64_e32 vcc, v[6:7], v[14:15]
	s_and_saveexec_b64 s[56:57], vcc
	s_cbranch_execz .LBB12_537
; %bb.529:                              ;   in Loop: Header=BB12_477 Depth=2
	s_mov_b32 s68, 0
	s_mov_b64 s[58:59], 0
                                        ; implicit-def: $sgpr60_sgpr61
                                        ; implicit-def: $sgpr62_sgpr63
	s_branch .LBB12_531
.LBB12_530:                             ;   in Loop: Header=BB12_531 Depth=3
	s_or_b64 exec, exec, s[66:67]
	s_and_b64 vcc, exec, vcc
	s_or_b64 s[58:59], vcc, s[58:59]
	s_andn2_b64 vcc, s[60:61], exec
	s_and_b64 s[60:61], s[62:63], exec
	s_or_b64 s[60:61], vcc, s[60:61]
	s_andn2_b64 exec, exec, s[58:59]
	s_cbranch_execz .LBB12_535
.LBB12_531:                             ;   Parent Loop BB12_81 Depth=1
                                        ;     Parent Loop BB12_477 Depth=2
                                        ; =>    This Inner Loop Header: Depth=3
	s_add_i32 s68, s68, 1
	s_cmpk_lg_i32 s68, 0x2710
	s_cselect_b64 s[64:65], -1, 0
	s_and_b64 vcc, exec, s[64:65]
                                        ; implicit-def: $sgpr66_sgpr67
	s_cbranch_vccnz .LBB12_533
; %bb.532:                              ;   in Loop: Header=BB12_531 Depth=3
	s_trap 2
	ds_read_b64 v[6:7], v0
	s_andn2_b64 s[64:65], s[64:65], exec
	s_mov_b32 s68, 0
	s_mov_b64 s[66:67], -1
	s_waitcnt vmcnt(0) lgkmcnt(0)
	flat_load_dword v5, v[6:7] sc0 sc1
	s_waitcnt vmcnt(0) lgkmcnt(0)
	buffer_inv sc0 sc1
	v_cmp_eq_u32_e32 vcc, 0, v5
	s_and_b64 vcc, vcc, exec
	s_or_b64 s[64:65], s[64:65], vcc
.LBB12_533:                             ;   in Loop: Header=BB12_531 Depth=3
	s_andn2_b64 s[62:63], s[62:63], exec
	s_and_b64 s[66:67], s[66:67], exec
	s_mov_b64 vcc, -1
	s_or_b64 s[62:63], s[62:63], s[66:67]
	s_and_saveexec_b64 s[66:67], s[64:65]
	s_cbranch_execz .LBB12_530
; %bb.534:                              ;   in Loop: Header=BB12_531 Depth=3
	s_sleep 1
	s_trap 2
	ds_read_b64 v[6:7], v0
	s_andn2_b64 s[62:63], s[62:63], exec
	s_waitcnt lgkmcnt(0)
	v_cmp_ge_u64_e32 vcc, v[6:7], v[14:15]
	s_orn2_b64 vcc, vcc, exec
	s_branch .LBB12_530
.LBB12_535:                             ;   in Loop: Header=BB12_477 Depth=2
	s_or_b64 exec, exec, s[58:59]
	s_and_saveexec_b64 vcc, s[60:61]
	s_xor_b64 vcc, exec, vcc
	s_cbranch_execz .LBB12_537
; %bb.536:                              ;   in Loop: Header=BB12_477 Depth=2
	ds_write_b32 v0, v53
	s_trap 2
.LBB12_537:                             ;   in Loop: Header=BB12_477 Depth=2
	s_or_b64 exec, exec, s[56:57]
	;;#ASMSTART
	s_wakeup
	;;#ASMEND
.LBB12_538:                             ;   in Loop: Header=BB12_477 Depth=2
	s_or_b64 exec, exec, s[54:55]
.LBB12_539:                             ;   in Loop: Header=BB12_477 Depth=2
	s_andn2_saveexec_b64 vcc, s[52:53]
	s_cbranch_execz .LBB12_541
; %bb.540:                              ;   in Loop: Header=BB12_477 Depth=2
	;;#ASMSTART
	s_waitcnt lgkmcnt(0) vmcnt(0)
	;;#ASMEND
	s_barrier
.LBB12_541:                             ;   in Loop: Header=BB12_477 Depth=2
	s_or_b64 exec, exec, vcc
	s_or_b64 exec, exec, s[24:25]
	v_cmp_ne_u32_e32 vcc, 0, v3
	s_and_saveexec_b64 s[24:25], vcc
	s_cbranch_execz .LBB12_476
.LBB12_542:                             ;   in Loop: Header=BB12_477 Depth=2
	s_and_saveexec_b64 vcc, s[10:11]
	s_cbranch_execz .LBB12_475
; %bb.543:                              ;   in Loop: Header=BB12_477 Depth=2
	flat_store_dword v[32:33], v53 sc0 sc1
	s_branch .LBB12_475
.LBB12_544:                             ;   in Loop: Header=BB12_81 Depth=1
	s_or_b64 exec, exec, s[28:29]
.LBB12_545:                             ;   in Loop: Header=BB12_81 Depth=1
	s_or_b64 exec, exec, s[26:27]
	v_accvgpr_read_b32 v52, a22
	v_accvgpr_read_b32 v54, a37
	s_andn2_saveexec_b64 s[26:27], s[50:51]
	s_cbranch_execnz .LBB12_259
.LBB12_546:                             ;   in Loop: Header=BB12_81 Depth=1
	s_or_b64 exec, exec, s[26:27]
	s_andn2_b64 vcc, exec, s[46:47]
	s_cbranch_vccnz .LBB12_806
.LBB12_547:                             ;   in Loop: Header=BB12_81 Depth=1
	s_mov_b32 s68, 1
	v_mov_b32_e32 v2, 0
	v_mov_b32_e32 v44, 0
	s_and_saveexec_b64 s[50:51], s[22:23]
	s_cbranch_execz .LBB12_727
	s_branch .LBB12_549
.LBB12_548:                             ;   in Loop: Header=BB12_727 Depth=2
	s_mov_b32 s68, s24
	v_mov_b32_e32 v2, 0
	v_mov_b32_e32 v44, 0
	s_and_saveexec_b64 s[50:51], s[22:23]
	s_cbranch_execz .LBB12_727
.LBB12_549:                             ;   in Loop: Header=BB12_81 Depth=1
	s_sub_i32 s24, s70, s68
	s_ashr_i32 s25, s24, 31
	v_accvgpr_read_b32 v2, a4
	s_lshl_b64 s[24:25], s[24:25], 2
	v_accvgpr_read_b32 v3, a5
	v_lshl_add_u64 v[2:3], v[2:3], 0, s[24:25]
	flat_load_dword v2, v[2:3]
	v_accvgpr_read_b32 v6, a14
	v_accvgpr_read_b32 v8, a40
	;; [unrolled: 1-line block ×4, first 2 shown]
	s_mov_b32 s69, 1
	s_mov_b64 s[54:55], -1
	s_mov_b64 s[52:53], 0
	v_mov_b32_e32 v44, 0
	v_accvgpr_read_b32 v54, a37
	s_waitcnt vmcnt(0) lgkmcnt(0)
	v_ashrrev_i32_e32 v3, 31, v2
	v_mul_lo_u32 v4, v7, v2
	v_mad_u64_u32 v[18:19], s[24:25], v6, v2, v[8:9]
	v_mul_lo_u32 v2, v6, v3
	v_add3_u32 v19, v4, v19, v2
	s_branch .LBB12_551
.LBB12_550:                             ;   in Loop: Header=BB12_551 Depth=2
	s_or_b64 exec, exec, s[24:25]
	v_add_u32_e32 v44, v54, v44
	v_cmp_ge_i32_e32 vcc, v44, v1
	s_xor_b64 s[24:25], s[54:55], -1
	s_or_b64 s[24:25], s[24:25], vcc
	s_and_b64 s[24:25], exec, s[24:25]
	s_or_b64 s[52:53], s[24:25], s[52:53]
	s_mov_b64 s[54:55], 0
	v_mov_b32_e32 v2, s69
	s_mov_b32 s69, 2
	s_andn2_b64 exec, exec, s[52:53]
	s_cbranch_execz .LBB12_726
.LBB12_551:                             ;   Parent Loop BB12_81 Depth=1
                                        ; =>  This Loop Header: Depth=2
                                        ;       Child Loop BB12_559 Depth 3
                                        ;       Child Loop BB12_585 Depth 3
	;; [unrolled: 1-line block ×9, first 2 shown]
                                        ;         Child Loop BB12_645 Depth 4
                                        ;       Child Loop BB12_654 Depth 3
                                        ;       Child Loop BB12_659 Depth 3
                                        ;         Child Loop BB12_660 Depth 4
                                        ;       Child Loop BB12_632 Depth 3
                                        ;       Child Loop BB12_711 Depth 3
	s_and_saveexec_b64 s[24:25], s[0:1]
	s_cbranch_execz .LBB12_553
; %bb.552:                              ;   in Loop: Header=BB12_551 Depth=2
	s_trap 2
	ds_read_b128 v[2:5], v0
	v_ashrrev_i32_e32 v45, 31, v44
	s_waitcnt lgkmcnt(0)
	v_lshl_add_u64 v[2:3], v[2:3], 0, v[18:19]
	v_lshl_add_u64 v[6:7], v[4:5], 0, v[18:19]
	;; [unrolled: 1-line block ×4, first 2 shown]
	v_cmp_ne_u64_e32 vcc, 0, v[4:5]
	ds_write_b64 v0, v[2:3]
	s_nop 0
	v_cndmask_b32_e32 v3, 0, v7, vcc
	v_cndmask_b32_e32 v2, 0, v6, vcc
	ds_write_b64 v0, v[2:3]
.LBB12_553:                             ;   in Loop: Header=BB12_551 Depth=2
	s_or_b64 exec, exec, s[24:25]
	v_and_b32_e32 v2, 12, v62
	v_cmp_ne_u32_e32 vcc, 0, v2
	s_mov_b64 s[26:27], -1
	s_and_saveexec_b64 s[24:25], vcc
	s_cbranch_execz .LBB12_565
; %bb.554:                              ;   in Loop: Header=BB12_551 Depth=2
	v_and_b32_e32 v38, 8, v62
	v_lshl_add_u64 v[4:5], v[36:37], 0, v[38:39]
	v_lshl_add_u64 v[2:3], v[50:51], 0, 2
	v_cmp_lt_u64_e32 vcc, v[4:5], v[2:3]
	v_mov_b32_e32 v4, 1
	s_and_saveexec_b64 s[26:27], vcc
	s_cbranch_execz .LBB12_564
; %bb.555:                              ;   in Loop: Header=BB12_551 Depth=2
	s_mov_b64 s[28:29], 0
	v_mov_b32_e32 v4, 0
                                        ; implicit-def: $sgpr56_sgpr57
	s_branch .LBB12_559
.LBB12_556:                             ;   in Loop: Header=BB12_559 Depth=3
	s_or_b64 exec, exec, s[64:65]
	v_mov_b32_e32 v5, 0
	s_orn2_b64 s[62:63], s[62:63], exec
.LBB12_557:                             ;   in Loop: Header=BB12_559 Depth=3
	s_or_b64 exec, exec, s[60:61]
	s_andn2_b64 vcc, s[56:57], exec
	s_and_b64 s[56:57], s[62:63], exec
	s_or_b64 s[56:57], vcc, s[56:57]
	v_mov_b32_e32 v4, v5
.LBB12_558:                             ;   in Loop: Header=BB12_559 Depth=3
	s_or_b64 exec, exec, s[58:59]
	s_waitcnt vmcnt(0) lgkmcnt(0)
	v_lshl_add_u64 v[6:7], v[36:37], 0, v[38:39]
	v_cmp_ge_u64_e32 vcc, v[6:7], v[2:3]
	s_xor_b64 s[58:59], s[56:57], -1
	s_or_b64 vcc, s[58:59], vcc
	s_and_b64 vcc, exec, vcc
	s_or_b64 s[28:29], vcc, s[28:29]
	s_andn2_b64 exec, exec, s[28:29]
	s_cbranch_execz .LBB12_563
.LBB12_559:                             ;   Parent Loop BB12_81 Depth=1
                                        ;     Parent Loop BB12_551 Depth=2
                                        ; =>    This Inner Loop Header: Depth=3
	s_sleep 1
	flat_load_dwordx2 v[36:37], v[26:27] sc0 sc1
	v_and_b32_e32 v5, 64, v62
	v_cmp_eq_u32_e32 vcc, 0, v5
	s_andn2_b64 s[56:57], s[56:57], exec
	s_and_saveexec_b64 s[58:59], vcc
	s_cbranch_execz .LBB12_558
; %bb.560:                              ;   in Loop: Header=BB12_559 Depth=3
	v_add_u32_e32 v5, 1, v4
	v_cmp_lt_i32_e32 vcc, s72, v4
	s_mov_b64 s[62:63], -1
	s_and_saveexec_b64 s[60:61], vcc
	s_cbranch_execz .LBB12_557
; %bb.561:                              ;   in Loop: Header=BB12_559 Depth=3
	s_trap 2
	ds_read_b64 v[4:5], v0
	s_waitcnt vmcnt(0) lgkmcnt(0)
	flat_load_dword v4, v[4:5] sc0 sc1
	s_waitcnt vmcnt(0) lgkmcnt(0)
	buffer_inv sc0 sc1
	v_cmp_ne_u32_e32 vcc, 0, v4
	s_and_saveexec_b64 s[64:65], vcc
	s_cbranch_execz .LBB12_556
; %bb.562:                              ;   in Loop: Header=BB12_559 Depth=3
	v_or_b32_e32 v62, 64, v62
	s_xor_b64 s[62:63], exec, -1
	ds_write_b32 v0, v4
	s_trap 2
	s_branch .LBB12_556
.LBB12_563:                             ;   in Loop: Header=BB12_551 Depth=2
	s_or_b64 exec, exec, s[28:29]
	v_and_b32_e32 v4, 12, v62
.LBB12_564:                             ;   in Loop: Header=BB12_551 Depth=2
	s_or_b64 exec, exec, s[26:27]
	v_cmp_eq_u32_e32 vcc, 0, v4
	s_orn2_b64 s[26:27], vcc, exec
	;;#ASMSTART
	s_wakeup
	;;#ASMEND
.LBB12_565:                             ;   in Loop: Header=BB12_551 Depth=2
	s_or_b64 exec, exec, s[24:25]
	v_sub_u32_e32 v2, v1, v44
	s_xor_b64 s[24:25], s[26:27], -1
	v_min_i32_e32 v54, v54, v2
	s_and_saveexec_b64 s[26:27], s[24:25]
	s_cbranch_execz .LBB12_577
; %bb.566:                              ;   in Loop: Header=BB12_551 Depth=2
	v_and_b32_e32 v2, 0x108, v62
	v_cmp_ne_u32_e32 vcc, s73, v2
	v_and_b32_e32 v2, 7, v50
	s_and_saveexec_b64 s[24:25], vcc
	s_xor_b64 s[24:25], exec, s[24:25]
	s_andn2_saveexec_b64 s[24:25], s[24:25]
	s_cbranch_execz .LBB12_568
; %bb.567:                              ;   in Loop: Header=BB12_551 Depth=2
	v_mad_u64_u32 v[4:5], s[28:29], v2, 24, v[40:41]
	v_ashrrev_i32_e32 v55, 31, v54
	flat_store_dwordx2 v[4:5], v[54:55] offset:8
.LBB12_568:                             ;   in Loop: Header=BB12_551 Depth=2
	s_or_b64 exec, exec, s[24:25]
	v_and_b32_e32 v3, 0x100, v62
	v_cmp_ne_u32_e32 vcc, 0, v3
	s_mov_b64 s[24:25], -1
                                        ; implicit-def: $vgpr4_vgpr5
	s_and_saveexec_b64 s[28:29], vcc
	s_cbranch_execz .LBB12_572
; %bb.569:                              ;   in Loop: Header=BB12_551 Depth=2
	v_mad_u64_u32 v[6:7], s[24:25], v2, 24, v[40:41]
	v_mov_b32_e32 v4, v7
	v_mad_u64_u32 v[4:5], s[24:25], v39, 24, v[4:5]
	v_mov_b32_e32 v7, v4
	flat_load_dword v3, v[6:7]
                                        ; implicit-def: $vgpr4_vgpr5
	s_waitcnt vmcnt(0) lgkmcnt(0)
	v_cmp_ne_u32_e32 vcc, 1, v3
	v_cmp_eq_u32_e64 s[24:25], 1, v3
	s_and_saveexec_b64 s[56:57], s[24:25]
	s_cbranch_execz .LBB12_571
; %bb.570:                              ;   in Loop: Header=BB12_551 Depth=2
	flat_load_dword v4, v[6:7] offset:4 sc0 sc1
	s_waitcnt vmcnt(0) lgkmcnt(0)
	v_ashrrev_i32_e32 v5, 31, v4
.LBB12_571:                             ;   in Loop: Header=BB12_551 Depth=2
	s_or_b64 exec, exec, s[56:57]
	s_orn2_b64 s[24:25], vcc, exec
.LBB12_572:                             ;   in Loop: Header=BB12_551 Depth=2
	s_or_b64 exec, exec, s[28:29]
	s_and_saveexec_b64 s[28:29], s[24:25]
; %bb.573:                              ;   in Loop: Header=BB12_551 Depth=2
	v_mul_lo_u32 v3, v39, v52
	v_mul_lo_u32 v6, v2, v17
	v_mad_u64_u32 v[4:5], s[24:25], v2, v52, 0
	v_add3_u32 v5, v5, v6, v3
; %bb.574:                              ;   in Loop: Header=BB12_551 Depth=2
	s_or_b64 exec, exec, s[28:29]
	v_lshl_add_u64 v[2:3], v[34:35], 0, v[4:5]
	s_trap 2
	ds_write_b64 v0, v[2:3]
	v_and_b32_e32 v2, 0x2000, v62
	v_cmp_ne_u32_e32 vcc, 0, v2
	s_and_saveexec_b64 s[24:25], vcc
	s_cbranch_execz .LBB12_576
; %bb.575:                              ;   in Loop: Header=BB12_551 Depth=2
	ds_read_b64 v[2:3], v0 offset:584
	s_waitcnt lgkmcnt(0)
	v_lshl_add_u64 v[2:3], v[2:3], 0, 1
	ds_write_b64 v0, v[2:3] offset:584
.LBB12_576:                             ;   in Loop: Header=BB12_551 Depth=2
	s_or_b64 exec, exec, s[24:25]
	v_lshl_add_u64 v[50:51], v[50:51], 0, 2
.LBB12_577:                             ;   in Loop: Header=BB12_551 Depth=2
	s_or_b64 exec, exec, s[26:27]
	s_and_saveexec_b64 s[24:25], s[4:5]
	s_cbranch_execz .LBB12_596
; %bb.578:                              ;   in Loop: Header=BB12_551 Depth=2
	s_and_saveexec_b64 s[26:27], s[40:41]
	s_xor_b64 s[26:27], exec, s[26:27]
	s_cbranch_execz .LBB12_593
; %bb.579:                              ;   in Loop: Header=BB12_551 Depth=2
	s_and_saveexec_b64 s[28:29], s[12:13]
	s_cbranch_execz .LBB12_592
; %bb.580:                              ;   in Loop: Header=BB12_551 Depth=2
	s_mov_b64 s[58:59], exec
	v_mbcnt_lo_u32_b32 v2, s58, 0
	v_mbcnt_hi_u32_b32 v2, s59, v2
	v_cmp_eq_u32_e32 vcc, 0, v2
	s_waitcnt lgkmcnt(0)
	s_and_saveexec_b64 s[56:57], vcc
	s_cbranch_execz .LBB12_582
; %bb.581:                              ;   in Loop: Header=BB12_551 Depth=2
	s_bcnt1_i32_b64 vcc_lo, s[58:59]
	v_mov_b32_e32 v38, vcc_lo
	ds_add_u64 v0, v[38:39]
	s_trap 2
.LBB12_582:                             ;   in Loop: Header=BB12_551 Depth=2
	s_or_b64 exec, exec, s[56:57]
	s_trap 2
	ds_read_b64 v[2:3], v0
	v_lshl_add_u64 v[14:15], v[14:15], 0, v[48:49]
	s_waitcnt lgkmcnt(0)
	v_cmp_lt_u64_e32 vcc, v[2:3], v[14:15]
	s_and_saveexec_b64 s[56:57], vcc
	s_cbranch_execz .LBB12_591
; %bb.583:                              ;   in Loop: Header=BB12_551 Depth=2
	s_mov_b32 s76, 0
	s_mov_b64 s[58:59], 0
                                        ; implicit-def: $sgpr60_sgpr61
                                        ; implicit-def: $sgpr62_sgpr63
	s_branch .LBB12_585
.LBB12_584:                             ;   in Loop: Header=BB12_585 Depth=3
	s_or_b64 exec, exec, s[66:67]
	s_and_b64 vcc, exec, vcc
	s_or_b64 s[58:59], vcc, s[58:59]
	s_andn2_b64 vcc, s[60:61], exec
	s_and_b64 s[60:61], s[62:63], exec
	s_or_b64 s[60:61], vcc, s[60:61]
	s_andn2_b64 exec, exec, s[58:59]
	s_cbranch_execz .LBB12_589
.LBB12_585:                             ;   Parent Loop BB12_81 Depth=1
                                        ;     Parent Loop BB12_551 Depth=2
                                        ; =>    This Inner Loop Header: Depth=3
	s_add_i32 s76, s76, 1
	s_cmpk_lg_i32 s76, 0x2710
	s_cselect_b64 s[64:65], -1, 0
	s_and_b64 vcc, exec, s[64:65]
                                        ; implicit-def: $sgpr66_sgpr67
	s_cbranch_vccnz .LBB12_587
; %bb.586:                              ;   in Loop: Header=BB12_585 Depth=3
	s_trap 2
	ds_read_b64 v[2:3], v0
	s_andn2_b64 s[64:65], s[64:65], exec
	s_mov_b32 s76, 0
	s_mov_b64 s[66:67], -1
	s_waitcnt vmcnt(0) lgkmcnt(0)
	flat_load_dword v2, v[2:3] sc0 sc1
	s_waitcnt vmcnt(0) lgkmcnt(0)
	buffer_inv sc0 sc1
	v_cmp_eq_u32_e32 vcc, 0, v2
	s_and_b64 vcc, vcc, exec
	s_or_b64 s[64:65], s[64:65], vcc
.LBB12_587:                             ;   in Loop: Header=BB12_585 Depth=3
	s_andn2_b64 s[62:63], s[62:63], exec
	s_and_b64 s[66:67], s[66:67], exec
	s_mov_b64 vcc, -1
	s_or_b64 s[62:63], s[62:63], s[66:67]
	s_and_saveexec_b64 s[66:67], s[64:65]
	s_cbranch_execz .LBB12_584
; %bb.588:                              ;   in Loop: Header=BB12_585 Depth=3
	s_sleep 1
	s_trap 2
	ds_read_b64 v[2:3], v0
	s_andn2_b64 s[62:63], s[62:63], exec
	s_waitcnt lgkmcnt(0)
	v_cmp_ge_u64_e32 vcc, v[2:3], v[14:15]
	s_orn2_b64 vcc, vcc, exec
	s_branch .LBB12_584
.LBB12_589:                             ;   in Loop: Header=BB12_551 Depth=2
	s_or_b64 exec, exec, s[58:59]
	s_and_saveexec_b64 vcc, s[60:61]
	s_xor_b64 vcc, exec, vcc
	s_cbranch_execz .LBB12_591
; %bb.590:                              ;   in Loop: Header=BB12_551 Depth=2
	ds_write_b32 v0, v53
	s_trap 2
.LBB12_591:                             ;   in Loop: Header=BB12_551 Depth=2
	s_or_b64 exec, exec, s[56:57]
	;;#ASMSTART
	s_wakeup
	;;#ASMEND
.LBB12_592:                             ;   in Loop: Header=BB12_551 Depth=2
	s_or_b64 exec, exec, s[28:29]
.LBB12_593:                             ;   in Loop: Header=BB12_551 Depth=2
	s_andn2_saveexec_b64 s[26:27], s[26:27]
	s_cbranch_execz .LBB12_595
; %bb.594:                              ;   in Loop: Header=BB12_551 Depth=2
	s_waitcnt lgkmcnt(0)
	s_barrier
.LBB12_595:                             ;   in Loop: Header=BB12_551 Depth=2
	s_or_b64 exec, exec, s[26:27]
.LBB12_596:                             ;   in Loop: Header=BB12_551 Depth=2
	s_or_b64 exec, exec, s[24:25]
	s_trap 2
	ds_read_b32 v2, v0
	v_and_b32_e32 v3, 0x4000, v62
	v_cmp_ne_u32_e32 vcc, 0, v3
	s_xor_b64 s[24:25], s[2:3], -1
	s_and_b64 s[26:27], s[24:25], vcc
	s_and_saveexec_b64 s[24:25], s[26:27]
	s_cbranch_execz .LBB12_615
; %bb.597:                              ;   in Loop: Header=BB12_551 Depth=2
	s_and_saveexec_b64 s[26:27], s[40:41]
	s_xor_b64 s[26:27], exec, s[26:27]
	s_cbranch_execz .LBB12_612
; %bb.598:                              ;   in Loop: Header=BB12_551 Depth=2
	s_and_saveexec_b64 s[28:29], s[12:13]
	s_cbranch_execz .LBB12_611
; %bb.599:                              ;   in Loop: Header=BB12_551 Depth=2
	s_mov_b64 s[58:59], exec
	v_mbcnt_lo_u32_b32 v3, s58, 0
	v_mbcnt_hi_u32_b32 v3, s59, v3
	v_cmp_eq_u32_e32 vcc, 0, v3
	s_waitcnt lgkmcnt(0)
	s_and_saveexec_b64 s[56:57], vcc
	s_cbranch_execz .LBB12_601
; %bb.600:                              ;   in Loop: Header=BB12_551 Depth=2
	s_bcnt1_i32_b64 vcc_lo, s[58:59]
	v_mov_b32_e32 v38, vcc_lo
	ds_add_u64 v0, v[38:39]
	s_trap 2
.LBB12_601:                             ;   in Loop: Header=BB12_551 Depth=2
	s_or_b64 exec, exec, s[56:57]
	s_trap 2
	ds_read_b64 v[4:5], v0
	v_lshl_add_u64 v[14:15], v[14:15], 0, v[48:49]
	s_waitcnt lgkmcnt(0)
	v_cmp_lt_u64_e32 vcc, v[4:5], v[14:15]
	s_and_saveexec_b64 s[56:57], vcc
	s_cbranch_execz .LBB12_610
; %bb.602:                              ;   in Loop: Header=BB12_551 Depth=2
	s_mov_b32 s76, 0
	s_mov_b64 s[58:59], 0
                                        ; implicit-def: $sgpr60_sgpr61
                                        ; implicit-def: $sgpr62_sgpr63
	s_branch .LBB12_604
.LBB12_603:                             ;   in Loop: Header=BB12_604 Depth=3
	s_or_b64 exec, exec, s[66:67]
	s_and_b64 vcc, exec, vcc
	s_or_b64 s[58:59], vcc, s[58:59]
	s_andn2_b64 vcc, s[60:61], exec
	s_and_b64 s[60:61], s[62:63], exec
	s_or_b64 s[60:61], vcc, s[60:61]
	s_andn2_b64 exec, exec, s[58:59]
	s_cbranch_execz .LBB12_608
.LBB12_604:                             ;   Parent Loop BB12_81 Depth=1
                                        ;     Parent Loop BB12_551 Depth=2
                                        ; =>    This Inner Loop Header: Depth=3
	s_add_i32 s76, s76, 1
	s_cmpk_lg_i32 s76, 0x2710
	s_cselect_b64 s[64:65], -1, 0
	s_and_b64 vcc, exec, s[64:65]
                                        ; implicit-def: $sgpr66_sgpr67
	s_cbranch_vccnz .LBB12_606
; %bb.605:                              ;   in Loop: Header=BB12_604 Depth=3
	s_trap 2
	ds_read_b64 v[4:5], v0
	s_andn2_b64 s[64:65], s[64:65], exec
	s_mov_b32 s76, 0
	s_mov_b64 s[66:67], -1
	s_waitcnt vmcnt(0) lgkmcnt(0)
	flat_load_dword v3, v[4:5] sc0 sc1
	s_waitcnt vmcnt(0) lgkmcnt(0)
	buffer_inv sc0 sc1
	v_cmp_eq_u32_e32 vcc, 0, v3
	s_and_b64 vcc, vcc, exec
	s_or_b64 s[64:65], s[64:65], vcc
.LBB12_606:                             ;   in Loop: Header=BB12_604 Depth=3
	s_andn2_b64 s[62:63], s[62:63], exec
	s_and_b64 s[66:67], s[66:67], exec
	s_mov_b64 vcc, -1
	s_or_b64 s[62:63], s[62:63], s[66:67]
	s_and_saveexec_b64 s[66:67], s[64:65]
	s_cbranch_execz .LBB12_603
; %bb.607:                              ;   in Loop: Header=BB12_604 Depth=3
	s_sleep 1
	s_trap 2
	ds_read_b64 v[4:5], v0
	s_andn2_b64 s[62:63], s[62:63], exec
	s_waitcnt lgkmcnt(0)
	v_cmp_ge_u64_e32 vcc, v[4:5], v[14:15]
	s_orn2_b64 vcc, vcc, exec
	s_branch .LBB12_603
.LBB12_608:                             ;   in Loop: Header=BB12_551 Depth=2
	s_or_b64 exec, exec, s[58:59]
	s_and_saveexec_b64 vcc, s[60:61]
	s_xor_b64 vcc, exec, vcc
	s_cbranch_execz .LBB12_610
; %bb.609:                              ;   in Loop: Header=BB12_551 Depth=2
	ds_write_b32 v0, v53
	s_trap 2
.LBB12_610:                             ;   in Loop: Header=BB12_551 Depth=2
	s_or_b64 exec, exec, s[56:57]
	;;#ASMSTART
	s_wakeup
	;;#ASMEND
.LBB12_611:                             ;   in Loop: Header=BB12_551 Depth=2
	s_or_b64 exec, exec, s[28:29]
.LBB12_612:                             ;   in Loop: Header=BB12_551 Depth=2
	s_andn2_saveexec_b64 s[26:27], s[26:27]
	s_cbranch_execz .LBB12_614
; %bb.613:                              ;   in Loop: Header=BB12_551 Depth=2
	s_waitcnt lgkmcnt(0)
	s_barrier
.LBB12_614:                             ;   in Loop: Header=BB12_551 Depth=2
	s_or_b64 exec, exec, s[26:27]
.LBB12_615:                             ;   in Loop: Header=BB12_551 Depth=2
	s_or_b64 exec, exec, s[24:25]
	s_trap 2
	ds_read_b64 v[4:5], v0
	v_mov_b32_e32 v23, 0
	s_waitcnt lgkmcnt(0)
	v_readfirstlane_b32 s24, v4
	v_readfirstlane_b32 s25, v5
	s_cmp_eq_u64 s[24:25], 0
	s_cselect_b64 s[24:25], -1, 0
	s_or_b64 s[24:25], s[24:25], s[24:25]
	s_and_b64 vcc, exec, s[24:25]
	s_cbranch_vccnz .LBB12_624
; %bb.616:                              ;   in Loop: Header=BB12_551 Depth=2
	s_trap 2
	ds_read_b64 v[4:5], v0
	v_cmp_eq_u32_e64 s[24:25], 0, v2
	s_waitcnt lgkmcnt(0)
	v_cmp_ne_u64_e32 vcc, 0, v[4:5]
	v_cndmask_b32_e64 v23, 0, v54, s[24:25]
	s_cbranch_vccz .LBB12_636
; %bb.617:                              ;   in Loop: Header=BB12_551 Depth=2
	s_mov_b64 s[26:27], -1
	s_and_saveexec_b64 s[24:25], s[18:19]
	s_cbranch_execz .LBB12_619
; %bb.618:                              ;   in Loop: Header=BB12_551 Depth=2
	ds_read_b32 v2, v0 offset:720
	s_waitcnt lgkmcnt(0)
	v_and_b32_e32 v2, 15, v2
	v_cmp_eq_u32_e32 vcc, 0, v2
	s_orn2_b64 s[26:27], vcc, exec
.LBB12_619:                             ;   in Loop: Header=BB12_551 Depth=2
	s_or_b64 exec, exec, s[24:25]
	s_and_saveexec_b64 s[24:25], s[16:17]
	s_cbranch_execz .LBB12_621
; %bb.620:                              ;   in Loop: Header=BB12_551 Depth=2
	ds_read_b32 v2, v0 offset:784
	s_waitcnt lgkmcnt(0)
	v_and_b32_e32 v2, 15, v2
	v_cmp_eq_u32_e32 vcc, 0, v2
	s_and_b64 s[28:29], s[26:27], vcc
	s_andn2_b64 s[26:27], s[26:27], exec
	s_and_b64 s[28:29], s[28:29], exec
	s_or_b64 s[26:27], s[26:27], s[28:29]
.LBB12_621:                             ;   in Loop: Header=BB12_551 Depth=2
	s_or_b64 exec, exec, s[24:25]
	s_xor_b64 s[26:27], s[26:27], -1
	v_cndmask_b32_e64 v2, 0, 1, s[26:27]
	;;#ASMSTART
	;;#ASMEND
	s_mov_b64 s[24:25], -1
	v_cmp_ne_u32_e32 vcc, 0, v2
	v_mov_b32_e32 v10, 0
	v_mov_b32_e32 v11, v23
	;; [unrolled: 1-line block ×4, first 2 shown]
	s_cbranch_vccz .LBB12_637
; %bb.622:                              ;   in Loop: Header=BB12_551 Depth=2
	s_and_saveexec_b64 s[28:29], s[24:25]
	s_cbranch_execnz .LBB12_652
.LBB12_623:                             ;   in Loop: Header=BB12_551 Depth=2
	s_or_b64 exec, exec, s[28:29]
.LBB12_624:                             ;   in Loop: Header=BB12_551 Depth=2
	s_and_saveexec_b64 s[24:25], s[4:5]
	s_cbranch_execz .LBB12_670
.LBB12_625:                             ;   in Loop: Header=BB12_551 Depth=2
	s_and_saveexec_b64 s[26:27], s[40:41]
	s_xor_b64 s[26:27], exec, s[26:27]
	s_cbranch_execz .LBB12_700
; %bb.626:                              ;   in Loop: Header=BB12_551 Depth=2
	s_and_saveexec_b64 s[28:29], s[12:13]
	s_cbranch_execz .LBB12_699
; %bb.627:                              ;   in Loop: Header=BB12_551 Depth=2
	s_mov_b64 s[58:59], exec
	v_mbcnt_lo_u32_b32 v2, s58, 0
	v_mbcnt_hi_u32_b32 v2, s59, v2
	v_cmp_eq_u32_e32 vcc, 0, v2
	s_waitcnt lgkmcnt(0)
	s_and_saveexec_b64 s[56:57], vcc
	s_cbranch_execz .LBB12_629
; %bb.628:                              ;   in Loop: Header=BB12_551 Depth=2
	s_bcnt1_i32_b64 vcc_lo, s[58:59]
	v_mov_b32_e32 v38, vcc_lo
	ds_add_u64 v0, v[38:39]
	s_trap 2
.LBB12_629:                             ;   in Loop: Header=BB12_551 Depth=2
	s_or_b64 exec, exec, s[56:57]
	s_trap 2
	ds_read_b64 v[2:3], v0
	v_lshl_add_u64 v[14:15], v[14:15], 0, v[48:49]
	s_waitcnt lgkmcnt(0)
	v_cmp_lt_u64_e32 vcc, v[2:3], v[14:15]
	s_and_saveexec_b64 s[56:57], vcc
	s_cbranch_execz .LBB12_698
; %bb.630:                              ;   in Loop: Header=BB12_551 Depth=2
	s_mov_b32 s76, 0
	s_mov_b64 s[58:59], 0
                                        ; implicit-def: $sgpr60_sgpr61
                                        ; implicit-def: $sgpr62_sgpr63
	s_branch .LBB12_632
.LBB12_631:                             ;   in Loop: Header=BB12_632 Depth=3
	s_or_b64 exec, exec, s[66:67]
	s_and_b64 vcc, exec, vcc
	s_or_b64 s[58:59], vcc, s[58:59]
	s_andn2_b64 vcc, s[60:61], exec
	s_and_b64 s[60:61], s[62:63], exec
	s_or_b64 s[60:61], vcc, s[60:61]
	s_andn2_b64 exec, exec, s[58:59]
	s_cbranch_execz .LBB12_696
.LBB12_632:                             ;   Parent Loop BB12_81 Depth=1
                                        ;     Parent Loop BB12_551 Depth=2
                                        ; =>    This Inner Loop Header: Depth=3
	s_add_i32 s76, s76, 1
	s_cmpk_lg_i32 s76, 0x2710
	s_cselect_b64 s[64:65], -1, 0
	s_and_b64 vcc, exec, s[64:65]
                                        ; implicit-def: $sgpr66_sgpr67
	s_cbranch_vccnz .LBB12_634
; %bb.633:                              ;   in Loop: Header=BB12_632 Depth=3
	s_trap 2
	ds_read_b64 v[2:3], v0
	s_andn2_b64 s[64:65], s[64:65], exec
	s_mov_b32 s76, 0
	s_mov_b64 s[66:67], -1
	s_waitcnt vmcnt(0) lgkmcnt(0)
	flat_load_dword v2, v[2:3] sc0 sc1
	s_waitcnt vmcnt(0) lgkmcnt(0)
	buffer_inv sc0 sc1
	v_cmp_eq_u32_e32 vcc, 0, v2
	s_and_b64 vcc, vcc, exec
	s_or_b64 s[64:65], s[64:65], vcc
.LBB12_634:                             ;   in Loop: Header=BB12_632 Depth=3
	s_andn2_b64 s[62:63], s[62:63], exec
	s_and_b64 s[66:67], s[66:67], exec
	s_mov_b64 vcc, -1
	s_or_b64 s[62:63], s[62:63], s[66:67]
	s_and_saveexec_b64 s[66:67], s[64:65]
	s_cbranch_execz .LBB12_631
; %bb.635:                              ;   in Loop: Header=BB12_632 Depth=3
	s_sleep 1
	s_trap 2
	ds_read_b64 v[2:3], v0
	s_andn2_b64 s[62:63], s[62:63], exec
	s_waitcnt lgkmcnt(0)
	v_cmp_ge_u64_e32 vcc, v[2:3], v[14:15]
	s_orn2_b64 vcc, vcc, exec
	s_branch .LBB12_631
.LBB12_636:                             ;   in Loop: Header=BB12_551 Depth=2
	s_cbranch_execnz .LBB12_663
	s_branch .LBB12_624
.LBB12_637:                             ;   in Loop: Header=BB12_551 Depth=2
	v_ashrrev_i32_e32 v2, 31, v23
	v_lshrrev_b32_e32 v2, 21, v2
	v_add_u32_e32 v2, v23, v2
	v_ashrrev_i32_e32 v9, 11, v2
	v_sub_u32_e32 v8, v9, v28
	v_cmp_lt_i32_e32 vcc, 0, v8
	s_and_saveexec_b64 s[24:25], vcc
	s_cbranch_execz .LBB12_641
; %bb.638:                              ;   in Loop: Header=BB12_551 Depth=2
	s_trap 2
	ds_read_b64 v[2:3], v0
	ds_read_b128 v[4:7], v0
	v_accvgpr_read_b32 v10, a38
	v_accvgpr_read_b32 v11, a39
	s_mov_b64 s[26:27], 0
	s_waitcnt lgkmcnt(0)
	v_lshl_add_u64 v[2:3], v[2:3], 0, v[10:11]
	v_lshl_add_u64 v[4:5], v[4:5], 0, v[10:11]
	;; [unrolled: 1-line block ×3, first 2 shown]
.LBB12_639:                             ;   Parent Loop BB12_81 Depth=1
                                        ;     Parent Loop BB12_551 Depth=2
                                        ; =>    This Inner Loop Header: Depth=3
	global_load_dwordx4 v[28:31], v[2:3], off nt
	global_load_dwordx4 v[32:35], v[2:3], off offset:1024 nt
	v_sub_u32_e32 v8, v8, v48
	v_cmp_gt_i32_e32 vcc, 1, v8
	v_lshl_add_u64 v[2:3], v[2:3], 0, v[46:47]
	s_or_b64 s[26:27], vcc, s[26:27]
	s_waitcnt vmcnt(0)
	global_store_dwordx4 v[4:5], v[28:31], off nt
	global_store_dwordx4 v[4:5], v[32:35], off offset:1024 nt
	global_store_dwordx4 v[6:7], v[28:31], off nt
	global_store_dwordx4 v[6:7], v[32:35], off offset:1024 nt
	v_lshl_add_u64 v[4:5], v[4:5], 0, v[46:47]
	v_lshl_add_u64 v[6:7], v[6:7], 0, v[46:47]
	s_andn2_b64 exec, exec, s[26:27]
	s_cbranch_execnz .LBB12_639
; %bb.640:                              ;   in Loop: Header=BB12_551 Depth=2
	s_or_b64 exec, exec, s[26:27]
	v_accvgpr_read_b32 v35, a25
	v_accvgpr_read_b32 v33, a27
	;; [unrolled: 1-line block ×5, first 2 shown]
.LBB12_641:                             ;   in Loop: Header=BB12_551 Depth=2
	s_or_b64 exec, exec, s[24:25]
	v_lshlrev_b32_e32 v30, 11, v9
	v_cmp_ne_u32_e32 vcc, v23, v30
	s_mov_b64 s[24:25], 0
	v_mov_b32_e32 v10, 0
                                        ; implicit-def: $vgpr11
                                        ; implicit-def: $vgpr38
                                        ; implicit-def: $vgpr2
	s_and_saveexec_b64 s[56:57], vcc
	s_cbranch_execz .LBB12_651
; %bb.642:                              ;   in Loop: Header=BB12_551 Depth=2
	v_lshlrev_b32_e32 v2, 6, v8
	v_accvgpr_read_b32 v4, a36
	v_sub_u32_e32 v2, v4, v2
	v_ashrrev_i32_e32 v4, 31, v2
	v_lshrrev_b32_e32 v4, 26, v4
	v_add_u32_e32 v4, v2, v4
	v_sub_u32_e32 v3, v23, v30
	v_ashrrev_i32_e32 v5, 6, v4
	v_and_b32_e32 v4, 0xffffffc0, v4
	v_sub_u32_e32 v31, v2, v4
	v_ashrrev_i32_e32 v4, 31, v3
	v_lshrrev_b32_e32 v4, 22, v4
	v_add_u32_e32 v4, v3, v4
	v_and_b32_e32 v55, 0xfffffc00, v4
	v_lshlrev_b32_e32 v2, 4, v31
	v_sub_u32_e32 v20, v3, v55
	v_lshl_add_u32 v2, v5, 10, v2
	v_ashrrev_i32_e32 v6, 10, v4
	v_cmp_lt_i32_e64 s[24:25], 15, v20
	v_sub_u32_e32 v21, v3, v2
	s_nop 0
	v_addc_co_u32_e64 v3, vcc, 0, v6, s[24:25]
	v_sub_u32_e32 v45, v3, v5
	v_cmp_lt_i32_e32 vcc, 15, v21
	s_and_saveexec_b64 s[58:59], vcc
	s_cbranch_execz .LBB12_648
; %bb.643:                              ;   in Loop: Header=BB12_551 Depth=2
	s_trap 2
	ds_read_b64 v[8:9], v0
	ds_read_b128 v[4:7], v0
	v_add_u32_e32 v2, v2, v30
	v_ashrrev_i32_e32 v3, 31, v2
	s_mov_b64 s[60:61], 0
	s_waitcnt lgkmcnt(0)
	v_lshl_add_u64 v[8:9], v[8:9], 0, v[2:3]
	v_lshl_add_u64 v[10:11], v[4:5], 0, v[2:3]
	;; [unrolled: 1-line block ×3, first 2 shown]
.LBB12_644:                             ;   Parent Loop BB12_81 Depth=1
                                        ;     Parent Loop BB12_551 Depth=2
                                        ; =>    This Loop Header: Depth=3
                                        ;         Child Loop BB12_645 Depth 4
	global_load_dwordx4 v[2:5], v[8:9], off nt
	s_mov_b64 s[64:65], -1
	s_mov_b64 s[62:63], 0
	s_waitcnt vmcnt(0)
.LBB12_645:                             ;   Parent Loop BB12_81 Depth=1
                                        ;     Parent Loop BB12_551 Depth=2
                                        ;       Parent Loop BB12_644 Depth=3
                                        ; =>      This Inner Loop Header: Depth=4
	s_cmp_eq_u32 s62, 0
	s_cselect_b64 s[26:27], -1, 0
	s_cmp_eq_u32 s62, 1
	v_cndmask_b32_e64 v28, 0, 1, s[64:65]
	s_cselect_b64 s[28:29], -1, 0
	v_cmp_ne_u32_e32 vcc, 1, v28
	v_cndmask_b32_e64 v29, v11, v7, s[28:29]
	v_cndmask_b32_e64 v28, v10, v6, s[28:29]
	global_store_dwordx4 v[28:29], v[2:5], off nt
	v_lshl_add_u64 v[28:29], v[28:29], 0, s[42:43]
	s_mov_b64 s[64:65], 0
	s_mov_b64 s[62:63], 1
	s_and_b64 vcc, exec, vcc
	v_cndmask_b32_e64 v7, v7, v29, s[28:29]
	v_cndmask_b32_e64 v6, v6, v28, s[28:29]
	;; [unrolled: 1-line block ×4, first 2 shown]
	s_cbranch_vccz .LBB12_645
; %bb.646:                              ;   in Loop: Header=BB12_644 Depth=3
	v_sub_u32_e32 v21, v21, v22
	v_cmp_gt_i32_e32 vcc, 16, v21
	v_lshl_add_u64 v[10:11], v[10:11], 0, v[42:43]
	v_lshl_add_u64 v[6:7], v[6:7], 0, v[42:43]
	;; [unrolled: 1-line block ×3, first 2 shown]
	s_or_b64 s[60:61], vcc, s[60:61]
	v_sub_u32_e32 v45, v45, v48
	s_andn2_b64 exec, exec, s[60:61]
	s_cbranch_execnz .LBB12_644
; %bb.647:                              ;   in Loop: Header=BB12_551 Depth=2
	s_or_b64 exec, exec, s[60:61]
	v_accvgpr_read_b32 v28, a23
.LBB12_648:                             ;   in Loop: Header=BB12_551 Depth=2
	s_or_b64 exec, exec, s[58:59]
	v_and_b32_e32 v3, 15, v23
	v_cndmask_b32_e64 v11, v20, v3, s[24:25]
	v_cmp_ne_u32_e32 vcc, 0, v11
	s_mov_b64 s[26:27], 0
	v_mov_b32_e32 v10, 0
                                        ; implicit-def: $vgpr38
                                        ; implicit-def: $vgpr2
	s_and_saveexec_b64 s[28:29], vcc
	s_cbranch_execz .LBB12_650
; %bb.649:                              ;   in Loop: Header=BB12_551 Depth=2
	v_sub_u32_e32 v2, v20, v3
	v_cndmask_b32_e64 v2, 0, v2, s[24:25]
	v_cmp_lt_i32_e32 vcc, 0, v45
	v_add3_u32 v10, v55, v30, v2
	s_mov_b64 s[26:27], exec
	v_cndmask_b32_e32 v2, 0, v48, vcc
	v_sub_u32_e32 v2, v2, v45
	v_lshl_add_u32 v38, v2, 6, v31
	v_ashrrev_i32_e32 v2, 31, v38
	v_lshrrev_b32_e32 v2, 26, v2
	v_add_u32_e32 v2, v38, v2
	v_ashrrev_i32_e32 v2, 6, v2
.LBB12_650:                             ;   in Loop: Header=BB12_551 Depth=2
	s_or_b64 exec, exec, s[28:29]
	s_and_b64 s[24:25], s[26:27], exec
.LBB12_651:                             ;   in Loop: Header=BB12_551 Depth=2
	s_or_b64 exec, exec, s[56:57]
	s_and_saveexec_b64 s[28:29], s[24:25]
	s_cbranch_execz .LBB12_623
.LBB12_652:                             ;   in Loop: Header=BB12_551 Depth=2
	v_ashrrev_i32_e32 v3, 31, v11
	v_lshrrev_b32_e32 v3, 22, v3
	v_add_u32_e32 v3, v11, v3
	v_ashrrev_i32_e32 v30, 10, v3
	v_sub_u32_e32 v55, v30, v2
	v_ashrrev_i32_e32 v3, 31, v38
	v_cmp_lt_i32_e32 vcc, 0, v55
	v_lshrrev_b32_e32 v45, 26, v3
	s_and_saveexec_b64 s[24:25], vcc
	s_cbranch_execz .LBB12_656
; %bb.653:                              ;   in Loop: Header=BB12_551 Depth=2
	s_trap 2
	v_add_u32_e32 v3, v38, v45
	ds_read_b64 v[8:9], v0
	ds_read_b128 v[4:7], v0
	v_and_b32_e32 v3, 0xffffffc0, v3
	v_sub_u32_e32 v3, v38, v3
	v_lshlrev_b32_e32 v2, 10, v2
	v_add3_u32 v20, v10, v3, v2
	v_ashrrev_i32_e32 v21, 31, v20
	s_waitcnt lgkmcnt(0)
	v_lshl_add_u64 v[2:3], v[4:5], 0, v[20:21]
	v_lshl_add_u64 v[4:5], v[6:7], 0, v[20:21]
	;; [unrolled: 1-line block ×4, first 2 shown]
	s_mov_b64 s[26:27], 0
.LBB12_654:                             ;   Parent Loop BB12_81 Depth=1
                                        ;     Parent Loop BB12_551 Depth=2
                                        ; =>    This Inner Loop Header: Depth=3
	v_add_co_u32_e32 v6, vcc, 0xfffffc40, v8
	flat_load_ubyte v20, v[8:9] nt
	s_nop 0
	v_addc_co_u32_e32 v7, vcc, -1, v9, vcc
	v_add_co_u32_e32 v28, vcc, 0xfffffc80, v8
	flat_load_ubyte v21, v[6:7] nt
	s_nop 0
	v_addc_co_u32_e32 v29, vcc, -1, v9, vcc
	;; [unrolled: 4-line block ×15, first 2 shown]
	flat_load_ubyte v6, v[6:7] nt
	v_sub_u32_e32 v55, v55, v48
	v_cmp_gt_i32_e32 vcc, 1, v55
	s_or_b64 s[26:27], vcc, s[26:27]
	v_lshl_add_u64 v[8:9], v[8:9], 0, v[60:61]
	s_waitcnt vmcnt(0) lgkmcnt(0)
	flat_store_byte v[2:3], v20 offset:960 nt
	flat_store_byte v[2:3], v21 nt
	flat_store_byte v[2:3], v31 offset:64 nt
	flat_store_byte v[2:3], v32 offset:128 nt
	;; [unrolled: 1-line block ×14, first 2 shown]
	flat_store_byte v[4:5], v21 nt
	flat_store_byte v[4:5], v31 offset:64 nt
	flat_store_byte v[4:5], v32 offset:128 nt
	;; [unrolled: 1-line block ×15, first 2 shown]
	v_lshl_add_u64 v[2:3], v[2:3], 0, v[60:61]
	v_lshl_add_u64 v[4:5], v[4:5], 0, v[60:61]
	s_andn2_b64 exec, exec, s[26:27]
	s_cbranch_execnz .LBB12_654
; %bb.655:                              ;   in Loop: Header=BB12_551 Depth=2
	s_or_b64 exec, exec, s[26:27]
	v_accvgpr_read_b32 v41, a21
	v_accvgpr_read_b32 v35, a25
	;; [unrolled: 1-line block ×9, first 2 shown]
	v_mov_b32_e32 v53, 1
	v_accvgpr_read_b32 v42, a32
	v_accvgpr_read_b32 v28, a23
.LBB12_656:                             ;   in Loop: Header=BB12_551 Depth=2
	s_or_b64 exec, exec, s[24:25]
	v_lshlrev_b32_e32 v2, 10, v30
	v_cmp_ne_u32_e32 vcc, v11, v2
	s_and_saveexec_b64 s[56:57], vcc
	s_cbranch_execz .LBB12_662
; %bb.657:                              ;   in Loop: Header=BB12_551 Depth=2
	v_add_u32_e32 v3, v38, v45
	v_and_b32_e32 v3, 0xffffffc0, v3
	v_sub_u32_e32 v3, v38, v3
	v_lshlrev_b32_e32 v4, 6, v55
	v_sub_u32_e32 v3, v3, v4
	v_add_u32_e32 v2, v2, v3
	v_sub_u32_e32 v8, v11, v2
	v_cmp_lt_i32_e32 vcc, 0, v8
	s_and_b64 exec, exec, vcc
	s_cbranch_execz .LBB12_662
; %bb.658:                              ;   in Loop: Header=BB12_551 Depth=2
	s_trap 2
	ds_read_b64 v[20:21], v0
	ds_read_b128 v[4:7], v0
	v_add_u32_e32 v10, v2, v10
	v_ashrrev_i32_e32 v11, 31, v10
	s_mov_b64 s[58:59], 0
	s_waitcnt lgkmcnt(0)
	v_lshl_add_u64 v[2:3], v[20:21], 0, v[10:11]
	v_lshl_add_u64 v[4:5], v[4:5], 0, v[10:11]
	;; [unrolled: 1-line block ×3, first 2 shown]
.LBB12_659:                             ;   Parent Loop BB12_81 Depth=1
                                        ;     Parent Loop BB12_551 Depth=2
                                        ; =>    This Loop Header: Depth=3
                                        ;         Child Loop BB12_660 Depth 4
	flat_load_ubyte v9, v[2:3] nt
	s_mov_b64 s[60:61], -1
	s_mov_b64 s[62:63], 0
	s_waitcnt vmcnt(0)
.LBB12_660:                             ;   Parent Loop BB12_81 Depth=1
                                        ;     Parent Loop BB12_551 Depth=2
                                        ;       Parent Loop BB12_659 Depth=3
                                        ; =>      This Inner Loop Header: Depth=4
	s_cmp_eq_u32 s62, 1
	s_cselect_b64 vcc, -1, 0
	v_cndmask_b32_e32 v11, v5, v7, vcc
	s_cmp_eq_u32 s62, 0
	v_cndmask_b32_e32 v10, v4, v6, vcc
	s_waitcnt lgkmcnt(0)
	flat_store_byte v[10:11], v9 nt
	v_lshl_add_u64 v[10:11], v[10:11], 0, 64
	s_cselect_b64 s[24:25], -1, 0
	s_and_b64 s[26:27], exec, s[60:61]
	s_mov_b64 s[62:63], 1
	s_mov_b64 s[60:61], 0
	v_cndmask_b32_e32 v7, v7, v11, vcc
	v_cndmask_b32_e32 v6, v6, v10, vcc
	v_cndmask_b32_e64 v5, v5, v11, s[24:25]
	v_cndmask_b32_e64 v4, v4, v10, s[24:25]
	s_mov_b64 vcc, s[26:27]
	s_cbranch_vccnz .LBB12_660
; %bb.661:                              ;   in Loop: Header=BB12_659 Depth=3
	v_sub_u32_e32 v8, v8, v16
	v_cmp_gt_i32_e32 vcc, 1, v8
	v_lshl_add_u64 v[4:5], v[4:5], 0, v[12:13]
	v_lshl_add_u64 v[6:7], v[6:7], 0, v[12:13]
	s_or_b64 s[58:59], vcc, s[58:59]
	v_lshl_add_u64 v[2:3], v[56:57], 0, v[2:3]
	s_andn2_b64 exec, exec, s[58:59]
	s_cbranch_execnz .LBB12_659
.LBB12_662:                             ;   in Loop: Header=BB12_551 Depth=2
	s_or_b64 exec, exec, s[56:57]
	s_or_b64 exec, exec, s[28:29]
	s_branch .LBB12_624
.LBB12_663:                             ;   in Loop: Header=BB12_551 Depth=2
	s_mov_b64 s[24:25], -1
	s_and_saveexec_b64 s[26:27], s[18:19]
	s_cbranch_execz .LBB12_665
; %bb.664:                              ;   in Loop: Header=BB12_551 Depth=2
	ds_read_b32 v2, v0 offset:720
	s_waitcnt lgkmcnt(0)
	v_and_b32_e32 v2, 15, v2
	v_cmp_eq_u32_e32 vcc, 0, v2
	s_orn2_b64 s[24:25], vcc, exec
.LBB12_665:                             ;   in Loop: Header=BB12_551 Depth=2
	s_or_b64 exec, exec, s[26:27]
	s_and_saveexec_b64 s[26:27], s[14:15]
	s_cbranch_execz .LBB12_667
; %bb.666:                              ;   in Loop: Header=BB12_551 Depth=2
	ds_read_b32 v2, v0 offset:784
	s_waitcnt lgkmcnt(0)
	v_and_b32_e32 v2, 15, v2
	v_cmp_eq_u32_e32 vcc, 0, v2
	s_and_b64 s[28:29], s[24:25], vcc
	s_andn2_b64 s[24:25], s[24:25], exec
	s_and_b64 s[28:29], s[28:29], exec
	s_or_b64 s[24:25], s[24:25], s[28:29]
.LBB12_667:                             ;   in Loop: Header=BB12_551 Depth=2
	s_or_b64 exec, exec, s[26:27]
	s_xor_b64 s[24:25], s[24:25], -1
	v_cndmask_b32_e64 v2, 0, 1, s[24:25]
	s_mov_b64 s[28:29], -1
	;;#ASMSTART
	;;#ASMEND
	v_mov_b32_e32 v8, 0
	v_cmp_ne_u32_e32 vcc, 0, v2
	v_mov_b32_e32 v9, v23
	v_mov_b32_e32 v10, v0
	;; [unrolled: 1-line block ×3, first 2 shown]
	s_cbranch_vccz .LBB12_674
; %bb.668:                              ;   in Loop: Header=BB12_551 Depth=2
	s_and_saveexec_b64 s[24:25], s[28:29]
	s_cbranch_execnz .LBB12_687
.LBB12_669:                             ;   in Loop: Header=BB12_551 Depth=2
	s_or_b64 exec, exec, s[24:25]
	s_and_saveexec_b64 s[24:25], s[4:5]
	s_cbranch_execnz .LBB12_625
.LBB12_670:                             ;   in Loop: Header=BB12_551 Depth=2
	s_or_b64 exec, exec, s[24:25]
                                        ; implicit-def: $vgpr2
	s_and_saveexec_b64 s[24:25], s[20:21]
	s_xor_b64 s[26:27], exec, s[24:25]
	s_cbranch_execz .LBB12_703
.LBB12_671:                             ;   in Loop: Header=BB12_551 Depth=2
	v_and_b32_e32 v3, 16, v62
	v_cmp_lt_i32_e32 vcc, 0, v23
	v_cmp_ne_u32_e64 s[24:25], 0, v3
	v_and_b32_e32 v2, 16, v62
	s_and_b64 s[28:29], s[24:25], vcc
	s_and_saveexec_b64 s[24:25], s[28:29]
	s_cbranch_execz .LBB12_673
; %bb.672:                              ;   in Loop: Header=BB12_551 Depth=2
	v_mov_b32_e32 v2, 1
	buffer_wbl2 sc1
	s_waitcnt vmcnt(0) lgkmcnt(0)
	buffer_inv sc1
.LBB12_673:                             ;   in Loop: Header=BB12_551 Depth=2
	s_or_b64 exec, exec, s[24:25]
	s_andn2_saveexec_b64 s[24:25], s[26:27]
	s_cbranch_execz .LBB12_722
	s_branch .LBB12_704
.LBB12_674:                             ;   in Loop: Header=BB12_551 Depth=2
	v_ashrrev_i32_e32 v2, 31, v23
	v_lshrrev_b32_e32 v2, 20, v2
	v_add_u32_e32 v2, v23, v2
	v_ashrrev_i32_e32 v6, 12, v2
	v_sub_u32_e32 v7, v6, v28
	v_cmp_lt_i32_e32 vcc, 0, v7
	s_and_saveexec_b64 s[24:25], vcc
	s_cbranch_execz .LBB12_678
; %bb.675:                              ;   in Loop: Header=BB12_551 Depth=2
	s_trap 2
	ds_read_b64 v[2:3], v0
	s_mov_b64 s[26:27], 0
	s_waitcnt lgkmcnt(0)
	v_mov_b64_e32 v[4:5], v[2:3]
.LBB12_676:                             ;   Parent Loop BB12_81 Depth=1
                                        ;     Parent Loop BB12_551 Depth=2
                                        ; =>    This Inner Loop Header: Depth=3
	v_lshl_add_u64 v[20:21], v[24:25], 0, v[4:5]
	global_load_dwordx4 v[8:11], v[20:21], off nt
	global_load_dwordx4 v[28:31], v[20:21], off offset:1024 nt
	global_load_dwordx4 v[32:35], v[20:21], off offset:2048 nt
	;; [unrolled: 1-line block ×3, first 2 shown]
	v_sub_u32_e32 v7, v7, v48
	v_cmp_gt_i32_e32 vcc, 1, v7
	v_lshl_add_u64 v[20:21], v[24:25], 0, v[2:3]
	v_lshl_add_u64 v[4:5], v[4:5], 0, v[58:59]
	;; [unrolled: 1-line block ×3, first 2 shown]
	s_or_b64 s[26:27], vcc, s[26:27]
	s_waitcnt vmcnt(0)
	global_store_dwordx4 v[20:21], v[8:11], off nt
	global_store_dwordx4 v[20:21], v[28:31], off offset:1024 nt
	global_store_dwordx4 v[20:21], v[32:35], off offset:2048 nt
	;; [unrolled: 1-line block ×3, first 2 shown]
	s_andn2_b64 exec, exec, s[26:27]
	s_cbranch_execnz .LBB12_676
; %bb.677:                              ;   in Loop: Header=BB12_551 Depth=2
	s_or_b64 exec, exec, s[26:27]
	v_accvgpr_read_b32 v41, a21
	v_accvgpr_read_b32 v35, a25
	;; [unrolled: 1-line block ×10, first 2 shown]
.LBB12_678:                             ;   in Loop: Header=BB12_551 Depth=2
	s_or_b64 exec, exec, s[24:25]
	v_lshlrev_b32_e32 v6, 12, v6
	v_cmp_ne_u32_e32 vcc, v23, v6
	s_mov_b64 s[28:29], 0
	v_mov_b32_e32 v8, 0
                                        ; implicit-def: $vgpr9
                                        ; implicit-def: $vgpr10
                                        ; implicit-def: $vgpr4
	s_and_saveexec_b64 s[26:27], vcc
	s_cbranch_execz .LBB12_686
; %bb.679:                              ;   in Loop: Header=BB12_551 Depth=2
	v_lshlrev_b32_e32 v3, 6, v7
	v_accvgpr_read_b32 v4, a36
	v_sub_u32_e32 v3, v4, v3
	v_ashrrev_i32_e32 v4, 31, v3
	v_lshrrev_b32_e32 v4, 26, v4
	v_add_u32_e32 v4, v3, v4
	v_ashrrev_i32_e32 v5, 6, v4
	v_and_b32_e32 v4, 0xffffffc0, v4
	v_sub_u32_e32 v7, v3, v4
	v_sub_u32_e32 v2, v23, v6
	v_lshlrev_b32_e32 v3, 4, v7
	v_lshl_add_u32 v4, v5, 10, v3
	v_ashrrev_i32_e32 v3, 31, v2
	v_lshrrev_b32_e32 v3, 22, v3
	v_add_u32_e32 v3, v2, v3
	v_and_b32_e32 v11, 0xfffffc00, v3
	v_sub_u32_e32 v21, v2, v11
	v_ashrrev_i32_e32 v9, 10, v3
	v_cmp_lt_i32_e32 vcc, 15, v21
	v_sub_u32_e32 v8, v2, v4
	s_nop 0
	v_addc_co_u32_e64 v2, s[24:25], 0, v9, vcc
	v_sub_u32_e32 v20, v2, v5
	v_cmp_lt_i32_e64 s[24:25], 15, v8
	s_and_saveexec_b64 s[28:29], s[24:25]
	s_cbranch_execz .LBB12_683
; %bb.680:                              ;   in Loop: Header=BB12_551 Depth=2
	s_trap 2
	ds_read_b64 v[2:3], v0
	v_add_u32_e32 v4, v4, v6
	v_ashrrev_i32_e32 v5, 31, v4
	s_mov_b64 s[56:57], 0
.LBB12_681:                             ;   Parent Loop BB12_81 Depth=1
                                        ;     Parent Loop BB12_551 Depth=2
                                        ; =>    This Inner Loop Header: Depth=3
	s_waitcnt lgkmcnt(0)
	v_lshl_add_u64 v[32:33], v[2:3], 0, v[4:5]
	global_load_dwordx4 v[28:31], v[32:33], off nt
	v_sub_u32_e32 v8, v8, v22
	v_cmp_gt_i32_e64 s[24:25], 16, v8
	v_sub_u32_e32 v20, v20, v48
	v_lshl_add_u64 v[4:5], v[4:5], 0, v[60:61]
	s_or_b64 s[56:57], s[24:25], s[56:57]
	s_waitcnt vmcnt(0)
	global_store_dwordx4 v[32:33], v[28:31], off nt
	s_andn2_b64 exec, exec, s[56:57]
	s_cbranch_execnz .LBB12_681
; %bb.682:                              ;   in Loop: Header=BB12_551 Depth=2
	s_or_b64 exec, exec, s[56:57]
	v_accvgpr_read_b32 v33, a27
	v_accvgpr_read_b32 v32, a26
	;; [unrolled: 1-line block ×3, first 2 shown]
.LBB12_683:                             ;   in Loop: Header=BB12_551 Depth=2
	s_or_b64 exec, exec, s[28:29]
	v_and_b32_e32 v2, 15, v23
	v_cndmask_b32_e32 v9, v21, v2, vcc
	v_cmp_ne_u32_e64 s[24:25], 0, v9
	s_mov_b64 s[28:29], 0
	v_mov_b32_e32 v8, 0
                                        ; implicit-def: $vgpr10
                                        ; implicit-def: $vgpr4
	s_and_saveexec_b64 s[56:57], s[24:25]
	s_cbranch_execz .LBB12_685
; %bb.684:                              ;   in Loop: Header=BB12_551 Depth=2
	v_sub_u32_e32 v2, v21, v2
	v_cndmask_b32_e32 v2, 0, v2, vcc
	v_cmp_lt_i32_e32 vcc, 0, v20
	v_add3_u32 v8, v11, v6, v2
	s_mov_b64 s[28:29], exec
	v_cndmask_b32_e32 v2, 0, v48, vcc
	v_sub_u32_e32 v2, v2, v20
	v_lshl_add_u32 v10, v2, 6, v7
	v_ashrrev_i32_e32 v2, 31, v10
	v_lshrrev_b32_e32 v2, 26, v2
	v_add_u32_e32 v2, v10, v2
	v_ashrrev_i32_e32 v4, 6, v2
.LBB12_685:                             ;   in Loop: Header=BB12_551 Depth=2
	s_or_b64 exec, exec, s[56:57]
	s_and_b64 s[28:29], s[28:29], exec
.LBB12_686:                             ;   in Loop: Header=BB12_551 Depth=2
	s_or_b64 exec, exec, s[26:27]
	s_and_saveexec_b64 s[24:25], s[28:29]
	s_cbranch_execz .LBB12_669
.LBB12_687:                             ;   in Loop: Header=BB12_551 Depth=2
	v_ashrrev_i32_e32 v2, 31, v9
	v_lshrrev_b32_e32 v2, 22, v2
	v_add_u32_e32 v2, v9, v2
	v_ashrrev_i32_e32 v20, 10, v2
	v_sub_u32_e32 v11, v20, v4
	v_cmp_lt_i32_e32 vcc, 0, v11
	s_and_saveexec_b64 s[26:27], vcc
	s_cbranch_execz .LBB12_691
; %bb.688:                              ;   in Loop: Header=BB12_551 Depth=2
	v_ashrrev_i32_e32 v5, 31, v10
	s_trap 2
	ds_read_b64 v[2:3], v0
	v_lshrrev_b32_e32 v5, 26, v5
	v_add_u32_e32 v5, v10, v5
	v_and_b32_e32 v5, 0xffffffc0, v5
	v_sub_u32_e32 v5, v10, v5
	v_lshlrev_b32_e32 v4, 10, v4
	v_add3_u32 v4, v8, v5, v4
	v_ashrrev_i32_e32 v5, 31, v4
	s_mov_b64 s[28:29], 0
	s_waitcnt lgkmcnt(0)
	v_mov_b64_e32 v[6:7], v[2:3]
.LBB12_689:                             ;   Parent Loop BB12_81 Depth=1
                                        ;     Parent Loop BB12_551 Depth=2
                                        ; =>    This Inner Loop Header: Depth=3
	v_lshl_add_u64 v[28:29], v[4:5], 0, v[6:7]
	flat_load_ubyte v21, v[28:29] nt
	flat_load_ubyte v30, v[28:29] offset:64 nt
	flat_load_ubyte v31, v[28:29] offset:128 nt
	;; [unrolled: 1-line block ×15, first 2 shown]
	v_sub_u32_e32 v11, v11, v48
	v_cmp_gt_i32_e32 vcc, 1, v11
	v_lshl_add_u64 v[28:29], v[4:5], 0, v[2:3]
	v_lshl_add_u64 v[6:7], v[6:7], 0, v[60:61]
	;; [unrolled: 1-line block ×3, first 2 shown]
	s_or_b64 s[28:29], vcc, s[28:29]
	s_waitcnt vmcnt(0) lgkmcnt(0)
	flat_store_byte v[28:29], v21 nt
	flat_store_byte v[28:29], v30 offset:64 nt
	flat_store_byte v[28:29], v31 offset:128 nt
	;; [unrolled: 1-line block ×15, first 2 shown]
	s_andn2_b64 exec, exec, s[28:29]
	s_cbranch_execnz .LBB12_689
; %bb.690:                              ;   in Loop: Header=BB12_551 Depth=2
	s_or_b64 exec, exec, s[28:29]
	v_accvgpr_read_b32 v41, a21
	v_accvgpr_read_b32 v35, a25
	;; [unrolled: 1-line block ×9, first 2 shown]
	v_mov_b32_e32 v53, 1
	v_accvgpr_read_b32 v42, a32
	v_accvgpr_read_b32 v28, a23
.LBB12_691:                             ;   in Loop: Header=BB12_551 Depth=2
	s_or_b64 exec, exec, s[26:27]
	v_lshlrev_b32_e32 v2, 10, v20
	v_cmp_ne_u32_e32 vcc, v9, v2
	s_and_saveexec_b64 s[26:27], vcc
	s_cbranch_execz .LBB12_695
; %bb.692:                              ;   in Loop: Header=BB12_551 Depth=2
	v_ashrrev_i32_e32 v3, 31, v10
	v_lshrrev_b32_e32 v3, 26, v3
	v_add_u32_e32 v3, v10, v3
	v_and_b32_e32 v3, 0xffffffc0, v3
	v_sub_u32_e32 v3, v10, v3
	v_lshlrev_b32_e32 v4, 6, v11
	v_sub_u32_e32 v3, v3, v4
	v_add_u32_e32 v4, v2, v3
	v_sub_u32_e32 v6, v9, v4
	v_cmp_lt_i32_e32 vcc, 0, v6
	s_and_b64 exec, exec, vcc
	s_cbranch_execz .LBB12_695
; %bb.693:                              ;   in Loop: Header=BB12_551 Depth=2
	s_trap 2
	ds_read_b64 v[2:3], v0
	v_add_u32_e32 v4, v4, v8
	v_ashrrev_i32_e32 v5, 31, v4
	s_mov_b64 s[28:29], 0
.LBB12_694:                             ;   Parent Loop BB12_81 Depth=1
                                        ;     Parent Loop BB12_551 Depth=2
                                        ; =>    This Inner Loop Header: Depth=3
	s_waitcnt lgkmcnt(0)
	v_lshl_add_u64 v[8:9], v[2:3], 0, v[4:5]
	flat_load_ubyte v7, v[8:9] nt
	v_sub_u32_e32 v6, v6, v16
	v_cmp_gt_i32_e32 vcc, 1, v6
	v_lshl_add_u64 v[4:5], v[4:5], 0, v[56:57]
	s_or_b64 s[28:29], vcc, s[28:29]
	s_waitcnt vmcnt(0) lgkmcnt(0)
	flat_store_byte v[8:9], v7 nt
	s_andn2_b64 exec, exec, s[28:29]
	s_cbranch_execnz .LBB12_694
.LBB12_695:                             ;   in Loop: Header=BB12_551 Depth=2
	s_or_b64 exec, exec, s[26:27]
	s_or_b64 exec, exec, s[24:25]
	s_and_saveexec_b64 s[24:25], s[4:5]
	s_cbranch_execnz .LBB12_625
	s_branch .LBB12_670
.LBB12_696:                             ;   in Loop: Header=BB12_551 Depth=2
	s_or_b64 exec, exec, s[58:59]
	s_and_saveexec_b64 vcc, s[60:61]
	s_xor_b64 vcc, exec, vcc
	s_cbranch_execz .LBB12_698
; %bb.697:                              ;   in Loop: Header=BB12_551 Depth=2
	ds_write_b32 v0, v53
	s_trap 2
.LBB12_698:                             ;   in Loop: Header=BB12_551 Depth=2
	s_or_b64 exec, exec, s[56:57]
	;;#ASMSTART
	s_wakeup
	;;#ASMEND
.LBB12_699:                             ;   in Loop: Header=BB12_551 Depth=2
	s_or_b64 exec, exec, s[28:29]
.LBB12_700:                             ;   in Loop: Header=BB12_551 Depth=2
	s_andn2_saveexec_b64 s[26:27], s[26:27]
	s_cbranch_execz .LBB12_702
; %bb.701:                              ;   in Loop: Header=BB12_551 Depth=2
	s_waitcnt lgkmcnt(0)
	s_barrier
.LBB12_702:                             ;   in Loop: Header=BB12_551 Depth=2
	s_or_b64 exec, exec, s[26:27]
	s_or_b64 exec, exec, s[24:25]
                                        ; implicit-def: $vgpr2
	s_and_saveexec_b64 s[24:25], s[20:21]
	s_xor_b64 s[26:27], exec, s[24:25]
	s_cbranch_execnz .LBB12_671
.LBB12_703:                             ;   in Loop: Header=BB12_551 Depth=2
	s_andn2_saveexec_b64 s[24:25], s[26:27]
	s_cbranch_execz .LBB12_722
.LBB12_704:                             ;   in Loop: Header=BB12_551 Depth=2
	s_and_saveexec_b64 s[26:27], s[40:41]
	s_xor_b64 s[26:27], exec, s[26:27]
	s_cbranch_execz .LBB12_719
; %bb.705:                              ;   in Loop: Header=BB12_551 Depth=2
	s_and_saveexec_b64 s[28:29], s[12:13]
	s_cbranch_execz .LBB12_718
; %bb.706:                              ;   in Loop: Header=BB12_551 Depth=2
	s_mov_b64 s[58:59], exec
	v_mbcnt_lo_u32_b32 v2, s58, 0
	v_mbcnt_hi_u32_b32 v2, s59, v2
	v_cmp_eq_u32_e32 vcc, 0, v2
	;;#ASMSTART
	s_waitcnt lgkmcnt(0) vmcnt(0)
	;;#ASMEND
	s_and_saveexec_b64 s[56:57], vcc
	s_cbranch_execz .LBB12_708
; %bb.707:                              ;   in Loop: Header=BB12_551 Depth=2
	s_bcnt1_i32_b64 vcc_lo, s[58:59]
	v_mov_b32_e32 v38, vcc_lo
	ds_add_u64 v0, v[38:39]
	s_trap 2
.LBB12_708:                             ;   in Loop: Header=BB12_551 Depth=2
	s_or_b64 exec, exec, s[56:57]
	s_trap 2
	ds_read_b64 v[2:3], v0
	v_lshl_add_u64 v[14:15], v[14:15], 0, v[48:49]
	s_waitcnt lgkmcnt(0)
	v_cmp_lt_u64_e32 vcc, v[2:3], v[14:15]
	s_and_saveexec_b64 s[56:57], vcc
	s_cbranch_execz .LBB12_717
; %bb.709:                              ;   in Loop: Header=BB12_551 Depth=2
	s_mov_b32 s76, 0
	s_mov_b64 s[58:59], 0
                                        ; implicit-def: $sgpr60_sgpr61
                                        ; implicit-def: $sgpr62_sgpr63
	s_branch .LBB12_711
.LBB12_710:                             ;   in Loop: Header=BB12_711 Depth=3
	s_or_b64 exec, exec, s[66:67]
	s_and_b64 vcc, exec, vcc
	s_or_b64 s[58:59], vcc, s[58:59]
	s_andn2_b64 vcc, s[60:61], exec
	s_and_b64 s[60:61], s[62:63], exec
	s_or_b64 s[60:61], vcc, s[60:61]
	s_andn2_b64 exec, exec, s[58:59]
	s_cbranch_execz .LBB12_715
.LBB12_711:                             ;   Parent Loop BB12_81 Depth=1
                                        ;     Parent Loop BB12_551 Depth=2
                                        ; =>    This Inner Loop Header: Depth=3
	s_add_i32 s76, s76, 1
	s_cmpk_lg_i32 s76, 0x2710
	s_cselect_b64 s[64:65], -1, 0
	s_and_b64 vcc, exec, s[64:65]
                                        ; implicit-def: $sgpr66_sgpr67
	s_cbranch_vccnz .LBB12_713
; %bb.712:                              ;   in Loop: Header=BB12_711 Depth=3
	s_trap 2
	ds_read_b64 v[2:3], v0
	s_andn2_b64 s[64:65], s[64:65], exec
	s_mov_b32 s76, 0
	s_mov_b64 s[66:67], -1
	s_waitcnt vmcnt(0) lgkmcnt(0)
	flat_load_dword v2, v[2:3] sc0 sc1
	s_waitcnt vmcnt(0) lgkmcnt(0)
	buffer_inv sc0 sc1
	v_cmp_eq_u32_e32 vcc, 0, v2
	s_and_b64 vcc, vcc, exec
	s_or_b64 s[64:65], s[64:65], vcc
.LBB12_713:                             ;   in Loop: Header=BB12_711 Depth=3
	s_andn2_b64 s[62:63], s[62:63], exec
	s_and_b64 s[66:67], s[66:67], exec
	s_mov_b64 vcc, -1
	s_or_b64 s[62:63], s[62:63], s[66:67]
	s_and_saveexec_b64 s[66:67], s[64:65]
	s_cbranch_execz .LBB12_710
; %bb.714:                              ;   in Loop: Header=BB12_711 Depth=3
	s_sleep 1
	s_trap 2
	ds_read_b64 v[2:3], v0
	s_andn2_b64 s[62:63], s[62:63], exec
	s_waitcnt lgkmcnt(0)
	v_cmp_ge_u64_e32 vcc, v[2:3], v[14:15]
	s_orn2_b64 vcc, vcc, exec
	s_branch .LBB12_710
.LBB12_715:                             ;   in Loop: Header=BB12_551 Depth=2
	s_or_b64 exec, exec, s[58:59]
	s_and_saveexec_b64 vcc, s[60:61]
	s_xor_b64 vcc, exec, vcc
	s_cbranch_execz .LBB12_717
; %bb.716:                              ;   in Loop: Header=BB12_551 Depth=2
	ds_write_b32 v0, v53
	s_trap 2
.LBB12_717:                             ;   in Loop: Header=BB12_551 Depth=2
	s_or_b64 exec, exec, s[56:57]
	;;#ASMSTART
	s_wakeup
	;;#ASMEND
.LBB12_718:                             ;   in Loop: Header=BB12_551 Depth=2
	s_or_b64 exec, exec, s[28:29]
.LBB12_719:                             ;   in Loop: Header=BB12_551 Depth=2
	s_andn2_saveexec_b64 s[26:27], s[26:27]
	s_cbranch_execz .LBB12_721
; %bb.720:                              ;   in Loop: Header=BB12_551 Depth=2
	;;#ASMSTART
	s_waitcnt lgkmcnt(0) vmcnt(0)
	;;#ASMEND
	s_barrier
.LBB12_721:                             ;   in Loop: Header=BB12_551 Depth=2
	s_or_b64 exec, exec, s[26:27]
	v_and_b32_e32 v2, 16, v62
.LBB12_722:                             ;   in Loop: Header=BB12_551 Depth=2
	s_or_b64 exec, exec, s[24:25]
	v_cmp_ne_u32_e32 vcc, 0, v2
	s_xor_b64 s[24:25], s[6:7], -1
	s_and_b64 s[26:27], vcc, s[24:25]
	s_and_saveexec_b64 s[24:25], s[26:27]
	s_cbranch_execz .LBB12_724
; %bb.723:                              ;   in Loop: Header=BB12_551 Depth=2
	flat_store_dword v[32:33], v53 sc0 sc1
.LBB12_724:                             ;   in Loop: Header=BB12_551 Depth=2
	s_or_b64 exec, exec, s[24:25]
	v_and_b32_e32 v2, 48, v62
	v_cmp_ne_u32_e32 vcc, 0, v2
	s_and_saveexec_b64 s[24:25], vcc
	s_cbranch_execz .LBB12_550
; %bb.725:                              ;   in Loop: Header=BB12_551 Depth=2
	v_lshl_add_u64 v[50:51], v[50:51], 0, 2
	flat_store_dwordx2 v[26:27], v[50:51] sc0 sc1
	s_branch .LBB12_550
.LBB12_726:                             ;   in Loop: Header=BB12_81 Depth=1
	s_or_b64 exec, exec, s[52:53]
.LBB12_727:                             ;   Parent Loop BB12_81 Depth=1
                                        ; =>  This Loop Header: Depth=2
                                        ;       Child Loop BB12_730 Depth 3
                                        ;         Child Loop BB12_736 Depth 4
                                        ;         Child Loop BB12_774 Depth 4
	;; [unrolled: 1-line block ×3, first 2 shown]
	s_or_b64 exec, exec, s[50:51]
	v_cmp_gt_i32_e32 vcc, 2, v2
	s_and_saveexec_b64 s[26:27], vcc
	s_cbranch_execz .LBB12_801
; %bb.728:                              ;   in Loop: Header=BB12_727 Depth=2
	v_cmp_eq_u32_e64 s[24:25], 0, v2
	s_mov_b64 s[28:29], 0
	s_branch .LBB12_730
.LBB12_729:                             ;   in Loop: Header=BB12_730 Depth=3
	s_or_b64 exec, exec, s[24:25]
	v_add_u32_e32 v44, v54, v44
	s_mov_b64 s[24:25], 0
	s_andn2_b64 exec, exec, s[28:29]
	s_cbranch_execz .LBB12_800
.LBB12_730:                             ;   Parent Loop BB12_81 Depth=1
                                        ;     Parent Loop BB12_727 Depth=2
                                        ; =>    This Loop Header: Depth=3
                                        ;         Child Loop BB12_736 Depth 4
                                        ;         Child Loop BB12_774 Depth 4
	;; [unrolled: 1-line block ×3, first 2 shown]
	v_and_b32_e32 v2, 12, v62
	s_mov_b64 s[52:53], -1
	v_cmp_ne_u32_e32 vcc, 0, v2
	s_and_saveexec_b64 s[50:51], vcc
	s_cbranch_execz .LBB12_742
; %bb.731:                              ;   in Loop: Header=BB12_730 Depth=3
	v_and_b32_e32 v38, 8, v62
	v_lshl_add_u64 v[4:5], v[36:37], 0, v[38:39]
	v_lshl_add_u64 v[2:3], v[50:51], 0, 2
	v_cmp_lt_u64_e32 vcc, v[4:5], v[2:3]
	v_mov_b32_e32 v4, 1
	s_and_saveexec_b64 s[52:53], vcc
	s_cbranch_execz .LBB12_741
; %bb.732:                              ;   in Loop: Header=BB12_730 Depth=3
	s_mov_b64 s[54:55], 0
	v_mov_b32_e32 v4, 0
                                        ; implicit-def: $sgpr56_sgpr57
	s_branch .LBB12_736
.LBB12_733:                             ;   in Loop: Header=BB12_736 Depth=4
	s_or_b64 exec, exec, s[64:65]
	v_mov_b32_e32 v5, 0
	s_orn2_b64 s[62:63], s[62:63], exec
.LBB12_734:                             ;   in Loop: Header=BB12_736 Depth=4
	s_or_b64 exec, exec, s[60:61]
	s_andn2_b64 vcc, s[56:57], exec
	s_and_b64 s[56:57], s[62:63], exec
	s_or_b64 s[56:57], vcc, s[56:57]
	v_mov_b32_e32 v4, v5
.LBB12_735:                             ;   in Loop: Header=BB12_736 Depth=4
	s_or_b64 exec, exec, s[58:59]
	s_waitcnt vmcnt(0) lgkmcnt(0)
	v_lshl_add_u64 v[6:7], v[36:37], 0, v[38:39]
	v_cmp_ge_u64_e32 vcc, v[6:7], v[2:3]
	s_xor_b64 s[58:59], s[56:57], -1
	s_or_b64 vcc, s[58:59], vcc
	s_and_b64 vcc, exec, vcc
	s_or_b64 s[54:55], vcc, s[54:55]
	s_andn2_b64 exec, exec, s[54:55]
	s_cbranch_execz .LBB12_740
.LBB12_736:                             ;   Parent Loop BB12_81 Depth=1
                                        ;     Parent Loop BB12_727 Depth=2
                                        ;       Parent Loop BB12_730 Depth=3
                                        ; =>      This Inner Loop Header: Depth=4
	s_sleep 1
	flat_load_dwordx2 v[36:37], v[26:27] sc0 sc1
	v_and_b32_e32 v5, 64, v62
	v_cmp_eq_u32_e32 vcc, 0, v5
	s_andn2_b64 s[56:57], s[56:57], exec
	s_and_saveexec_b64 s[58:59], vcc
	s_cbranch_execz .LBB12_735
; %bb.737:                              ;   in Loop: Header=BB12_736 Depth=4
	v_add_u32_e32 v5, 1, v4
	v_cmp_lt_i32_e32 vcc, s72, v4
	s_mov_b64 s[62:63], -1
	s_and_saveexec_b64 s[60:61], vcc
	s_cbranch_execz .LBB12_734
; %bb.738:                              ;   in Loop: Header=BB12_736 Depth=4
	s_trap 2
	ds_read_b64 v[4:5], v0
	s_waitcnt vmcnt(0) lgkmcnt(0)
	flat_load_dword v4, v[4:5] sc0 sc1
	s_waitcnt vmcnt(0) lgkmcnt(0)
	buffer_inv sc0 sc1
	v_cmp_ne_u32_e32 vcc, 0, v4
	s_and_saveexec_b64 s[64:65], vcc
	s_cbranch_execz .LBB12_733
; %bb.739:                              ;   in Loop: Header=BB12_736 Depth=4
	v_or_b32_e32 v62, 64, v62
	s_xor_b64 s[62:63], exec, -1
	ds_write_b32 v0, v4
	s_trap 2
	s_branch .LBB12_733
.LBB12_740:                             ;   in Loop: Header=BB12_730 Depth=3
	s_or_b64 exec, exec, s[54:55]
	v_and_b32_e32 v4, 12, v62
.LBB12_741:                             ;   in Loop: Header=BB12_730 Depth=3
	s_or_b64 exec, exec, s[52:53]
	v_cmp_eq_u32_e32 vcc, 0, v4
	s_orn2_b64 s[52:53], vcc, exec
	;;#ASMSTART
	s_wakeup
	;;#ASMEND
.LBB12_742:                             ;   in Loop: Header=BB12_730 Depth=3
	s_or_b64 exec, exec, s[50:51]
	s_xor_b64 s[24:25], s[24:25], -1
	s_and_b64 s[24:25], exec, s[24:25]
	s_or_b64 s[28:29], s[24:25], s[28:29]
	v_sub_u32_e32 v2, v1, v44
	s_xor_b64 s[24:25], s[52:53], -1
	v_min_i32_e32 v54, v54, v2
	s_and_saveexec_b64 s[50:51], s[24:25]
	s_cbranch_execz .LBB12_766
; %bb.743:                              ;   in Loop: Header=BB12_730 Depth=3
	v_and_b32_e32 v2, 0x108, v62
	v_cmp_ne_u32_e32 vcc, s73, v2
	v_and_b32_e32 v2, 7, v50
	s_and_saveexec_b64 s[24:25], vcc
	s_xor_b64 s[24:25], exec, s[24:25]
	s_andn2_saveexec_b64 s[24:25], s[24:25]
	s_cbranch_execz .LBB12_745
; %bb.744:                              ;   in Loop: Header=BB12_730 Depth=3
	v_mad_u64_u32 v[4:5], vcc, v2, 24, v[40:41]
	v_ashrrev_i32_e32 v55, 31, v54
	flat_store_dwordx2 v[4:5], v[54:55] offset:8
.LBB12_745:                             ;   in Loop: Header=BB12_730 Depth=3
	s_or_b64 exec, exec, s[24:25]
	v_and_b32_e32 v3, 0x100, v62
	v_cmp_ne_u32_e32 vcc, 0, v3
	s_mov_b64 s[24:25], -1
                                        ; implicit-def: $vgpr4_vgpr5
	s_and_saveexec_b64 s[52:53], vcc
	s_cbranch_execz .LBB12_749
; %bb.746:                              ;   in Loop: Header=BB12_730 Depth=3
	v_mad_u64_u32 v[6:7], s[24:25], v2, 24, v[40:41]
	v_mov_b32_e32 v4, v7
	v_mad_u64_u32 v[4:5], s[24:25], v39, 24, v[4:5]
	v_mov_b32_e32 v7, v4
	flat_load_dword v3, v[6:7]
                                        ; implicit-def: $vgpr4_vgpr5
	s_waitcnt vmcnt(0) lgkmcnt(0)
	v_cmp_ne_u32_e32 vcc, 1, v3
	v_cmp_eq_u32_e64 s[24:25], 1, v3
	s_and_saveexec_b64 s[54:55], s[24:25]
	s_cbranch_execz .LBB12_748
; %bb.747:                              ;   in Loop: Header=BB12_730 Depth=3
	flat_load_dword v4, v[6:7] offset:4 sc0 sc1
	s_waitcnt vmcnt(0) lgkmcnt(0)
	v_ashrrev_i32_e32 v5, 31, v4
.LBB12_748:                             ;   in Loop: Header=BB12_730 Depth=3
	s_or_b64 exec, exec, s[54:55]
	s_orn2_b64 s[24:25], vcc, exec
.LBB12_749:                             ;   in Loop: Header=BB12_730 Depth=3
	s_or_b64 exec, exec, s[52:53]
	s_and_saveexec_b64 vcc, s[24:25]
; %bb.750:                              ;   in Loop: Header=BB12_730 Depth=3
	v_mul_lo_u32 v3, v39, v52
	v_mul_lo_u32 v6, v2, v17
	v_mad_u64_u32 v[4:5], s[24:25], v2, v52, 0
	v_add3_u32 v5, v5, v6, v3
; %bb.751:                              ;   in Loop: Header=BB12_730 Depth=3
	s_or_b64 exec, exec, vcc
	v_lshl_add_u64 v[2:3], v[34:35], 0, v[4:5]
	s_trap 2
	ds_write_b64 v0, v[2:3]
	v_and_b32_e32 v2, 0x2000, v62
	v_cmp_ne_u32_e32 vcc, 0, v2
	s_and_saveexec_b64 s[24:25], vcc
	s_cbranch_execz .LBB12_753
; %bb.752:                              ;   in Loop: Header=BB12_730 Depth=3
	ds_read_b64 v[2:3], v0 offset:584
	s_waitcnt lgkmcnt(0)
	v_lshl_add_u64 v[2:3], v[2:3], 0, 1
	ds_write_b64 v0, v[2:3] offset:584
.LBB12_753:                             ;   in Loop: Header=BB12_730 Depth=3
	s_or_b64 exec, exec, s[24:25]
	v_lshl_add_u64 v[50:51], v[50:51], 0, 2
	s_or_b64 exec, exec, s[50:51]
	s_and_saveexec_b64 s[24:25], s[4:5]
	s_cbranch_execnz .LBB12_767
.LBB12_754:                             ;   in Loop: Header=BB12_730 Depth=3
	s_or_b64 exec, exec, s[24:25]
                                        ; implicit-def: $vgpr2
	s_and_saveexec_b64 s[24:25], s[48:49]
	s_xor_b64 s[24:25], exec, s[24:25]
	s_cbranch_execz .LBB12_792
.LBB12_755:                             ;   in Loop: Header=BB12_730 Depth=3
	s_and_saveexec_b64 vcc, s[40:41]
	s_xor_b64 s[50:51], exec, vcc
	s_cbranch_execz .LBB12_782
; %bb.756:                              ;   in Loop: Header=BB12_730 Depth=3
	s_and_saveexec_b64 s[52:53], s[12:13]
	s_cbranch_execz .LBB12_781
; %bb.757:                              ;   in Loop: Header=BB12_730 Depth=3
	s_mov_b64 s[56:57], exec
	v_mbcnt_lo_u32_b32 v2, s56, 0
	v_mbcnt_hi_u32_b32 v2, s57, v2
	v_cmp_eq_u32_e32 vcc, 0, v2
	;;#ASMSTART
	s_waitcnt lgkmcnt(0) vmcnt(0)
	;;#ASMEND
	s_and_saveexec_b64 s[54:55], vcc
	s_cbranch_execz .LBB12_759
; %bb.758:                              ;   in Loop: Header=BB12_730 Depth=3
	s_bcnt1_i32_b64 vcc_lo, s[56:57]
	v_mov_b32_e32 v38, vcc_lo
	ds_add_u64 v0, v[38:39]
	s_trap 2
.LBB12_759:                             ;   in Loop: Header=BB12_730 Depth=3
	s_or_b64 exec, exec, s[54:55]
	s_trap 2
	ds_read_b64 v[2:3], v0
	v_lshl_add_u64 v[14:15], v[14:15], 0, v[48:49]
	s_waitcnt lgkmcnt(0)
	v_cmp_lt_u64_e32 vcc, v[2:3], v[14:15]
	s_and_saveexec_b64 s[54:55], vcc
	s_cbranch_execz .LBB12_780
; %bb.760:                              ;   in Loop: Header=BB12_730 Depth=3
	s_mov_b32 s66, 0
	s_mov_b64 s[56:57], 0
                                        ; implicit-def: $sgpr58_sgpr59
                                        ; implicit-def: $sgpr60_sgpr61
	s_branch .LBB12_762
.LBB12_761:                             ;   in Loop: Header=BB12_762 Depth=4
	s_or_b64 exec, exec, s[64:65]
	s_and_b64 vcc, exec, vcc
	s_or_b64 s[56:57], vcc, s[56:57]
	s_andn2_b64 vcc, s[58:59], exec
	s_and_b64 s[58:59], s[60:61], exec
	s_or_b64 s[58:59], vcc, s[58:59]
	s_andn2_b64 exec, exec, s[56:57]
	s_cbranch_execz .LBB12_778
.LBB12_762:                             ;   Parent Loop BB12_81 Depth=1
                                        ;     Parent Loop BB12_727 Depth=2
                                        ;       Parent Loop BB12_730 Depth=3
                                        ; =>      This Inner Loop Header: Depth=4
	s_add_i32 s66, s66, 1
	s_cmpk_lg_i32 s66, 0x2710
	s_cselect_b64 s[62:63], -1, 0
	s_and_b64 vcc, exec, s[62:63]
                                        ; implicit-def: $sgpr64_sgpr65
	s_cbranch_vccnz .LBB12_764
; %bb.763:                              ;   in Loop: Header=BB12_762 Depth=4
	s_trap 2
	ds_read_b64 v[2:3], v0
	s_andn2_b64 s[62:63], s[62:63], exec
	s_mov_b32 s66, 0
	s_mov_b64 s[64:65], -1
	s_waitcnt vmcnt(0) lgkmcnt(0)
	flat_load_dword v2, v[2:3] sc0 sc1
	s_waitcnt vmcnt(0) lgkmcnt(0)
	buffer_inv sc0 sc1
	v_cmp_eq_u32_e32 vcc, 0, v2
	s_and_b64 vcc, vcc, exec
	s_or_b64 s[62:63], s[62:63], vcc
.LBB12_764:                             ;   in Loop: Header=BB12_762 Depth=4
	s_andn2_b64 s[60:61], s[60:61], exec
	s_and_b64 s[64:65], s[64:65], exec
	s_mov_b64 vcc, -1
	s_or_b64 s[60:61], s[60:61], s[64:65]
	s_and_saveexec_b64 s[64:65], s[62:63]
	s_cbranch_execz .LBB12_761
; %bb.765:                              ;   in Loop: Header=BB12_762 Depth=4
	s_sleep 1
	s_trap 2
	ds_read_b64 v[2:3], v0
	s_andn2_b64 s[60:61], s[60:61], exec
	s_waitcnt lgkmcnt(0)
	v_cmp_ge_u64_e32 vcc, v[2:3], v[14:15]
	s_orn2_b64 vcc, vcc, exec
	s_branch .LBB12_761
.LBB12_766:                             ;   in Loop: Header=BB12_730 Depth=3
	s_or_b64 exec, exec, s[50:51]
	s_and_saveexec_b64 s[24:25], s[4:5]
	s_cbranch_execz .LBB12_754
.LBB12_767:                             ;   in Loop: Header=BB12_730 Depth=3
	s_and_saveexec_b64 vcc, s[40:41]
	s_xor_b64 s[50:51], exec, vcc
	s_cbranch_execz .LBB12_789
; %bb.768:                              ;   in Loop: Header=BB12_730 Depth=3
	s_and_saveexec_b64 s[52:53], s[12:13]
	s_cbranch_execz .LBB12_788
; %bb.769:                              ;   in Loop: Header=BB12_730 Depth=3
	s_mov_b64 s[56:57], exec
	v_mbcnt_lo_u32_b32 v2, s56, 0
	v_mbcnt_hi_u32_b32 v2, s57, v2
	v_cmp_eq_u32_e32 vcc, 0, v2
	s_waitcnt lgkmcnt(0)
	s_and_saveexec_b64 s[54:55], vcc
	s_cbranch_execz .LBB12_771
; %bb.770:                              ;   in Loop: Header=BB12_730 Depth=3
	s_bcnt1_i32_b64 vcc_lo, s[56:57]
	v_mov_b32_e32 v38, vcc_lo
	ds_add_u64 v0, v[38:39]
	s_trap 2
.LBB12_771:                             ;   in Loop: Header=BB12_730 Depth=3
	s_or_b64 exec, exec, s[54:55]
	s_trap 2
	ds_read_b64 v[2:3], v0
	v_lshl_add_u64 v[14:15], v[14:15], 0, v[48:49]
	s_waitcnt lgkmcnt(0)
	v_cmp_lt_u64_e32 vcc, v[2:3], v[14:15]
	s_and_saveexec_b64 s[54:55], vcc
	s_cbranch_execz .LBB12_787
; %bb.772:                              ;   in Loop: Header=BB12_730 Depth=3
	s_mov_b32 s66, 0
	s_mov_b64 s[56:57], 0
                                        ; implicit-def: $sgpr58_sgpr59
                                        ; implicit-def: $sgpr60_sgpr61
	s_branch .LBB12_774
.LBB12_773:                             ;   in Loop: Header=BB12_774 Depth=4
	s_or_b64 exec, exec, s[64:65]
	s_and_b64 vcc, exec, vcc
	s_or_b64 s[56:57], vcc, s[56:57]
	s_andn2_b64 vcc, s[58:59], exec
	s_and_b64 s[58:59], s[60:61], exec
	s_or_b64 s[58:59], vcc, s[58:59]
	s_andn2_b64 exec, exec, s[56:57]
	s_cbranch_execz .LBB12_785
.LBB12_774:                             ;   Parent Loop BB12_81 Depth=1
                                        ;     Parent Loop BB12_727 Depth=2
                                        ;       Parent Loop BB12_730 Depth=3
                                        ; =>      This Inner Loop Header: Depth=4
	s_add_i32 s66, s66, 1
	s_cmpk_lg_i32 s66, 0x2710
	s_cselect_b64 s[62:63], -1, 0
	s_and_b64 vcc, exec, s[62:63]
                                        ; implicit-def: $sgpr64_sgpr65
	s_cbranch_vccnz .LBB12_776
; %bb.775:                              ;   in Loop: Header=BB12_774 Depth=4
	s_trap 2
	ds_read_b64 v[2:3], v0
	s_andn2_b64 s[62:63], s[62:63], exec
	s_mov_b32 s66, 0
	s_mov_b64 s[64:65], -1
	s_waitcnt vmcnt(0) lgkmcnt(0)
	flat_load_dword v2, v[2:3] sc0 sc1
	s_waitcnt vmcnt(0) lgkmcnt(0)
	buffer_inv sc0 sc1
	v_cmp_eq_u32_e32 vcc, 0, v2
	s_and_b64 vcc, vcc, exec
	s_or_b64 s[62:63], s[62:63], vcc
.LBB12_776:                             ;   in Loop: Header=BB12_774 Depth=4
	s_andn2_b64 s[60:61], s[60:61], exec
	s_and_b64 s[64:65], s[64:65], exec
	s_mov_b64 vcc, -1
	s_or_b64 s[60:61], s[60:61], s[64:65]
	s_and_saveexec_b64 s[64:65], s[62:63]
	s_cbranch_execz .LBB12_773
; %bb.777:                              ;   in Loop: Header=BB12_774 Depth=4
	s_sleep 1
	s_trap 2
	ds_read_b64 v[2:3], v0
	s_andn2_b64 s[60:61], s[60:61], exec
	s_waitcnt lgkmcnt(0)
	v_cmp_ge_u64_e32 vcc, v[2:3], v[14:15]
	s_orn2_b64 vcc, vcc, exec
	s_branch .LBB12_773
.LBB12_778:                             ;   in Loop: Header=BB12_730 Depth=3
	s_or_b64 exec, exec, s[56:57]
	s_and_saveexec_b64 vcc, s[58:59]
	s_xor_b64 vcc, exec, vcc
	s_cbranch_execz .LBB12_780
; %bb.779:                              ;   in Loop: Header=BB12_730 Depth=3
	ds_write_b32 v0, v53
	s_trap 2
.LBB12_780:                             ;   in Loop: Header=BB12_730 Depth=3
	s_or_b64 exec, exec, s[54:55]
	;;#ASMSTART
	s_wakeup
	;;#ASMEND
.LBB12_781:                             ;   in Loop: Header=BB12_730 Depth=3
	s_or_b64 exec, exec, s[52:53]
.LBB12_782:                             ;   in Loop: Header=BB12_730 Depth=3
	s_andn2_saveexec_b64 vcc, s[50:51]
	s_cbranch_execz .LBB12_784
; %bb.783:                              ;   in Loop: Header=BB12_730 Depth=3
	;;#ASMSTART
	s_waitcnt lgkmcnt(0) vmcnt(0)
	;;#ASMEND
	s_barrier
.LBB12_784:                             ;   in Loop: Header=BB12_730 Depth=3
	s_or_b64 exec, exec, vcc
	v_and_b32_e32 v2, 16, v62
	s_andn2_saveexec_b64 s[24:25], s[24:25]
	s_cbranch_execz .LBB12_796
	s_branch .LBB12_793
.LBB12_785:                             ;   in Loop: Header=BB12_730 Depth=3
	s_or_b64 exec, exec, s[56:57]
	s_and_saveexec_b64 vcc, s[58:59]
	s_xor_b64 vcc, exec, vcc
	s_cbranch_execz .LBB12_787
; %bb.786:                              ;   in Loop: Header=BB12_730 Depth=3
	ds_write_b32 v0, v53
	s_trap 2
.LBB12_787:                             ;   in Loop: Header=BB12_730 Depth=3
	s_or_b64 exec, exec, s[54:55]
	;;#ASMSTART
	s_wakeup
	;;#ASMEND
.LBB12_788:                             ;   in Loop: Header=BB12_730 Depth=3
	s_or_b64 exec, exec, s[52:53]
.LBB12_789:                             ;   in Loop: Header=BB12_730 Depth=3
	s_andn2_saveexec_b64 vcc, s[50:51]
	s_cbranch_execz .LBB12_791
; %bb.790:                              ;   in Loop: Header=BB12_730 Depth=3
	s_waitcnt lgkmcnt(0)
	s_barrier
.LBB12_791:                             ;   in Loop: Header=BB12_730 Depth=3
	s_or_b64 exec, exec, vcc
	s_or_b64 exec, exec, s[24:25]
                                        ; implicit-def: $vgpr2
	s_and_saveexec_b64 s[24:25], s[48:49]
	s_xor_b64 s[24:25], exec, s[24:25]
	s_cbranch_execnz .LBB12_755
.LBB12_792:                             ;   in Loop: Header=BB12_730 Depth=3
	s_andn2_saveexec_b64 s[24:25], s[24:25]
	s_cbranch_execz .LBB12_796
.LBB12_793:                             ;   in Loop: Header=BB12_730 Depth=3
	s_trap 2
	ds_read_b32 v3, v0
	v_cmp_lt_i32_e32 vcc, 0, v54
	v_and_b32_e32 v4, 16, v62
	v_and_b32_e32 v2, 16, v62
	s_waitcnt lgkmcnt(0)
	v_readfirstlane_b32 s50, v3
	s_cmp_eq_u32 s50, 0
	s_cselect_b64 s[50:51], -1, 0
	s_and_b64 s[50:51], vcc, s[50:51]
	v_cmp_ne_u32_e32 vcc, 0, v4
	s_and_b64 s[50:51], vcc, s[50:51]
	s_and_saveexec_b64 vcc, s[50:51]
	s_cbranch_execz .LBB12_795
; %bb.794:                              ;   in Loop: Header=BB12_730 Depth=3
	v_mov_b32_e32 v2, 1
	buffer_wbl2 sc1
	s_waitcnt vmcnt(0)
	buffer_inv sc1
.LBB12_795:                             ;   in Loop: Header=BB12_730 Depth=3
	s_or_b64 exec, exec, vcc
.LBB12_796:                             ;   in Loop: Header=BB12_730 Depth=3
	s_or_b64 exec, exec, s[24:25]
	v_cmp_ne_u32_e32 vcc, 0, v2
	s_xor_b64 s[24:25], s[6:7], -1
	s_and_b64 vcc, vcc, s[24:25]
	s_and_saveexec_b64 s[24:25], vcc
	s_cbranch_execz .LBB12_798
; %bb.797:                              ;   in Loop: Header=BB12_730 Depth=3
	flat_store_dword v[32:33], v53 sc0 sc1
.LBB12_798:                             ;   in Loop: Header=BB12_730 Depth=3
	s_or_b64 exec, exec, s[24:25]
	v_and_b32_e32 v2, 48, v62
	v_cmp_ne_u32_e32 vcc, 0, v2
	s_and_saveexec_b64 s[24:25], vcc
	s_cbranch_execz .LBB12_729
; %bb.799:                              ;   in Loop: Header=BB12_730 Depth=3
	v_lshl_add_u64 v[50:51], v[50:51], 0, 2
	flat_store_dwordx2 v[26:27], v[50:51] sc0 sc1
	s_branch .LBB12_729
.LBB12_800:                             ;   in Loop: Header=BB12_727 Depth=2
	s_or_b64 exec, exec, s[28:29]
.LBB12_801:                             ;   in Loop: Header=BB12_727 Depth=2
	s_or_b64 exec, exec, s[26:27]
	s_add_i32 s24, s68, 1
	s_cmp_eq_u32 s68, s75
	v_accvgpr_read_b32 v54, a37
	s_cbranch_scc0 .LBB12_548
; %bb.802:                              ;   in Loop: Header=BB12_81 Depth=1
	v_accvgpr_read_b32 v45, a29
	v_accvgpr_read_b32 v44, a28
	v_mov_b32_e32 v3, 0
	v_mov_b32_e32 v2, 0
	s_and_saveexec_b64 s[24:25], s[22:23]
	s_cbranch_execnz .LBB12_807
.LBB12_803:                             ;   in Loop: Header=BB12_81 Depth=1
	s_or_b64 exec, exec, s[24:25]
	v_cmp_gt_i32_e32 vcc, 2, v3
	s_and_saveexec_b64 s[24:25], vcc
	s_cbranch_execz .LBB12_80
	s_branch .LBB12_946
.LBB12_804:                             ;   in Loop: Header=BB12_81 Depth=1
	s_or_b64 exec, exec, s[50:51]
.LBB12_805:                             ;   in Loop: Header=BB12_81 Depth=1
	s_or_b64 exec, exec, s[28:29]
	s_or_b64 exec, exec, s[26:27]
	s_andn2_b64 vcc, exec, s[46:47]
	s_cbranch_vccz .LBB12_547
.LBB12_806:                             ;   in Loop: Header=BB12_81 Depth=1
	v_mov_b32_e32 v3, 0
	v_mov_b32_e32 v2, 0
	s_and_saveexec_b64 s[24:25], s[22:23]
	s_cbranch_execz .LBB12_803
.LBB12_807:                             ;   in Loop: Header=BB12_81 Depth=1
	v_accvgpr_read_b32 v2, a4
	v_accvgpr_read_b32 v3, a5
	flat_load_dword v2, v[2:3] offset:4
	v_accvgpr_read_b32 v6, a14
	v_accvgpr_read_b32 v4, a40
	;; [unrolled: 1-line block ×4, first 2 shown]
	s_mov_b32 s66, 1
	s_mov_b64 s[28:29], -1
	s_mov_b64 s[26:27], 0
	s_waitcnt vmcnt(0) lgkmcnt(0)
	v_ashrrev_i32_e32 v3, 31, v2
	v_mad_u64_u32 v[4:5], s[22:23], v6, v2, v[4:5]
	v_mul_lo_u32 v2, v7, v2
	v_mul_lo_u32 v3, v6, v3
	v_add3_u32 v5, v2, v5, v3
	v_mov_b32_e32 v2, 0
	s_branch .LBB12_809
.LBB12_808:                             ;   in Loop: Header=BB12_809 Depth=2
	s_or_b64 exec, exec, s[22:23]
	v_add_u32_e32 v2, v54, v2
	v_cmp_ge_i32_e32 vcc, v2, v1
	s_xor_b64 s[22:23], s[28:29], -1
	s_or_b64 s[22:23], s[22:23], vcc
	s_and_b64 s[22:23], exec, s[22:23]
	s_or_b64 s[26:27], s[22:23], s[26:27]
	s_mov_b64 s[28:29], 0
	v_mov_b32_e32 v3, s66
	s_mov_b32 s66, 2
	s_andn2_b64 exec, exec, s[26:27]
	s_cbranch_execz .LBB12_945
.LBB12_809:                             ;   Parent Loop BB12_81 Depth=1
                                        ; =>  This Loop Header: Depth=2
                                        ;       Child Loop BB12_817 Depth 3
                                        ;       Child Loop BB12_841 Depth 3
	;; [unrolled: 1-line block ×9, first 2 shown]
	s_and_saveexec_b64 s[22:23], s[0:1]
	s_cbranch_execz .LBB12_811
; %bb.810:                              ;   in Loop: Header=BB12_809 Depth=2
	s_trap 2
	ds_read_b128 v[6:9], v0
	v_ashrrev_i32_e32 v3, 31, v2
	s_waitcnt lgkmcnt(0)
	v_lshl_add_u64 v[6:7], v[6:7], 0, v[4:5]
	v_lshl_add_u64 v[10:11], v[8:9], 0, v[4:5]
	;; [unrolled: 1-line block ×4, first 2 shown]
	v_cmp_ne_u64_e32 vcc, 0, v[8:9]
	ds_write_b64 v0, v[6:7]
	s_nop 0
	v_cndmask_b32_e32 v7, 0, v11, vcc
	v_cndmask_b32_e32 v6, 0, v10, vcc
	ds_write_b64 v0, v[6:7]
.LBB12_811:                             ;   in Loop: Header=BB12_809 Depth=2
	s_or_b64 exec, exec, s[22:23]
	v_and_b32_e32 v3, 4, v62
	v_cmp_ne_u32_e32 vcc, 0, v3
	s_mov_b64 s[50:51], -1
	s_and_saveexec_b64 s[22:23], vcc
	s_cbranch_execz .LBB12_821
; %bb.812:                              ;   in Loop: Header=BB12_809 Depth=2
	v_lshl_add_u64 v[6:7], v[50:51], 0, 2
	v_cmp_lt_u64_e32 vcc, v[36:37], v[6:7]
	v_mov_b32_e32 v3, 1
	s_and_saveexec_b64 s[50:51], vcc
	s_cbranch_execz .LBB12_832
; %bb.813:                              ;   in Loop: Header=BB12_809 Depth=2
	s_mov_b64 s[52:53], 0
	v_mov_b32_e32 v3, 0
                                        ; implicit-def: $sgpr54_sgpr55
	s_branch .LBB12_817
.LBB12_814:                             ;   in Loop: Header=BB12_817 Depth=3
	s_or_b64 exec, exec, s[62:63]
	v_mov_b32_e32 v8, 0
	s_orn2_b64 s[60:61], s[60:61], exec
.LBB12_815:                             ;   in Loop: Header=BB12_817 Depth=3
	s_or_b64 exec, exec, s[58:59]
	s_andn2_b64 vcc, s[54:55], exec
	s_and_b64 s[54:55], s[60:61], exec
	s_or_b64 s[54:55], vcc, s[54:55]
	v_mov_b32_e32 v3, v8
.LBB12_816:                             ;   in Loop: Header=BB12_817 Depth=3
	s_or_b64 exec, exec, s[56:57]
	s_waitcnt vmcnt(0) lgkmcnt(0)
	v_cmp_ge_u64_e32 vcc, v[36:37], v[6:7]
	s_xor_b64 s[56:57], s[54:55], -1
	s_or_b64 vcc, s[56:57], vcc
	s_and_b64 vcc, exec, vcc
	s_or_b64 s[52:53], vcc, s[52:53]
	s_andn2_b64 exec, exec, s[52:53]
	s_cbranch_execz .LBB12_831
.LBB12_817:                             ;   Parent Loop BB12_81 Depth=1
                                        ;     Parent Loop BB12_809 Depth=2
                                        ; =>    This Inner Loop Header: Depth=3
	s_sleep 1
	flat_load_dwordx2 v[36:37], v[26:27] sc0 sc1
	v_and_b32_e32 v8, 64, v62
	v_cmp_eq_u32_e32 vcc, 0, v8
	s_andn2_b64 s[54:55], s[54:55], exec
	s_and_saveexec_b64 s[56:57], vcc
	s_cbranch_execz .LBB12_816
; %bb.818:                              ;   in Loop: Header=BB12_817 Depth=3
	v_add_u32_e32 v8, 1, v3
	v_cmp_lt_i32_e32 vcc, s72, v3
	s_mov_b64 s[60:61], -1
	s_and_saveexec_b64 s[58:59], vcc
	s_cbranch_execz .LBB12_815
; %bb.819:                              ;   in Loop: Header=BB12_817 Depth=3
	s_trap 2
	ds_read_b64 v[8:9], v0
	s_waitcnt vmcnt(0) lgkmcnt(0)
	flat_load_dword v3, v[8:9] sc0 sc1
	s_waitcnt vmcnt(0) lgkmcnt(0)
	buffer_inv sc0 sc1
	v_cmp_ne_u32_e32 vcc, 0, v3
	s_and_saveexec_b64 s[62:63], vcc
	s_cbranch_execz .LBB12_814
; %bb.820:                              ;   in Loop: Header=BB12_817 Depth=3
	v_or_b32_e32 v62, 64, v62
	s_xor_b64 s[60:61], exec, -1
	ds_write_b32 v0, v3
	s_trap 2
	s_branch .LBB12_814
.LBB12_821:                             ;   in Loop: Header=BB12_809 Depth=2
	s_or_b64 exec, exec, s[22:23]
	s_xor_b64 s[22:23], s[50:51], -1
	s_and_saveexec_b64 s[50:51], s[22:23]
	s_cbranch_execz .LBB12_833
.LBB12_822:                             ;   in Loop: Header=BB12_809 Depth=2
	v_and_b32_e32 v3, 0x100, v62
	v_cmp_ne_u32_e32 vcc, 0, v3
	v_and_b32_e32 v3, 7, v50
	s_mov_b64 s[22:23], -1
                                        ; implicit-def: $vgpr6_vgpr7
	s_and_saveexec_b64 s[52:53], vcc
	s_cbranch_execz .LBB12_826
; %bb.823:                              ;   in Loop: Header=BB12_809 Depth=2
	v_mad_u64_u32 v[8:9], s[22:23], v3, 24, v[40:41]
	flat_load_dword v6, v[8:9]
	s_waitcnt vmcnt(0) lgkmcnt(0)
	v_cmp_ne_u32_e32 vcc, 1, v6
	v_cmp_eq_u32_e64 s[22:23], 1, v6
                                        ; implicit-def: $vgpr6_vgpr7
	s_and_saveexec_b64 s[54:55], s[22:23]
	s_cbranch_execz .LBB12_825
; %bb.824:                              ;   in Loop: Header=BB12_809 Depth=2
	flat_load_dword v6, v[8:9] offset:4 sc0 sc1
	s_waitcnt vmcnt(0) lgkmcnt(0)
	v_ashrrev_i32_e32 v7, 31, v6
.LBB12_825:                             ;   in Loop: Header=BB12_809 Depth=2
	s_or_b64 exec, exec, s[54:55]
	s_orn2_b64 s[22:23], vcc, exec
.LBB12_826:                             ;   in Loop: Header=BB12_809 Depth=2
	s_or_b64 exec, exec, s[52:53]
	s_and_saveexec_b64 vcc, s[22:23]
; %bb.827:                              ;   in Loop: Header=BB12_809 Depth=2
	v_mad_i64_i32 v[6:7], s[22:23], v3, v52, 0
; %bb.828:                              ;   in Loop: Header=BB12_809 Depth=2
	s_or_b64 exec, exec, vcc
	v_and_b32_e32 v3, 0x2000, v62
	v_lshl_add_u64 v[6:7], v[34:35], 0, v[6:7]
	v_cmp_ne_u32_e32 vcc, 0, v3
	ds_write_b64 v0, v[6:7] offset:720
	s_and_saveexec_b64 s[22:23], vcc
	s_cbranch_execz .LBB12_830
; %bb.829:                              ;   in Loop: Header=BB12_809 Depth=2
	ds_read_b64 v[6:7], v0 offset:584
	s_waitcnt lgkmcnt(0)
	v_lshl_add_u64 v[6:7], v[6:7], 0, 1
	ds_write_b64 v0, v[6:7] offset:584
.LBB12_830:                             ;   in Loop: Header=BB12_809 Depth=2
	s_or_b64 exec, exec, s[22:23]
	v_lshl_add_u64 v[50:51], v[50:51], 0, 2
	s_or_b64 exec, exec, s[50:51]
	s_and_saveexec_b64 s[22:23], s[4:5]
	s_cbranch_execz .LBB12_852
	s_branch .LBB12_834
.LBB12_831:                             ;   in Loop: Header=BB12_809 Depth=2
	s_or_b64 exec, exec, s[52:53]
	v_and_b32_e32 v3, 4, v62
.LBB12_832:                             ;   in Loop: Header=BB12_809 Depth=2
	s_or_b64 exec, exec, s[50:51]
	v_cmp_eq_u32_e32 vcc, 0, v3
	s_orn2_b64 s[50:51], vcc, exec
	;;#ASMSTART
	s_wakeup
	;;#ASMEND
	s_or_b64 exec, exec, s[22:23]
	s_xor_b64 s[22:23], s[50:51], -1
	s_and_saveexec_b64 s[50:51], s[22:23]
	s_cbranch_execnz .LBB12_822
.LBB12_833:                             ;   in Loop: Header=BB12_809 Depth=2
	s_or_b64 exec, exec, s[50:51]
	s_and_saveexec_b64 s[22:23], s[4:5]
	s_cbranch_execz .LBB12_852
.LBB12_834:                             ;   in Loop: Header=BB12_809 Depth=2
	s_and_saveexec_b64 vcc, s[40:41]
	s_xor_b64 s[50:51], exec, vcc
	s_cbranch_execz .LBB12_849
; %bb.835:                              ;   in Loop: Header=BB12_809 Depth=2
	s_and_saveexec_b64 s[52:53], s[12:13]
	s_cbranch_execz .LBB12_848
; %bb.836:                              ;   in Loop: Header=BB12_809 Depth=2
	s_mov_b64 s[56:57], exec
	v_mbcnt_lo_u32_b32 v3, s56, 0
	v_mbcnt_hi_u32_b32 v3, s57, v3
	v_cmp_eq_u32_e32 vcc, 0, v3
	s_waitcnt lgkmcnt(0)
	s_and_saveexec_b64 s[54:55], vcc
	s_cbranch_execz .LBB12_838
; %bb.837:                              ;   in Loop: Header=BB12_809 Depth=2
	s_bcnt1_i32_b64 vcc_lo, s[56:57]
	v_mov_b32_e32 v38, vcc_lo
	ds_add_u64 v0, v[38:39]
	s_trap 2
.LBB12_838:                             ;   in Loop: Header=BB12_809 Depth=2
	s_or_b64 exec, exec, s[54:55]
	s_trap 2
	ds_read_b64 v[6:7], v0
	v_lshl_add_u64 v[14:15], v[14:15], 0, v[48:49]
	s_waitcnt lgkmcnt(0)
	v_cmp_lt_u64_e32 vcc, v[6:7], v[14:15]
	s_and_saveexec_b64 s[54:55], vcc
	s_cbranch_execz .LBB12_847
; %bb.839:                              ;   in Loop: Header=BB12_809 Depth=2
	s_mov_b32 s67, 0
	s_mov_b64 s[56:57], 0
                                        ; implicit-def: $sgpr58_sgpr59
                                        ; implicit-def: $sgpr60_sgpr61
	s_branch .LBB12_841
.LBB12_840:                             ;   in Loop: Header=BB12_841 Depth=3
	s_or_b64 exec, exec, s[64:65]
	s_and_b64 vcc, exec, vcc
	s_or_b64 s[56:57], vcc, s[56:57]
	s_andn2_b64 vcc, s[58:59], exec
	s_and_b64 s[58:59], s[60:61], exec
	s_or_b64 s[58:59], vcc, s[58:59]
	s_andn2_b64 exec, exec, s[56:57]
	s_cbranch_execz .LBB12_845
.LBB12_841:                             ;   Parent Loop BB12_81 Depth=1
                                        ;     Parent Loop BB12_809 Depth=2
                                        ; =>    This Inner Loop Header: Depth=3
	s_add_i32 s67, s67, 1
	s_cmpk_lg_i32 s67, 0x2710
	s_cselect_b64 s[62:63], -1, 0
	s_and_b64 vcc, exec, s[62:63]
                                        ; implicit-def: $sgpr64_sgpr65
	s_cbranch_vccnz .LBB12_843
; %bb.842:                              ;   in Loop: Header=BB12_841 Depth=3
	s_trap 2
	ds_read_b64 v[6:7], v0
	s_andn2_b64 s[62:63], s[62:63], exec
	s_mov_b32 s67, 0
	s_mov_b64 s[64:65], -1
	s_waitcnt lgkmcnt(0)
	flat_load_dword v3, v[6:7] sc0 sc1
	s_waitcnt vmcnt(0) lgkmcnt(0)
	buffer_inv sc0 sc1
	v_cmp_eq_u32_e32 vcc, 0, v3
	s_and_b64 vcc, vcc, exec
	s_or_b64 s[62:63], s[62:63], vcc
.LBB12_843:                             ;   in Loop: Header=BB12_841 Depth=3
	s_andn2_b64 s[60:61], s[60:61], exec
	s_and_b64 s[64:65], s[64:65], exec
	s_mov_b64 vcc, -1
	s_or_b64 s[60:61], s[60:61], s[64:65]
	s_and_saveexec_b64 s[64:65], s[62:63]
	s_cbranch_execz .LBB12_840
; %bb.844:                              ;   in Loop: Header=BB12_841 Depth=3
	s_sleep 1
	s_trap 2
	ds_read_b64 v[6:7], v0
	s_andn2_b64 s[60:61], s[60:61], exec
	s_waitcnt lgkmcnt(0)
	v_cmp_ge_u64_e32 vcc, v[6:7], v[14:15]
	s_orn2_b64 vcc, vcc, exec
	s_branch .LBB12_840
.LBB12_845:                             ;   in Loop: Header=BB12_809 Depth=2
	s_or_b64 exec, exec, s[56:57]
	s_and_saveexec_b64 vcc, s[58:59]
	s_xor_b64 vcc, exec, vcc
	s_cbranch_execz .LBB12_847
; %bb.846:                              ;   in Loop: Header=BB12_809 Depth=2
	ds_write_b32 v0, v53
	s_trap 2
.LBB12_847:                             ;   in Loop: Header=BB12_809 Depth=2
	s_or_b64 exec, exec, s[54:55]
	;;#ASMSTART
	s_wakeup
	;;#ASMEND
.LBB12_848:                             ;   in Loop: Header=BB12_809 Depth=2
	s_or_b64 exec, exec, s[52:53]
.LBB12_849:                             ;   in Loop: Header=BB12_809 Depth=2
	s_andn2_saveexec_b64 vcc, s[50:51]
	s_cbranch_execz .LBB12_851
; %bb.850:                              ;   in Loop: Header=BB12_809 Depth=2
	s_waitcnt lgkmcnt(0)
	s_barrier
.LBB12_851:                             ;   in Loop: Header=BB12_809 Depth=2
	s_or_b64 exec, exec, vcc
.LBB12_852:                             ;   in Loop: Header=BB12_809 Depth=2
	s_or_b64 exec, exec, s[22:23]
	s_trap 2
	ds_read_b32 v6, v0
	v_and_b32_e32 v3, 0x4000, v62
	v_cmp_ne_u32_e32 vcc, 0, v3
	s_xor_b64 s[22:23], s[2:3], -1
	s_and_b64 vcc, s[22:23], vcc
	s_and_saveexec_b64 s[22:23], vcc
	s_cbranch_execz .LBB12_871
; %bb.853:                              ;   in Loop: Header=BB12_809 Depth=2
	s_and_saveexec_b64 vcc, s[40:41]
	s_xor_b64 s[50:51], exec, vcc
	s_cbranch_execz .LBB12_868
; %bb.854:                              ;   in Loop: Header=BB12_809 Depth=2
	s_and_saveexec_b64 s[52:53], s[12:13]
	s_cbranch_execz .LBB12_867
; %bb.855:                              ;   in Loop: Header=BB12_809 Depth=2
	s_mov_b64 s[56:57], exec
	v_mbcnt_lo_u32_b32 v3, s56, 0
	v_mbcnt_hi_u32_b32 v3, s57, v3
	v_cmp_eq_u32_e32 vcc, 0, v3
	s_waitcnt lgkmcnt(0)
	s_and_saveexec_b64 s[54:55], vcc
	s_cbranch_execz .LBB12_857
; %bb.856:                              ;   in Loop: Header=BB12_809 Depth=2
	s_bcnt1_i32_b64 vcc_lo, s[56:57]
	v_mov_b32_e32 v38, vcc_lo
	ds_add_u64 v0, v[38:39]
	s_trap 2
.LBB12_857:                             ;   in Loop: Header=BB12_809 Depth=2
	s_or_b64 exec, exec, s[54:55]
	s_trap 2
	ds_read_b64 v[8:9], v0
	v_lshl_add_u64 v[14:15], v[14:15], 0, v[48:49]
	s_waitcnt lgkmcnt(0)
	v_cmp_lt_u64_e32 vcc, v[8:9], v[14:15]
	s_and_saveexec_b64 s[54:55], vcc
	s_cbranch_execz .LBB12_866
; %bb.858:                              ;   in Loop: Header=BB12_809 Depth=2
	s_mov_b32 s67, 0
	s_mov_b64 s[56:57], 0
                                        ; implicit-def: $sgpr58_sgpr59
                                        ; implicit-def: $sgpr60_sgpr61
	s_branch .LBB12_860
.LBB12_859:                             ;   in Loop: Header=BB12_860 Depth=3
	s_or_b64 exec, exec, s[64:65]
	s_and_b64 vcc, exec, vcc
	s_or_b64 s[56:57], vcc, s[56:57]
	s_andn2_b64 vcc, s[58:59], exec
	s_and_b64 s[58:59], s[60:61], exec
	s_or_b64 s[58:59], vcc, s[58:59]
	s_andn2_b64 exec, exec, s[56:57]
	s_cbranch_execz .LBB12_864
.LBB12_860:                             ;   Parent Loop BB12_81 Depth=1
                                        ;     Parent Loop BB12_809 Depth=2
                                        ; =>    This Inner Loop Header: Depth=3
	s_add_i32 s67, s67, 1
	s_cmpk_lg_i32 s67, 0x2710
	s_cselect_b64 s[62:63], -1, 0
	s_and_b64 vcc, exec, s[62:63]
                                        ; implicit-def: $sgpr64_sgpr65
	s_cbranch_vccnz .LBB12_862
; %bb.861:                              ;   in Loop: Header=BB12_860 Depth=3
	s_trap 2
	ds_read_b64 v[8:9], v0
	s_andn2_b64 s[62:63], s[62:63], exec
	s_mov_b32 s67, 0
	s_mov_b64 s[64:65], -1
	s_waitcnt lgkmcnt(0)
	flat_load_dword v3, v[8:9] sc0 sc1
	s_waitcnt vmcnt(0) lgkmcnt(0)
	buffer_inv sc0 sc1
	v_cmp_eq_u32_e32 vcc, 0, v3
	s_and_b64 vcc, vcc, exec
	s_or_b64 s[62:63], s[62:63], vcc
.LBB12_862:                             ;   in Loop: Header=BB12_860 Depth=3
	s_andn2_b64 s[60:61], s[60:61], exec
	s_and_b64 s[64:65], s[64:65], exec
	s_mov_b64 vcc, -1
	s_or_b64 s[60:61], s[60:61], s[64:65]
	s_and_saveexec_b64 s[64:65], s[62:63]
	s_cbranch_execz .LBB12_859
; %bb.863:                              ;   in Loop: Header=BB12_860 Depth=3
	s_sleep 1
	s_trap 2
	ds_read_b64 v[8:9], v0
	s_andn2_b64 s[60:61], s[60:61], exec
	s_waitcnt lgkmcnt(0)
	v_cmp_ge_u64_e32 vcc, v[8:9], v[14:15]
	s_orn2_b64 vcc, vcc, exec
	s_branch .LBB12_859
.LBB12_864:                             ;   in Loop: Header=BB12_809 Depth=2
	s_or_b64 exec, exec, s[56:57]
	s_and_saveexec_b64 vcc, s[58:59]
	s_xor_b64 vcc, exec, vcc
	s_cbranch_execz .LBB12_866
; %bb.865:                              ;   in Loop: Header=BB12_809 Depth=2
	ds_write_b32 v0, v53
	s_trap 2
.LBB12_866:                             ;   in Loop: Header=BB12_809 Depth=2
	s_or_b64 exec, exec, s[54:55]
	;;#ASMSTART
	s_wakeup
	;;#ASMEND
.LBB12_867:                             ;   in Loop: Header=BB12_809 Depth=2
	s_or_b64 exec, exec, s[52:53]
.LBB12_868:                             ;   in Loop: Header=BB12_809 Depth=2
	s_andn2_saveexec_b64 vcc, s[50:51]
	s_cbranch_execz .LBB12_870
; %bb.869:                              ;   in Loop: Header=BB12_809 Depth=2
	s_waitcnt lgkmcnt(0)
	s_barrier
.LBB12_870:                             ;   in Loop: Header=BB12_809 Depth=2
	s_or_b64 exec, exec, vcc
.LBB12_871:                             ;   in Loop: Header=BB12_809 Depth=2
	s_or_b64 exec, exec, s[22:23]
	s_trap 2
	ds_read_b64 v[8:9], v0
	v_sub_u32_e32 v3, v1, v2
	v_min_i32_e32 v54, v54, v3
	v_mov_b32_e32 v3, 0
	s_waitcnt lgkmcnt(0)
	v_readfirstlane_b32 s22, v8
	v_readfirstlane_b32 s23, v9
	s_cmp_eq_u64 s[22:23], 0
	s_cselect_b64 s[22:23], -1, 0
	s_or_b64 s[22:23], s[22:23], s[22:23]
	s_and_b64 vcc, exec, s[22:23]
	s_cbranch_vccnz .LBB12_887
; %bb.872:                              ;   in Loop: Header=BB12_809 Depth=2
	s_mov_b64 s[22:23], -1
	s_and_saveexec_b64 s[50:51], s[18:19]
	s_cbranch_execz .LBB12_874
; %bb.873:                              ;   in Loop: Header=BB12_809 Depth=2
	ds_read_b32 v3, v0 offset:720
	s_waitcnt lgkmcnt(0)
	v_and_b32_e32 v3, 15, v3
	v_cmp_eq_u32_e32 vcc, 0, v3
	s_orn2_b64 s[22:23], vcc, exec
.LBB12_874:                             ;   in Loop: Header=BB12_809 Depth=2
	s_or_b64 exec, exec, s[50:51]
	s_and_saveexec_b64 s[50:51], s[14:15]
	s_cbranch_execz .LBB12_876
; %bb.875:                              ;   in Loop: Header=BB12_809 Depth=2
	ds_read_b32 v3, v0 offset:784
	s_waitcnt lgkmcnt(0)
	v_and_b32_e32 v3, 15, v3
	v_cmp_eq_u32_e32 vcc, 0, v3
	s_and_b64 vcc, s[22:23], vcc
	s_andn2_b64 s[22:23], s[22:23], exec
	s_and_b64 vcc, vcc, exec
	s_or_b64 s[22:23], s[22:23], vcc
.LBB12_876:                             ;   in Loop: Header=BB12_809 Depth=2
	s_or_b64 exec, exec, s[50:51]
	v_cmp_eq_u32_e32 vcc, 0, v6
	s_xor_b64 s[22:23], s[22:23], -1
	v_cndmask_b32_e64 v6, 0, 1, s[22:23]
	v_cndmask_b32_e32 v3, 0, v54, vcc
	v_mov_b32_e32 v18, 0
	s_mov_b64 s[52:53], -1
	;;#ASMSTART
	;;#ASMEND
	v_mov_b32_e32 v19, v3
	v_cmp_ne_u32_e32 vcc, 0, v6
	v_mov_b32_e32 v23, v0
	v_mov_b32_e32 v8, v28
	s_cbranch_vccz .LBB12_899
; %bb.877:                              ;   in Loop: Header=BB12_809 Depth=2
	s_and_saveexec_b64 s[22:23], s[52:53]
	s_cbranch_execz .LBB12_912
.LBB12_878:                             ;   in Loop: Header=BB12_809 Depth=2
	v_ashrrev_i32_e32 v6, 31, v19
	v_lshrrev_b32_e32 v6, 22, v6
	v_add_u32_e32 v6, v19, v6
	v_ashrrev_i32_e32 v30, 10, v6
	v_sub_u32_e32 v20, v30, v8
	v_ashrrev_i32_e32 v6, 31, v23
	v_cmp_lt_i32_e32 vcc, 0, v20
	v_lshrrev_b32_e32 v21, 26, v6
	s_and_saveexec_b64 s[50:51], vcc
	s_cbranch_execz .LBB12_882
; %bb.879:                              ;   in Loop: Header=BB12_809 Depth=2
	s_trap 2
	ds_read_b64 v[6:7], v0
	v_add_u32_e32 v9, v23, v21
	v_and_b32_e32 v9, 0xffffffc0, v9
	v_sub_u32_e32 v9, v23, v9
	v_lshlrev_b32_e32 v8, 10, v8
	v_add3_u32 v8, v18, v9, v8
	v_accvgpr_write_b32 a37, v54
	v_ashrrev_i32_e32 v9, 31, v8
	s_mov_b64 s[52:53], 0
	s_waitcnt lgkmcnt(0)
	v_mov_b64_e32 v[10:11], v[6:7]
.LBB12_880:                             ;   Parent Loop BB12_81 Depth=1
                                        ;     Parent Loop BB12_809 Depth=2
                                        ; =>    This Inner Loop Header: Depth=3
	v_lshl_add_u64 v[28:29], v[8:9], 0, v[10:11]
	flat_load_ubyte v31, v[28:29] nt
	flat_load_ubyte v32, v[28:29] offset:64 nt
	flat_load_ubyte v33, v[28:29] offset:128 nt
	;; [unrolled: 1-line block ×15, first 2 shown]
	v_sub_u32_e32 v20, v20, v48
	v_cmp_gt_i32_e32 vcc, 1, v20
	v_lshl_add_u64 v[28:29], v[8:9], 0, v[6:7]
	v_lshl_add_u64 v[10:11], v[10:11], 0, v[60:61]
	;; [unrolled: 1-line block ×3, first 2 shown]
	s_or_b64 s[52:53], vcc, s[52:53]
	s_waitcnt vmcnt(0) lgkmcnt(0)
	flat_store_byte v[28:29], v31 nt
	flat_store_byte v[28:29], v32 offset:64 nt
	flat_store_byte v[28:29], v33 offset:128 nt
	;; [unrolled: 1-line block ×15, first 2 shown]
	s_andn2_b64 exec, exec, s[52:53]
	s_cbranch_execnz .LBB12_880
; %bb.881:                              ;   in Loop: Header=BB12_809 Depth=2
	s_or_b64 exec, exec, s[52:53]
	v_accvgpr_read_b32 v41, a21
	v_accvgpr_read_b32 v35, a25
	;; [unrolled: 1-line block ×11, first 2 shown]
	v_mov_b32_e32 v53, 1
	v_accvgpr_read_b32 v42, a32
	v_accvgpr_read_b32 v28, a23
	;; [unrolled: 1-line block ×3, first 2 shown]
.LBB12_882:                             ;   in Loop: Header=BB12_809 Depth=2
	s_or_b64 exec, exec, s[50:51]
	v_lshlrev_b32_e32 v6, 10, v30
	v_cmp_ne_u32_e32 vcc, v19, v6
	s_and_saveexec_b64 s[50:51], vcc
	s_cbranch_execz .LBB12_886
; %bb.883:                              ;   in Loop: Header=BB12_809 Depth=2
	v_add_u32_e32 v7, v23, v21
	v_and_b32_e32 v7, 0xffffffc0, v7
	v_sub_u32_e32 v7, v23, v7
	v_lshlrev_b32_e32 v8, 6, v20
	v_sub_u32_e32 v7, v7, v8
	v_add_u32_e32 v8, v6, v7
	v_sub_u32_e32 v10, v19, v8
	v_cmp_lt_i32_e32 vcc, 0, v10
	s_and_b64 exec, exec, vcc
	s_cbranch_execz .LBB12_886
; %bb.884:                              ;   in Loop: Header=BB12_809 Depth=2
	s_trap 2
	ds_read_b64 v[6:7], v0
	v_add_u32_e32 v8, v8, v18
	v_ashrrev_i32_e32 v9, 31, v8
	s_mov_b64 s[52:53], 0
.LBB12_885:                             ;   Parent Loop BB12_81 Depth=1
                                        ;     Parent Loop BB12_809 Depth=2
                                        ; =>    This Inner Loop Header: Depth=3
	s_waitcnt lgkmcnt(0)
	v_lshl_add_u64 v[18:19], v[6:7], 0, v[8:9]
	flat_load_ubyte v11, v[18:19] nt
	v_sub_u32_e32 v10, v10, v16
	v_cmp_gt_i32_e32 vcc, 1, v10
	v_lshl_add_u64 v[8:9], v[8:9], 0, v[56:57]
	s_or_b64 s[52:53], vcc, s[52:53]
	s_waitcnt vmcnt(0) lgkmcnt(0)
	flat_store_byte v[18:19], v11 nt
	s_andn2_b64 exec, exec, s[52:53]
	s_cbranch_execnz .LBB12_885
.LBB12_886:                             ;   in Loop: Header=BB12_809 Depth=2
	s_or_b64 exec, exec, s[50:51]
	s_or_b64 exec, exec, s[22:23]
	s_and_saveexec_b64 s[22:23], s[4:5]
	s_cbranch_execz .LBB12_913
	s_branch .LBB12_888
.LBB12_887:                             ;   in Loop: Header=BB12_809 Depth=2
	s_and_saveexec_b64 s[22:23], s[4:5]
	s_cbranch_execz .LBB12_913
.LBB12_888:                             ;   in Loop: Header=BB12_809 Depth=2
	s_and_saveexec_b64 vcc, s[40:41]
	s_xor_b64 s[50:51], exec, vcc
	s_cbranch_execz .LBB12_921
; %bb.889:                              ;   in Loop: Header=BB12_809 Depth=2
	s_and_saveexec_b64 s[52:53], s[12:13]
	s_cbranch_execz .LBB12_920
; %bb.890:                              ;   in Loop: Header=BB12_809 Depth=2
	s_mov_b64 s[56:57], exec
	v_mbcnt_lo_u32_b32 v6, s56, 0
	v_mbcnt_hi_u32_b32 v6, s57, v6
	v_cmp_eq_u32_e32 vcc, 0, v6
	s_waitcnt lgkmcnt(0)
	s_and_saveexec_b64 s[54:55], vcc
	s_cbranch_execz .LBB12_892
; %bb.891:                              ;   in Loop: Header=BB12_809 Depth=2
	s_bcnt1_i32_b64 vcc_lo, s[56:57]
	v_mov_b32_e32 v38, vcc_lo
	ds_add_u64 v0, v[38:39]
	s_trap 2
.LBB12_892:                             ;   in Loop: Header=BB12_809 Depth=2
	s_or_b64 exec, exec, s[54:55]
	s_trap 2
	ds_read_b64 v[6:7], v0
	v_lshl_add_u64 v[14:15], v[14:15], 0, v[48:49]
	s_waitcnt lgkmcnt(0)
	v_cmp_lt_u64_e32 vcc, v[6:7], v[14:15]
	s_and_saveexec_b64 s[54:55], vcc
	s_cbranch_execz .LBB12_919
; %bb.893:                              ;   in Loop: Header=BB12_809 Depth=2
	s_mov_b32 s67, 0
	s_mov_b64 s[56:57], 0
                                        ; implicit-def: $sgpr58_sgpr59
                                        ; implicit-def: $sgpr60_sgpr61
	s_branch .LBB12_895
.LBB12_894:                             ;   in Loop: Header=BB12_895 Depth=3
	s_or_b64 exec, exec, s[64:65]
	s_and_b64 vcc, exec, vcc
	s_or_b64 s[56:57], vcc, s[56:57]
	s_andn2_b64 vcc, s[58:59], exec
	s_and_b64 s[58:59], s[60:61], exec
	s_or_b64 s[58:59], vcc, s[58:59]
	s_andn2_b64 exec, exec, s[56:57]
	s_cbranch_execz .LBB12_917
.LBB12_895:                             ;   Parent Loop BB12_81 Depth=1
                                        ;     Parent Loop BB12_809 Depth=2
                                        ; =>    This Inner Loop Header: Depth=3
	s_add_i32 s67, s67, 1
	s_cmpk_lg_i32 s67, 0x2710
	s_cselect_b64 s[62:63], -1, 0
	s_and_b64 vcc, exec, s[62:63]
                                        ; implicit-def: $sgpr64_sgpr65
	s_cbranch_vccnz .LBB12_897
; %bb.896:                              ;   in Loop: Header=BB12_895 Depth=3
	s_trap 2
	ds_read_b64 v[6:7], v0
	s_andn2_b64 s[62:63], s[62:63], exec
	s_mov_b32 s67, 0
	s_mov_b64 s[64:65], -1
	s_waitcnt vmcnt(0) lgkmcnt(0)
	flat_load_dword v6, v[6:7] sc0 sc1
	s_waitcnt vmcnt(0) lgkmcnt(0)
	buffer_inv sc0 sc1
	v_cmp_eq_u32_e32 vcc, 0, v6
	s_and_b64 vcc, vcc, exec
	s_or_b64 s[62:63], s[62:63], vcc
.LBB12_897:                             ;   in Loop: Header=BB12_895 Depth=3
	s_andn2_b64 s[60:61], s[60:61], exec
	s_and_b64 s[64:65], s[64:65], exec
	s_mov_b64 vcc, -1
	s_or_b64 s[60:61], s[60:61], s[64:65]
	s_and_saveexec_b64 s[64:65], s[62:63]
	s_cbranch_execz .LBB12_894
; %bb.898:                              ;   in Loop: Header=BB12_895 Depth=3
	s_sleep 1
	s_trap 2
	ds_read_b64 v[6:7], v0
	s_andn2_b64 s[60:61], s[60:61], exec
	s_waitcnt lgkmcnt(0)
	v_cmp_ge_u64_e32 vcc, v[6:7], v[14:15]
	s_orn2_b64 vcc, vcc, exec
	s_branch .LBB12_894
.LBB12_899:                             ;   in Loop: Header=BB12_809 Depth=2
	v_ashrrev_i32_e32 v6, 31, v3
	v_lshrrev_b32_e32 v6, 20, v6
	v_add_u32_e32 v6, v3, v6
	v_ashrrev_i32_e32 v10, 12, v6
	v_sub_u32_e32 v11, v10, v28
	v_cmp_lt_i32_e32 vcc, 0, v11
	s_and_saveexec_b64 s[22:23], vcc
	s_cbranch_execz .LBB12_903
; %bb.900:                              ;   in Loop: Header=BB12_809 Depth=2
	s_trap 2
	ds_read_b64 v[6:7], v0
	v_mov_b32_e32 v23, v54
	s_mov_b64 s[50:51], 0
	s_waitcnt lgkmcnt(0)
	v_mov_b64_e32 v[8:9], v[6:7]
.LBB12_901:                             ;   Parent Loop BB12_81 Depth=1
                                        ;     Parent Loop BB12_809 Depth=2
                                        ; =>    This Inner Loop Header: Depth=3
	v_lshl_add_u64 v[32:33], v[24:25], 0, v[8:9]
	global_load_dwordx4 v[18:21], v[32:33], off nt
	global_load_dwordx4 v[28:31], v[32:33], off offset:1024 nt
	global_load_dwordx4 v[52:55], v[32:33], off offset:2048 nt
	;; [unrolled: 1-line block ×3, first 2 shown]
	v_sub_u32_e32 v11, v11, v48
	v_cmp_gt_i32_e32 vcc, 1, v11
	v_lshl_add_u64 v[32:33], v[24:25], 0, v[6:7]
	v_lshl_add_u64 v[8:9], v[8:9], 0, v[58:59]
	;; [unrolled: 1-line block ×3, first 2 shown]
	s_or_b64 s[50:51], vcc, s[50:51]
	s_waitcnt vmcnt(0)
	global_store_dwordx4 v[32:33], v[18:21], off nt
	s_waitcnt vmcnt(3)
	global_store_dwordx4 v[32:33], v[28:31], off offset:1024 nt
	s_waitcnt vmcnt(3)
	global_store_dwordx4 v[32:33], v[52:55], off offset:2048 nt
	;; [unrolled: 2-line block ×3, first 2 shown]
	s_andn2_b64 exec, exec, s[50:51]
	s_cbranch_execnz .LBB12_901
; %bb.902:                              ;   in Loop: Header=BB12_809 Depth=2
	s_or_b64 exec, exec, s[50:51]
	v_accvgpr_read_b32 v41, a21
	v_accvgpr_read_b32 v33, a27
	;; [unrolled: 1-line block ×9, first 2 shown]
	v_mov_b32_e32 v53, 1
	v_accvgpr_read_b32 v42, a32
	v_accvgpr_read_b32 v28, a23
	v_mov_b32_e32 v54, v23
.LBB12_903:                             ;   in Loop: Header=BB12_809 Depth=2
	s_or_b64 exec, exec, s[22:23]
	v_lshlrev_b32_e32 v10, 12, v10
	v_cmp_ne_u32_e32 vcc, v3, v10
	s_mov_b64 s[52:53], 0
	v_mov_b32_e32 v18, 0
                                        ; implicit-def: $vgpr19
                                        ; implicit-def: $vgpr23
                                        ; implicit-def: $vgpr8
	s_and_saveexec_b64 s[50:51], vcc
	s_cbranch_execz .LBB12_911
; %bb.904:                              ;   in Loop: Header=BB12_809 Depth=2
	v_lshlrev_b32_e32 v7, 6, v11
	v_accvgpr_read_b32 v8, a36
	v_sub_u32_e32 v7, v8, v7
	v_ashrrev_i32_e32 v8, 31, v7
	v_lshrrev_b32_e32 v8, 26, v8
	v_add_u32_e32 v8, v7, v8
	v_ashrrev_i32_e32 v9, 6, v8
	v_and_b32_e32 v8, 0xffffffc0, v8
	v_sub_u32_e32 v11, v7, v8
	v_sub_u32_e32 v6, v3, v10
	v_lshlrev_b32_e32 v7, 4, v11
	v_lshl_add_u32 v8, v9, 10, v7
	v_ashrrev_i32_e32 v7, 31, v6
	v_lshrrev_b32_e32 v7, 22, v7
	v_add_u32_e32 v7, v6, v7
	v_and_b32_e32 v20, 0xfffffc00, v7
	v_sub_u32_e32 v30, v6, v20
	v_ashrrev_i32_e32 v19, 10, v7
	v_cmp_lt_i32_e32 vcc, 15, v30
	v_sub_u32_e32 v18, v6, v8
	s_nop 0
	v_addc_co_u32_e64 v6, s[22:23], 0, v19, vcc
	v_sub_u32_e32 v21, v6, v9
	v_cmp_lt_i32_e64 s[22:23], 15, v18
	s_and_saveexec_b64 s[52:53], s[22:23]
	s_cbranch_execz .LBB12_908
; %bb.905:                              ;   in Loop: Header=BB12_809 Depth=2
	s_trap 2
	ds_read_b64 v[6:7], v0
	v_add_u32_e32 v8, v8, v10
	v_mov_b32_e32 v19, v54
	v_ashrrev_i32_e32 v9, 31, v8
	s_mov_b64 s[54:55], 0
.LBB12_906:                             ;   Parent Loop BB12_81 Depth=1
                                        ;     Parent Loop BB12_809 Depth=2
                                        ; =>    This Inner Loop Header: Depth=3
	s_waitcnt lgkmcnt(0)
	v_lshl_add_u64 v[28:29], v[6:7], 0, v[8:9]
	global_load_dwordx4 v[52:55], v[28:29], off nt
	v_sub_u32_e32 v18, v18, v22
	v_cmp_gt_i32_e64 s[22:23], 16, v18
	v_sub_u32_e32 v21, v21, v48
	v_lshl_add_u64 v[8:9], v[8:9], 0, v[60:61]
	s_or_b64 s[54:55], s[22:23], s[54:55]
	s_waitcnt vmcnt(0)
	global_store_dwordx4 v[28:29], v[52:55], off nt
	s_andn2_b64 exec, exec, s[54:55]
	s_cbranch_execnz .LBB12_906
; %bb.907:                              ;   in Loop: Header=BB12_809 Depth=2
	s_or_b64 exec, exec, s[54:55]
	v_accvgpr_read_b32 v52, a22
	v_mov_b32_e32 v53, 1
	v_accvgpr_read_b32 v28, a23
	v_mov_b32_e32 v54, v19
.LBB12_908:                             ;   in Loop: Header=BB12_809 Depth=2
	s_or_b64 exec, exec, s[52:53]
	v_and_b32_e32 v6, 15, v3
	v_cndmask_b32_e32 v19, v30, v6, vcc
	v_cmp_ne_u32_e64 s[22:23], 0, v19
	s_mov_b64 s[52:53], 0
	v_mov_b32_e32 v18, 0
                                        ; implicit-def: $vgpr23
                                        ; implicit-def: $vgpr8
	s_and_saveexec_b64 s[54:55], s[22:23]
	s_cbranch_execz .LBB12_910
; %bb.909:                              ;   in Loop: Header=BB12_809 Depth=2
	v_sub_u32_e32 v6, v30, v6
	v_cndmask_b32_e32 v6, 0, v6, vcc
	v_cmp_lt_i32_e32 vcc, 0, v21
	v_add3_u32 v18, v20, v10, v6
	s_mov_b64 s[52:53], exec
	v_cndmask_b32_e32 v6, 0, v48, vcc
	v_sub_u32_e32 v6, v6, v21
	v_lshl_add_u32 v23, v6, 6, v11
	v_ashrrev_i32_e32 v6, 31, v23
	v_lshrrev_b32_e32 v6, 26, v6
	v_add_u32_e32 v6, v23, v6
	v_ashrrev_i32_e32 v8, 6, v6
.LBB12_910:                             ;   in Loop: Header=BB12_809 Depth=2
	s_or_b64 exec, exec, s[54:55]
	s_and_b64 s[52:53], s[52:53], exec
.LBB12_911:                             ;   in Loop: Header=BB12_809 Depth=2
	s_or_b64 exec, exec, s[50:51]
	s_and_saveexec_b64 s[22:23], s[52:53]
	s_cbranch_execnz .LBB12_878
.LBB12_912:                             ;   in Loop: Header=BB12_809 Depth=2
	s_or_b64 exec, exec, s[22:23]
	s_and_saveexec_b64 s[22:23], s[4:5]
	s_cbranch_execnz .LBB12_888
.LBB12_913:                             ;   in Loop: Header=BB12_809 Depth=2
	s_or_b64 exec, exec, s[22:23]
	s_and_saveexec_b64 s[22:23], s[20:21]
	s_xor_b64 s[50:51], exec, s[22:23]
	s_cbranch_execz .LBB12_924
.LBB12_914:                             ;   in Loop: Header=BB12_809 Depth=2
	v_cmp_lt_i32_e32 vcc, 0, v3
	v_and_b32_e32 v3, 16, v62
	v_cmp_ne_u32_e64 s[22:23], 0, v3
	s_and_b64 vcc, s[22:23], vcc
	s_and_saveexec_b64 s[22:23], vcc
	s_cbranch_execz .LBB12_916
; %bb.915:                              ;   in Loop: Header=BB12_809 Depth=2
	buffer_wbl2 sc1
	s_waitcnt vmcnt(0) lgkmcnt(0)
	buffer_inv sc1
.LBB12_916:                             ;   in Loop: Header=BB12_809 Depth=2
	s_or_b64 exec, exec, s[22:23]
	s_andn2_saveexec_b64 s[22:23], s[50:51]
	s_cbranch_execz .LBB12_943
	s_branch .LBB12_925
.LBB12_917:                             ;   in Loop: Header=BB12_809 Depth=2
	s_or_b64 exec, exec, s[56:57]
	s_and_saveexec_b64 vcc, s[58:59]
	s_xor_b64 vcc, exec, vcc
	s_cbranch_execz .LBB12_919
; %bb.918:                              ;   in Loop: Header=BB12_809 Depth=2
	ds_write_b32 v0, v53
	s_trap 2
.LBB12_919:                             ;   in Loop: Header=BB12_809 Depth=2
	s_or_b64 exec, exec, s[54:55]
	;;#ASMSTART
	s_wakeup
	;;#ASMEND
.LBB12_920:                             ;   in Loop: Header=BB12_809 Depth=2
	s_or_b64 exec, exec, s[52:53]
.LBB12_921:                             ;   in Loop: Header=BB12_809 Depth=2
	s_andn2_saveexec_b64 vcc, s[50:51]
	s_cbranch_execz .LBB12_923
; %bb.922:                              ;   in Loop: Header=BB12_809 Depth=2
	s_waitcnt lgkmcnt(0)
	s_barrier
.LBB12_923:                             ;   in Loop: Header=BB12_809 Depth=2
	s_or_b64 exec, exec, vcc
	s_or_b64 exec, exec, s[22:23]
	s_and_saveexec_b64 s[22:23], s[20:21]
	s_xor_b64 s[50:51], exec, s[22:23]
	s_cbranch_execnz .LBB12_914
.LBB12_924:                             ;   in Loop: Header=BB12_809 Depth=2
	s_andn2_saveexec_b64 s[22:23], s[50:51]
	s_cbranch_execz .LBB12_943
.LBB12_925:                             ;   in Loop: Header=BB12_809 Depth=2
	s_and_saveexec_b64 vcc, s[40:41]
	s_xor_b64 s[50:51], exec, vcc
	s_cbranch_execz .LBB12_940
; %bb.926:                              ;   in Loop: Header=BB12_809 Depth=2
	s_and_saveexec_b64 s[52:53], s[12:13]
	s_cbranch_execz .LBB12_939
; %bb.927:                              ;   in Loop: Header=BB12_809 Depth=2
	s_mov_b64 s[56:57], exec
	v_mbcnt_lo_u32_b32 v3, s56, 0
	v_mbcnt_hi_u32_b32 v3, s57, v3
	v_cmp_eq_u32_e32 vcc, 0, v3
	;;#ASMSTART
	s_waitcnt lgkmcnt(0) vmcnt(0)
	;;#ASMEND
	s_and_saveexec_b64 s[54:55], vcc
	s_cbranch_execz .LBB12_929
; %bb.928:                              ;   in Loop: Header=BB12_809 Depth=2
	s_bcnt1_i32_b64 vcc_lo, s[56:57]
	v_mov_b32_e32 v38, vcc_lo
	ds_add_u64 v0, v[38:39]
	s_trap 2
.LBB12_929:                             ;   in Loop: Header=BB12_809 Depth=2
	s_or_b64 exec, exec, s[54:55]
	s_trap 2
	ds_read_b64 v[6:7], v0
	v_lshl_add_u64 v[14:15], v[14:15], 0, v[48:49]
	s_waitcnt lgkmcnt(0)
	v_cmp_lt_u64_e32 vcc, v[6:7], v[14:15]
	s_and_saveexec_b64 s[54:55], vcc
	s_cbranch_execz .LBB12_938
; %bb.930:                              ;   in Loop: Header=BB12_809 Depth=2
	s_mov_b32 s67, 0
	s_mov_b64 s[56:57], 0
                                        ; implicit-def: $sgpr58_sgpr59
                                        ; implicit-def: $sgpr60_sgpr61
	s_branch .LBB12_932
.LBB12_931:                             ;   in Loop: Header=BB12_932 Depth=3
	s_or_b64 exec, exec, s[64:65]
	s_and_b64 vcc, exec, vcc
	s_or_b64 s[56:57], vcc, s[56:57]
	s_andn2_b64 vcc, s[58:59], exec
	s_and_b64 s[58:59], s[60:61], exec
	s_or_b64 s[58:59], vcc, s[58:59]
	s_andn2_b64 exec, exec, s[56:57]
	s_cbranch_execz .LBB12_936
.LBB12_932:                             ;   Parent Loop BB12_81 Depth=1
                                        ;     Parent Loop BB12_809 Depth=2
                                        ; =>    This Inner Loop Header: Depth=3
	s_add_i32 s67, s67, 1
	s_cmpk_lg_i32 s67, 0x2710
	s_cselect_b64 s[62:63], -1, 0
	s_and_b64 vcc, exec, s[62:63]
                                        ; implicit-def: $sgpr64_sgpr65
	s_cbranch_vccnz .LBB12_934
; %bb.933:                              ;   in Loop: Header=BB12_932 Depth=3
	s_trap 2
	ds_read_b64 v[6:7], v0
	s_andn2_b64 s[62:63], s[62:63], exec
	s_mov_b32 s67, 0
	s_mov_b64 s[64:65], -1
	s_waitcnt vmcnt(0) lgkmcnt(0)
	flat_load_dword v3, v[6:7] sc0 sc1
	s_waitcnt vmcnt(0) lgkmcnt(0)
	buffer_inv sc0 sc1
	v_cmp_eq_u32_e32 vcc, 0, v3
	s_and_b64 vcc, vcc, exec
	s_or_b64 s[62:63], s[62:63], vcc
.LBB12_934:                             ;   in Loop: Header=BB12_932 Depth=3
	s_andn2_b64 s[60:61], s[60:61], exec
	s_and_b64 s[64:65], s[64:65], exec
	s_mov_b64 vcc, -1
	s_or_b64 s[60:61], s[60:61], s[64:65]
	s_and_saveexec_b64 s[64:65], s[62:63]
	s_cbranch_execz .LBB12_931
; %bb.935:                              ;   in Loop: Header=BB12_932 Depth=3
	s_sleep 1
	s_trap 2
	ds_read_b64 v[6:7], v0
	s_andn2_b64 s[60:61], s[60:61], exec
	s_waitcnt lgkmcnt(0)
	v_cmp_ge_u64_e32 vcc, v[6:7], v[14:15]
	s_orn2_b64 vcc, vcc, exec
	s_branch .LBB12_931
.LBB12_936:                             ;   in Loop: Header=BB12_809 Depth=2
	s_or_b64 exec, exec, s[56:57]
	s_and_saveexec_b64 vcc, s[58:59]
	s_xor_b64 vcc, exec, vcc
	s_cbranch_execz .LBB12_938
; %bb.937:                              ;   in Loop: Header=BB12_809 Depth=2
	ds_write_b32 v0, v53
	s_trap 2
.LBB12_938:                             ;   in Loop: Header=BB12_809 Depth=2
	s_or_b64 exec, exec, s[54:55]
	;;#ASMSTART
	s_wakeup
	;;#ASMEND
.LBB12_939:                             ;   in Loop: Header=BB12_809 Depth=2
	s_or_b64 exec, exec, s[52:53]
.LBB12_940:                             ;   in Loop: Header=BB12_809 Depth=2
	s_andn2_saveexec_b64 vcc, s[50:51]
	s_cbranch_execz .LBB12_942
; %bb.941:                              ;   in Loop: Header=BB12_809 Depth=2
	;;#ASMSTART
	s_waitcnt lgkmcnt(0) vmcnt(0)
	;;#ASMEND
	s_barrier
.LBB12_942:                             ;   in Loop: Header=BB12_809 Depth=2
	s_or_b64 exec, exec, vcc
.LBB12_943:                             ;   in Loop: Header=BB12_809 Depth=2
	s_or_b64 exec, exec, s[22:23]
	v_and_b32_e32 v3, 32, v62
	v_cmp_ne_u32_e32 vcc, 0, v3
	s_and_saveexec_b64 s[22:23], vcc
	s_cbranch_execz .LBB12_808
; %bb.944:                              ;   in Loop: Header=BB12_809 Depth=2
	v_lshl_add_u64 v[50:51], v[50:51], 0, 2
	flat_store_dwordx2 v[26:27], v[50:51] sc0 sc1
	s_branch .LBB12_808
.LBB12_945:                             ;   in Loop: Header=BB12_81 Depth=1
	s_or_b64 exec, exec, s[26:27]
	s_or_b64 exec, exec, s[24:25]
	v_cmp_gt_i32_e32 vcc, 2, v3
	s_and_saveexec_b64 s[24:25], vcc
	s_cbranch_execz .LBB12_80
.LBB12_946:                             ;   in Loop: Header=BB12_81 Depth=1
	v_cmp_eq_u32_e64 s[22:23], 0, v3
	s_mov_b64 s[26:27], 0
	s_branch .LBB12_948
.LBB12_947:                             ;   in Loop: Header=BB12_948 Depth=2
	s_or_b64 exec, exec, s[22:23]
	v_add_u32_e32 v2, v54, v2
	s_mov_b64 s[22:23], 0
	s_andn2_b64 exec, exec, s[26:27]
	s_cbranch_execz .LBB12_79
.LBB12_948:                             ;   Parent Loop BB12_81 Depth=1
                                        ; =>  This Loop Header: Depth=2
                                        ;       Child Loop BB12_954 Depth 3
                                        ;       Child Loop BB12_978 Depth 3
	;; [unrolled: 1-line block ×3, first 2 shown]
	v_and_b32_e32 v3, 4, v62
	s_mov_b64 s[50:51], -1
	v_cmp_ne_u32_e32 vcc, 0, v3
	s_and_saveexec_b64 s[28:29], vcc
	s_cbranch_execz .LBB12_960
; %bb.949:                              ;   in Loop: Header=BB12_948 Depth=2
	v_lshl_add_u64 v[4:5], v[50:51], 0, 2
	v_cmp_lt_u64_e32 vcc, v[36:37], v[4:5]
	v_mov_b32_e32 v3, 1
	s_and_saveexec_b64 s[50:51], vcc
	s_cbranch_execz .LBB12_959
; %bb.950:                              ;   in Loop: Header=BB12_948 Depth=2
	s_mov_b64 s[52:53], 0
	v_mov_b32_e32 v3, 0
                                        ; implicit-def: $sgpr54_sgpr55
	s_branch .LBB12_954
.LBB12_951:                             ;   in Loop: Header=BB12_954 Depth=3
	s_or_b64 exec, exec, s[62:63]
	v_mov_b32_e32 v6, 0
	s_orn2_b64 s[60:61], s[60:61], exec
.LBB12_952:                             ;   in Loop: Header=BB12_954 Depth=3
	s_or_b64 exec, exec, s[58:59]
	s_andn2_b64 vcc, s[54:55], exec
	s_and_b64 s[54:55], s[60:61], exec
	s_or_b64 s[54:55], vcc, s[54:55]
	v_mov_b32_e32 v3, v6
.LBB12_953:                             ;   in Loop: Header=BB12_954 Depth=3
	s_or_b64 exec, exec, s[56:57]
	s_waitcnt vmcnt(0) lgkmcnt(0)
	v_cmp_ge_u64_e32 vcc, v[36:37], v[4:5]
	s_xor_b64 s[56:57], s[54:55], -1
	s_or_b64 vcc, s[56:57], vcc
	s_and_b64 vcc, exec, vcc
	s_or_b64 s[52:53], vcc, s[52:53]
	s_andn2_b64 exec, exec, s[52:53]
	s_cbranch_execz .LBB12_958
.LBB12_954:                             ;   Parent Loop BB12_81 Depth=1
                                        ;     Parent Loop BB12_948 Depth=2
                                        ; =>    This Inner Loop Header: Depth=3
	s_sleep 1
	flat_load_dwordx2 v[36:37], v[26:27] sc0 sc1
	v_and_b32_e32 v6, 64, v62
	v_cmp_eq_u32_e32 vcc, 0, v6
	s_andn2_b64 s[54:55], s[54:55], exec
	s_and_saveexec_b64 s[56:57], vcc
	s_cbranch_execz .LBB12_953
; %bb.955:                              ;   in Loop: Header=BB12_954 Depth=3
	v_add_u32_e32 v6, 1, v3
	v_cmp_lt_i32_e32 vcc, s72, v3
	s_mov_b64 s[60:61], -1
	s_and_saveexec_b64 s[58:59], vcc
	s_cbranch_execz .LBB12_952
; %bb.956:                              ;   in Loop: Header=BB12_954 Depth=3
	s_trap 2
	ds_read_b64 v[6:7], v0
	s_waitcnt vmcnt(0) lgkmcnt(0)
	flat_load_dword v3, v[6:7] sc0 sc1
	s_waitcnt vmcnt(0) lgkmcnt(0)
	buffer_inv sc0 sc1
	v_cmp_ne_u32_e32 vcc, 0, v3
	s_and_saveexec_b64 s[62:63], vcc
	s_cbranch_execz .LBB12_951
; %bb.957:                              ;   in Loop: Header=BB12_954 Depth=3
	v_or_b32_e32 v62, 64, v62
	s_xor_b64 s[60:61], exec, -1
	ds_write_b32 v0, v3
	s_trap 2
	s_branch .LBB12_951
.LBB12_958:                             ;   in Loop: Header=BB12_948 Depth=2
	s_or_b64 exec, exec, s[52:53]
	v_and_b32_e32 v3, 4, v62
.LBB12_959:                             ;   in Loop: Header=BB12_948 Depth=2
	s_or_b64 exec, exec, s[50:51]
	v_cmp_eq_u32_e32 vcc, 0, v3
	s_orn2_b64 s[50:51], vcc, exec
	;;#ASMSTART
	s_wakeup
	;;#ASMEND
.LBB12_960:                             ;   in Loop: Header=BB12_948 Depth=2
	s_or_b64 exec, exec, s[28:29]
	s_xor_b64 s[22:23], s[22:23], -1
	s_and_b64 s[22:23], exec, s[22:23]
	s_or_b64 s[26:27], s[22:23], s[26:27]
	s_xor_b64 s[22:23], s[50:51], -1
	s_and_saveexec_b64 s[28:29], s[22:23]
	s_cbranch_execz .LBB12_970
; %bb.961:                              ;   in Loop: Header=BB12_948 Depth=2
	v_and_b32_e32 v3, 0x100, v62
	v_cmp_ne_u32_e32 vcc, 0, v3
	v_and_b32_e32 v3, 7, v50
	s_mov_b64 s[22:23], -1
                                        ; implicit-def: $vgpr4_vgpr5
	s_and_saveexec_b64 s[50:51], vcc
	s_cbranch_execz .LBB12_965
; %bb.962:                              ;   in Loop: Header=BB12_948 Depth=2
	v_mad_u64_u32 v[6:7], s[22:23], v3, 24, v[40:41]
	flat_load_dword v4, v[6:7]
	s_waitcnt vmcnt(0) lgkmcnt(0)
	v_cmp_ne_u32_e32 vcc, 1, v4
	v_cmp_eq_u32_e64 s[22:23], 1, v4
                                        ; implicit-def: $vgpr4_vgpr5
	s_and_saveexec_b64 s[52:53], s[22:23]
	s_cbranch_execz .LBB12_964
; %bb.963:                              ;   in Loop: Header=BB12_948 Depth=2
	flat_load_dword v4, v[6:7] offset:4 sc0 sc1
	s_waitcnt vmcnt(0) lgkmcnt(0)
	v_ashrrev_i32_e32 v5, 31, v4
.LBB12_964:                             ;   in Loop: Header=BB12_948 Depth=2
	s_or_b64 exec, exec, s[52:53]
	s_orn2_b64 s[22:23], vcc, exec
.LBB12_965:                             ;   in Loop: Header=BB12_948 Depth=2
	s_or_b64 exec, exec, s[50:51]
	s_and_saveexec_b64 vcc, s[22:23]
; %bb.966:                              ;   in Loop: Header=BB12_948 Depth=2
	v_mad_i64_i32 v[4:5], s[22:23], v3, v52, 0
; %bb.967:                              ;   in Loop: Header=BB12_948 Depth=2
	s_or_b64 exec, exec, vcc
	v_and_b32_e32 v3, 0x2000, v62
	v_lshl_add_u64 v[4:5], v[34:35], 0, v[4:5]
	v_cmp_ne_u32_e32 vcc, 0, v3
	ds_write_b64 v0, v[4:5] offset:720
	s_and_saveexec_b64 s[22:23], vcc
	s_cbranch_execz .LBB12_969
; %bb.968:                              ;   in Loop: Header=BB12_948 Depth=2
	ds_read_b64 v[4:5], v0 offset:584
	s_waitcnt lgkmcnt(0)
	v_lshl_add_u64 v[4:5], v[4:5], 0, 1
	ds_write_b64 v0, v[4:5] offset:584
.LBB12_969:                             ;   in Loop: Header=BB12_948 Depth=2
	s_or_b64 exec, exec, s[22:23]
	v_lshl_add_u64 v[50:51], v[50:51], 0, 2
.LBB12_970:                             ;   in Loop: Header=BB12_948 Depth=2
	s_or_b64 exec, exec, s[28:29]
	s_and_saveexec_b64 s[22:23], s[4:5]
	s_cbranch_execz .LBB12_989
; %bb.971:                              ;   in Loop: Header=BB12_948 Depth=2
	s_and_saveexec_b64 s[28:29], s[40:41]
	s_xor_b64 s[28:29], exec, s[28:29]
	s_cbranch_execz .LBB12_986
; %bb.972:                              ;   in Loop: Header=BB12_948 Depth=2
	s_and_saveexec_b64 s[50:51], s[12:13]
	s_cbranch_execz .LBB12_985
; %bb.973:                              ;   in Loop: Header=BB12_948 Depth=2
	s_mov_b64 s[54:55], exec
	v_mbcnt_lo_u32_b32 v3, s54, 0
	v_mbcnt_hi_u32_b32 v3, s55, v3
	v_cmp_eq_u32_e32 vcc, 0, v3
	s_waitcnt lgkmcnt(0)
	s_and_saveexec_b64 s[52:53], vcc
	s_cbranch_execz .LBB12_975
; %bb.974:                              ;   in Loop: Header=BB12_948 Depth=2
	s_bcnt1_i32_b64 vcc_lo, s[54:55]
	v_mov_b32_e32 v38, vcc_lo
	ds_add_u64 v0, v[38:39]
	s_trap 2
.LBB12_975:                             ;   in Loop: Header=BB12_948 Depth=2
	s_or_b64 exec, exec, s[52:53]
	s_trap 2
	ds_read_b64 v[4:5], v0
	v_lshl_add_u64 v[14:15], v[14:15], 0, v[48:49]
	s_waitcnt lgkmcnt(0)
	v_cmp_lt_u64_e32 vcc, v[4:5], v[14:15]
	s_and_saveexec_b64 s[52:53], vcc
	s_cbranch_execz .LBB12_984
; %bb.976:                              ;   in Loop: Header=BB12_948 Depth=2
	s_mov_b32 s64, 0
	s_mov_b64 s[54:55], 0
                                        ; implicit-def: $sgpr56_sgpr57
                                        ; implicit-def: $sgpr58_sgpr59
	s_branch .LBB12_978
.LBB12_977:                             ;   in Loop: Header=BB12_978 Depth=3
	s_or_b64 exec, exec, s[62:63]
	s_and_b64 vcc, exec, vcc
	s_or_b64 s[54:55], vcc, s[54:55]
	s_andn2_b64 vcc, s[56:57], exec
	s_and_b64 s[56:57], s[58:59], exec
	s_or_b64 s[56:57], vcc, s[56:57]
	s_andn2_b64 exec, exec, s[54:55]
	s_cbranch_execz .LBB12_982
.LBB12_978:                             ;   Parent Loop BB12_81 Depth=1
                                        ;     Parent Loop BB12_948 Depth=2
                                        ; =>    This Inner Loop Header: Depth=3
	s_add_i32 s64, s64, 1
	s_cmpk_lg_i32 s64, 0x2710
	s_cselect_b64 s[60:61], -1, 0
	s_and_b64 vcc, exec, s[60:61]
                                        ; implicit-def: $sgpr62_sgpr63
	s_cbranch_vccnz .LBB12_980
; %bb.979:                              ;   in Loop: Header=BB12_978 Depth=3
	s_trap 2
	ds_read_b64 v[4:5], v0
	s_andn2_b64 s[60:61], s[60:61], exec
	s_mov_b32 s64, 0
	s_mov_b64 s[62:63], -1
	s_waitcnt vmcnt(0) lgkmcnt(0)
	flat_load_dword v3, v[4:5] sc0 sc1
	s_waitcnt vmcnt(0) lgkmcnt(0)
	buffer_inv sc0 sc1
	v_cmp_eq_u32_e32 vcc, 0, v3
	s_and_b64 vcc, vcc, exec
	s_or_b64 s[60:61], s[60:61], vcc
.LBB12_980:                             ;   in Loop: Header=BB12_978 Depth=3
	s_andn2_b64 s[58:59], s[58:59], exec
	s_and_b64 s[62:63], s[62:63], exec
	s_mov_b64 vcc, -1
	s_or_b64 s[58:59], s[58:59], s[62:63]
	s_and_saveexec_b64 s[62:63], s[60:61]
	s_cbranch_execz .LBB12_977
; %bb.981:                              ;   in Loop: Header=BB12_978 Depth=3
	s_sleep 1
	s_trap 2
	ds_read_b64 v[4:5], v0
	s_andn2_b64 s[58:59], s[58:59], exec
	s_waitcnt lgkmcnt(0)
	v_cmp_ge_u64_e32 vcc, v[4:5], v[14:15]
	s_orn2_b64 vcc, vcc, exec
	s_branch .LBB12_977
.LBB12_982:                             ;   in Loop: Header=BB12_948 Depth=2
	s_or_b64 exec, exec, s[54:55]
	s_and_saveexec_b64 vcc, s[56:57]
	s_xor_b64 vcc, exec, vcc
	s_cbranch_execz .LBB12_984
; %bb.983:                              ;   in Loop: Header=BB12_948 Depth=2
	ds_write_b32 v0, v53
	s_trap 2
.LBB12_984:                             ;   in Loop: Header=BB12_948 Depth=2
	s_or_b64 exec, exec, s[52:53]
	;;#ASMSTART
	s_wakeup
	;;#ASMEND
.LBB12_985:                             ;   in Loop: Header=BB12_948 Depth=2
	s_or_b64 exec, exec, s[50:51]
.LBB12_986:                             ;   in Loop: Header=BB12_948 Depth=2
	s_andn2_saveexec_b64 s[28:29], s[28:29]
	s_cbranch_execz .LBB12_988
; %bb.987:                              ;   in Loop: Header=BB12_948 Depth=2
	s_waitcnt lgkmcnt(0)
	s_barrier
.LBB12_988:                             ;   in Loop: Header=BB12_948 Depth=2
	s_or_b64 exec, exec, s[28:29]
.LBB12_989:                             ;   in Loop: Header=BB12_948 Depth=2
	s_or_b64 exec, exec, s[22:23]
	v_sub_u32_e32 v3, v1, v2
	v_min_i32_e32 v54, v54, v3
	s_and_saveexec_b64 s[22:23], s[20:21]
	s_xor_b64 s[22:23], exec, s[22:23]
	s_cbranch_execz .LBB12_993
; %bb.990:                              ;   in Loop: Header=BB12_948 Depth=2
	s_trap 2
	ds_read_b32 v3, v0
	v_cmp_lt_i32_e32 vcc, 0, v54
	v_and_b32_e32 v4, 16, v62
	s_waitcnt lgkmcnt(0)
	v_readfirstlane_b32 s28, v3
	s_cmp_eq_u32 s28, 0
	s_cselect_b64 s[28:29], -1, 0
	s_and_b64 s[28:29], vcc, s[28:29]
	v_cmp_ne_u32_e32 vcc, 0, v4
	s_and_b64 vcc, vcc, s[28:29]
	s_and_saveexec_b64 s[28:29], vcc
	s_cbranch_execz .LBB12_992
; %bb.991:                              ;   in Loop: Header=BB12_948 Depth=2
	buffer_wbl2 sc1
	s_waitcnt vmcnt(0)
	buffer_inv sc1
.LBB12_992:                             ;   in Loop: Header=BB12_948 Depth=2
	s_or_b64 exec, exec, s[28:29]
.LBB12_993:                             ;   in Loop: Header=BB12_948 Depth=2
	s_andn2_saveexec_b64 s[22:23], s[22:23]
	s_cbranch_execz .LBB12_1012
; %bb.994:                              ;   in Loop: Header=BB12_948 Depth=2
	s_and_saveexec_b64 s[28:29], s[40:41]
	s_xor_b64 s[28:29], exec, s[28:29]
	s_cbranch_execz .LBB12_1009
; %bb.995:                              ;   in Loop: Header=BB12_948 Depth=2
	s_and_saveexec_b64 s[50:51], s[12:13]
	s_cbranch_execz .LBB12_1008
; %bb.996:                              ;   in Loop: Header=BB12_948 Depth=2
	s_mov_b64 s[54:55], exec
	v_mbcnt_lo_u32_b32 v3, s54, 0
	v_mbcnt_hi_u32_b32 v3, s55, v3
	v_cmp_eq_u32_e32 vcc, 0, v3
	;;#ASMSTART
	s_waitcnt lgkmcnt(0) vmcnt(0)
	;;#ASMEND
	s_and_saveexec_b64 s[52:53], vcc
	s_cbranch_execz .LBB12_998
; %bb.997:                              ;   in Loop: Header=BB12_948 Depth=2
	s_bcnt1_i32_b64 vcc_lo, s[54:55]
	v_mov_b32_e32 v38, vcc_lo
	ds_add_u64 v0, v[38:39]
	s_trap 2
.LBB12_998:                             ;   in Loop: Header=BB12_948 Depth=2
	s_or_b64 exec, exec, s[52:53]
	s_trap 2
	ds_read_b64 v[4:5], v0
	v_lshl_add_u64 v[14:15], v[14:15], 0, v[48:49]
	s_waitcnt lgkmcnt(0)
	v_cmp_lt_u64_e32 vcc, v[4:5], v[14:15]
	s_and_saveexec_b64 s[52:53], vcc
	s_cbranch_execz .LBB12_1007
; %bb.999:                              ;   in Loop: Header=BB12_948 Depth=2
	s_mov_b32 s64, 0
	s_mov_b64 s[54:55], 0
                                        ; implicit-def: $sgpr56_sgpr57
                                        ; implicit-def: $sgpr58_sgpr59
	s_branch .LBB12_1001
.LBB12_1000:                            ;   in Loop: Header=BB12_1001 Depth=3
	s_or_b64 exec, exec, s[62:63]
	s_and_b64 vcc, exec, vcc
	s_or_b64 s[54:55], vcc, s[54:55]
	s_andn2_b64 vcc, s[56:57], exec
	s_and_b64 s[56:57], s[58:59], exec
	s_or_b64 s[56:57], vcc, s[56:57]
	s_andn2_b64 exec, exec, s[54:55]
	s_cbranch_execz .LBB12_1005
.LBB12_1001:                            ;   Parent Loop BB12_81 Depth=1
                                        ;     Parent Loop BB12_948 Depth=2
                                        ; =>    This Inner Loop Header: Depth=3
	s_add_i32 s64, s64, 1
	s_cmpk_lg_i32 s64, 0x2710
	s_cselect_b64 s[60:61], -1, 0
	s_and_b64 vcc, exec, s[60:61]
                                        ; implicit-def: $sgpr62_sgpr63
	s_cbranch_vccnz .LBB12_1003
; %bb.1002:                             ;   in Loop: Header=BB12_1001 Depth=3
	s_trap 2
	ds_read_b64 v[4:5], v0
	s_andn2_b64 s[60:61], s[60:61], exec
	s_mov_b32 s64, 0
	s_mov_b64 s[62:63], -1
	s_waitcnt vmcnt(0) lgkmcnt(0)
	flat_load_dword v3, v[4:5] sc0 sc1
	s_waitcnt vmcnt(0) lgkmcnt(0)
	buffer_inv sc0 sc1
	v_cmp_eq_u32_e32 vcc, 0, v3
	s_and_b64 vcc, vcc, exec
	s_or_b64 s[60:61], s[60:61], vcc
.LBB12_1003:                            ;   in Loop: Header=BB12_1001 Depth=3
	s_andn2_b64 s[58:59], s[58:59], exec
	s_and_b64 s[62:63], s[62:63], exec
	s_mov_b64 vcc, -1
	s_or_b64 s[58:59], s[58:59], s[62:63]
	s_and_saveexec_b64 s[62:63], s[60:61]
	s_cbranch_execz .LBB12_1000
; %bb.1004:                             ;   in Loop: Header=BB12_1001 Depth=3
	s_sleep 1
	s_trap 2
	ds_read_b64 v[4:5], v0
	s_andn2_b64 s[58:59], s[58:59], exec
	s_waitcnt lgkmcnt(0)
	v_cmp_ge_u64_e32 vcc, v[4:5], v[14:15]
	s_orn2_b64 vcc, vcc, exec
	s_branch .LBB12_1000
.LBB12_1005:                            ;   in Loop: Header=BB12_948 Depth=2
	s_or_b64 exec, exec, s[54:55]
	s_and_saveexec_b64 vcc, s[56:57]
	s_xor_b64 vcc, exec, vcc
	s_cbranch_execz .LBB12_1007
; %bb.1006:                             ;   in Loop: Header=BB12_948 Depth=2
	ds_write_b32 v0, v53
	s_trap 2
.LBB12_1007:                            ;   in Loop: Header=BB12_948 Depth=2
	s_or_b64 exec, exec, s[52:53]
	;;#ASMSTART
	s_wakeup
	;;#ASMEND
.LBB12_1008:                            ;   in Loop: Header=BB12_948 Depth=2
	s_or_b64 exec, exec, s[50:51]
.LBB12_1009:                            ;   in Loop: Header=BB12_948 Depth=2
	s_andn2_saveexec_b64 s[28:29], s[28:29]
	s_cbranch_execz .LBB12_1011
; %bb.1010:                             ;   in Loop: Header=BB12_948 Depth=2
	;;#ASMSTART
	s_waitcnt lgkmcnt(0) vmcnt(0)
	;;#ASMEND
	s_barrier
.LBB12_1011:                            ;   in Loop: Header=BB12_948 Depth=2
	s_or_b64 exec, exec, s[28:29]
.LBB12_1012:                            ;   in Loop: Header=BB12_948 Depth=2
	s_or_b64 exec, exec, s[22:23]
	v_and_b32_e32 v3, 32, v62
	v_cmp_ne_u32_e32 vcc, 0, v3
	s_and_saveexec_b64 s[22:23], vcc
	s_cbranch_execz .LBB12_947
; %bb.1013:                             ;   in Loop: Header=BB12_948 Depth=2
	v_lshl_add_u64 v[50:51], v[50:51], 0, 2
	flat_store_dwordx2 v[26:27], v[50:51] sc0 sc1
	s_branch .LBB12_947
.LBB12_1014:
	s_or_b64 exec, exec, s[38:39]
	v_accvgpr_read_b32 v29, a19
	v_accvgpr_read_b32 v16, a0
	;; [unrolled: 1-line block ×5, first 2 shown]
.LBB12_1015:
	s_or_b64 exec, exec, s[36:37]
	v_and_b32_e32 v0, 0x800, v62
	v_cmp_eq_u32_e32 vcc, 0, v0
	s_and_saveexec_b64 s[0:1], vcc
	s_cbranch_execz .LBB12_1050
; %bb.1016:
	v_and_b32_e32 v0, 48, v62
	v_cmp_ne_u32_e32 vcc, 0, v0
	s_and_saveexec_b64 s[2:3], vcc
	s_cbranch_execz .LBB12_1018
; %bb.1017:
	flat_store_dwordx2 v[28:29], v[50:51] offset:104
.LBB12_1018:
	s_or_b64 exec, exec, s[2:3]
	s_movk_i32 s2, 0x88
	v_and_b32_e32 v0, 0x88, v62
	v_cmp_eq_u32_e32 vcc, s2, v0
	s_and_saveexec_b64 s[2:3], vcc
	s_cbranch_execz .LBB12_1030
; %bb.1019:
	v_add_u32_e32 v0, 6, v50
	v_and_b32_e32 v0, 7, v0
	v_mad_u64_u32 v[0:1], s[4:5], v0, 24, v[40:41]
	v_lshl_add_u64 v[2:3], v[0:1], 0, 8
	s_mov_b64 s[4:5], 0
	v_mov_b32_e32 v0, 0
	s_movk_i32 s20, 0x270e
                                        ; implicit-def: $sgpr6_sgpr7
	s_branch .LBB12_1024
.LBB12_1020:                            ;   in Loop: Header=BB12_1024 Depth=1
	s_or_b64 exec, exec, s[18:19]
	v_mov_b32_e32 v1, 0
	s_orn2_b64 s[16:17], s[16:17], exec
.LBB12_1021:                            ;   in Loop: Header=BB12_1024 Depth=1
	s_or_b64 exec, exec, s[14:15]
	s_and_b64 s[14:15], s[16:17], exec
	v_mov_b32_e32 v0, v1
.LBB12_1022:                            ;   in Loop: Header=BB12_1024 Depth=1
	s_or_b64 exec, exec, s[12:13]
	s_xor_b64 s[12:13], s[14:15], -1
	s_andn2_b64 s[6:7], s[6:7], exec
	s_and_b64 s[12:13], s[12:13], exec
	s_or_b64 s[6:7], s[6:7], s[12:13]
.LBB12_1023:                            ;   in Loop: Header=BB12_1024 Depth=1
	s_or_b64 exec, exec, s[10:11]
	s_and_b64 s[10:11], exec, s[6:7]
	s_or_b64 s[4:5], s[10:11], s[4:5]
	s_andn2_b64 exec, exec, s[4:5]
	s_cbranch_execz .LBB12_1029
.LBB12_1024:                            ; =>This Inner Loop Header: Depth=1
	flat_load_dwordx2 v[4:5], v[2:3] sc0 sc1
	s_waitcnt vmcnt(0)
	s_or_b64 s[6:7], s[6:7], exec
	s_waitcnt lgkmcnt(0)
	v_cmp_ne_u64_e32 vcc, -1, v[4:5]
	s_and_saveexec_b64 s[10:11], vcc
	s_cbranch_execz .LBB12_1023
; %bb.1025:                             ;   in Loop: Header=BB12_1024 Depth=1
	v_and_b32_e32 v1, 64, v62
	v_cmp_eq_u32_e32 vcc, 0, v1
	s_mov_b64 s[14:15], 0
	s_and_saveexec_b64 s[12:13], vcc
	s_cbranch_execz .LBB12_1022
; %bb.1026:                             ;   in Loop: Header=BB12_1024 Depth=1
	v_add_u32_e32 v1, 1, v0
	v_cmp_lt_i32_e32 vcc, s20, v0
	s_mov_b64 s[16:17], -1
	s_and_saveexec_b64 s[14:15], vcc
	s_cbranch_execz .LBB12_1021
; %bb.1027:                             ;   in Loop: Header=BB12_1024 Depth=1
	s_trap 2
	ds_read_b64 v[0:1], v0
	s_waitcnt lgkmcnt(0)
	flat_load_dword v0, v[0:1] sc0 sc1
	s_waitcnt vmcnt(0) lgkmcnt(0)
	buffer_inv sc0 sc1
	v_cmp_ne_u32_e32 vcc, 0, v0
	s_and_saveexec_b64 s[18:19], vcc
	s_cbranch_execz .LBB12_1020
; %bb.1028:                             ;   in Loop: Header=BB12_1024 Depth=1
	v_or_b32_e32 v62, 64, v62
	s_xor_b64 s[16:17], exec, -1
	ds_write_b32 v0, v0
	s_trap 2
	s_branch .LBB12_1020
.LBB12_1029:
	s_or_b64 exec, exec, s[4:5]
.LBB12_1030:
	s_or_b64 exec, exec, s[2:3]
	v_and_b32_e32 v0, 0x2000, v62
	v_cmp_ne_u32_e32 vcc, 0, v0
	s_and_saveexec_b64 s[2:3], vcc
	s_cbranch_execz .LBB12_1032
; %bb.1031:
	s_trap 2
	ds_read_b64 v[0:1], v0
	v_accvgpr_read_b32 v2, a16
	v_accvgpr_read_b32 v3, a17
	s_waitcnt lgkmcnt(0)
	flat_store_dwordx2 v[2:3], v[0:1] offset:16
.LBB12_1032:
	s_or_b64 exec, exec, s[2:3]
	v_cmp_ne_u32_e32 vcc, 64, v16
	s_and_b64 exec, exec, vcc
	s_cbranch_execz .LBB12_1050
; %bb.1033:
	v_cmp_ne_u32_sdwa s[2:3], v12, v16 src0_sel:WORD_0 src1_sel:DWORD
	s_and_saveexec_b64 s[4:5], s[2:3]
	s_xor_b64 s[2:3], exec, s[4:5]
	s_cbranch_execz .LBB12_1048
; %bb.1034:
	v_and_b32_e32 v0, 63, v31
	v_cmp_eq_u32_e32 vcc, 0, v0
	s_and_saveexec_b64 s[4:5], vcc
	s_cbranch_execz .LBB12_1047
; %bb.1035:
	s_mov_b64 s[10:11], exec
	v_mbcnt_lo_u32_b32 v0, s10, 0
	v_mbcnt_hi_u32_b32 v0, s11, v0
	v_cmp_eq_u32_e32 vcc, 0, v0
	s_waitcnt lgkmcnt(0)
	s_and_saveexec_b64 s[6:7], vcc
	s_cbranch_execz .LBB12_1037
; %bb.1036:
	s_bcnt1_i32_b64 s10, s[10:11]
	v_mov_b32_e32 v0, s10
	v_mov_b32_e32 v1, 0
	ds_add_u64 v0, v[0:1]
	s_trap 2
.LBB12_1037:
	s_or_b64 exec, exec, s[6:7]
	v_ashrrev_i32_e32 v0, 31, v16
	v_lshrrev_b32_e32 v0, 26, v0
	s_trap 2
	ds_read_b64 v[2:3], v0
	v_add_u32_e32 v0, v16, v0
	v_ashrrev_i32_e32 v0, 6, v0
	v_ashrrev_i32_e32 v1, 31, v0
	v_lshl_add_u64 v[0:1], v[14:15], 0, v[0:1]
	s_waitcnt lgkmcnt(0)
	v_cmp_lt_u64_e32 vcc, v[2:3], v[0:1]
	s_and_saveexec_b64 s[6:7], vcc
	s_cbranch_execz .LBB12_1046
; %bb.1038:
	s_mov_b32 s22, 0
	s_mov_b64 s[10:11], 0
                                        ; implicit-def: $sgpr12_sgpr13
                                        ; implicit-def: $sgpr14_sgpr15
	s_branch .LBB12_1040
.LBB12_1039:                            ;   in Loop: Header=BB12_1040 Depth=1
	s_or_b64 exec, exec, s[20:21]
	s_and_b64 s[16:17], exec, s[18:19]
	s_or_b64 s[10:11], s[16:17], s[10:11]
	s_andn2_b64 s[12:13], s[12:13], exec
	s_and_b64 s[16:17], s[14:15], exec
	s_or_b64 s[12:13], s[12:13], s[16:17]
	s_andn2_b64 exec, exec, s[10:11]
	s_cbranch_execz .LBB12_1044
.LBB12_1040:                            ; =>This Inner Loop Header: Depth=1
	s_add_i32 s22, s22, 1
	s_cmpk_lg_i32 s22, 0x2710
	s_cselect_b64 s[16:17], -1, 0
	s_and_b64 vcc, exec, s[16:17]
                                        ; implicit-def: $sgpr20_sgpr21
	s_cbranch_vccnz .LBB12_1042
; %bb.1041:                             ;   in Loop: Header=BB12_1040 Depth=1
	s_trap 2
	ds_read_b64 v[2:3], v0
	s_andn2_b64 s[16:17], s[16:17], exec
	s_mov_b32 s22, 0
	s_mov_b64 s[20:21], -1
	s_waitcnt vmcnt(0) lgkmcnt(0)
	flat_load_dword v2, v[2:3] sc0 sc1
	s_waitcnt vmcnt(0) lgkmcnt(0)
	buffer_inv sc0 sc1
	v_cmp_eq_u32_e32 vcc, 0, v2
	s_and_b64 s[18:19], vcc, exec
	s_or_b64 s[16:17], s[16:17], s[18:19]
.LBB12_1042:                            ;   in Loop: Header=BB12_1040 Depth=1
	s_andn2_b64 s[14:15], s[14:15], exec
	s_and_b64 s[20:21], s[20:21], exec
	s_mov_b64 s[18:19], -1
	s_or_b64 s[14:15], s[14:15], s[20:21]
	s_and_saveexec_b64 s[20:21], s[16:17]
	s_cbranch_execz .LBB12_1039
; %bb.1043:                             ;   in Loop: Header=BB12_1040 Depth=1
	s_sleep 1
	s_trap 2
	ds_read_b64 v[2:3], v0
	s_andn2_b64 s[14:15], s[14:15], exec
	s_waitcnt lgkmcnt(0)
	v_cmp_ge_u64_e32 vcc, v[2:3], v[0:1]
	s_orn2_b64 s[18:19], vcc, exec
	s_branch .LBB12_1039
.LBB12_1044:
	s_or_b64 exec, exec, s[10:11]
	s_and_saveexec_b64 s[10:11], s[12:13]
	s_xor_b64 s[10:11], exec, s[10:11]
	s_cbranch_execz .LBB12_1046
; %bb.1045:
	v_mov_b32_e32 v0, 1
	ds_write_b32 v0, v0
	s_trap 2
.LBB12_1046:
	s_or_b64 exec, exec, s[6:7]
	;;#ASMSTART
	s_wakeup
	;;#ASMEND
.LBB12_1047:
	s_or_b64 exec, exec, s[4:5]
.LBB12_1048:
	s_andn2_saveexec_b64 s[2:3], s[2:3]
	s_cbranch_execz .LBB12_1050
; %bb.1049:
	s_waitcnt lgkmcnt(0)
	s_barrier
.LBB12_1050:
	s_or_b64 exec, exec, s[0:1]
.LBB12_1051:
	s_andn2_saveexec_b64 s[22:23], s[30:31]
	s_cbranch_execz .LBB12_1053
; %bb.1052:
	s_getpc_b64 s[0:1]
	s_add_u32 s0, s0, __PRETTY_FUNCTION__._ZN10PrimitivesIa7FuncSumIaE12FanSymmetricILi1EELi0E11ProtoSimpleILi2ELi2ELi0ELi2ELi0ELi0EELi0ELb0ELi0ELi0ELi0EEC2EiiPKiS8_PKvPvmhhhP15ncclDevWorkCollP14ncclDevWorkP2pii@rel32@lo+4
	s_addc_u32 s1, s1, __PRETTY_FUNCTION__._ZN10PrimitivesIa7FuncSumIaE12FanSymmetricILi1EELi0E11ProtoSimpleILi2ELi2ELi0ELi2ELi0ELi0EELi0ELb0ELi0ELi0ELi0EEC2EiiPKiS8_PKvPvmhhhP15ncclDevWorkCollP14ncclDevWorkP2pii@rel32@hi+12
	v_mov_b32_e32 v0, s0
	v_mov_b32_e32 v1, s1
	s_getpc_b64 s[2:3]
	s_add_u32 s2, s2, __assert_fail@rel32@lo+4
	s_addc_u32 s3, s3, __assert_fail@rel32@hi+12
	s_swappc_b64 s[30:31], s[2:3]
	; divergent unreachable
.LBB12_1053:
	s_or_b64 exec, exec, s[22:23]
.LBB12_1054:
	s_or_b64 exec, exec, s[34:35]
	scratch_load_dword a43, off, s33        ; 4-byte Folded Reload
	scratch_load_dword a42, off, s33 offset:4 ; 4-byte Folded Reload
	scratch_load_dword a41, off, s33 offset:8 ; 4-byte Folded Reload
	;; [unrolled: 1-line block ×26, first 2 shown]
	v_readlane_b32 s30, v63, 44
	v_readlane_b32 s31, v63, 45
	;; [unrolled: 1-line block ×47, first 2 shown]
	s_or_saveexec_b64 s[2:3], -1
	scratch_load_dword v63, off, s33 offset:108 ; 4-byte Folded Reload
	s_mov_b64 exec, s[2:3]
	s_addk_i32 s32, 0xff80
	s_mov_b32 s33, s0
	s_waitcnt vmcnt(0) lgkmcnt(0)
	s_setpc_b64 s[30:31]
.Lfunc_end12:
	.size	_ZN12_GLOBAL__N_17runRingIa7FuncSumIaE11ProtoSimpleILi2ELi2ELi0ELi2ELi0ELi0EELi0ELi2ELi0ELb0EEEviiP15ncclDevWorkColl, .Lfunc_end12-_ZN12_GLOBAL__N_17runRingIa7FuncSumIaE11ProtoSimpleILi2ELi2ELi0ELi2ELi0ELi0EELi0ELi2ELi0ELb0EEEviiP15ncclDevWorkColl
                                        ; -- End function
	.section	.AMDGPU.csdata,"",@progbits
; Function info:
; codeLenInByte = 33148
; NumSgprs: 84
; NumVgprs: 64
; NumAgprs: 44
; TotalNumVgprs: 108
; ScratchSize: 192
; MemoryBound: 0
	.text
	.p2align	2                               ; -- Begin function _Z46ncclDevFunc_AllGather_RING_SIMPLE_Sum_i8_0_0_2v
	.type	_Z46ncclDevFunc_AllGather_RING_SIMPLE_Sum_i8_0_0_2v,@function
_Z46ncclDevFunc_AllGather_RING_SIMPLE_Sum_i8_0_0_2v: ; @_Z46ncclDevFunc_AllGather_RING_SIMPLE_Sum_i8_0_0_2v
; %bb.0:
	s_waitcnt vmcnt(0) expcnt(0) lgkmcnt(0)
	s_mov_b32 s0, s33
	s_mov_b32 s33, s32
	s_or_saveexec_b64 s[2:3], -1
	scratch_store_dword off, v44, s33 offset:20 ; 4-byte Folded Spill
	s_mov_b64 exec, s[2:3]
	v_writelane_b32 v44, s0, 57
	s_add_i32 s32, s32, 32
	scratch_store_dword off, v40, s33 offset:16 ; 4-byte Folded Spill
	scratch_store_dword off, v41, s33 offset:12 ; 4-byte Folded Spill
	;; [unrolled: 1-line block ×4, first 2 shown]
	scratch_store_dword off, v63, s33       ; 4-byte Folded Spill
	v_writelane_b32 v44, s34, 0
	v_writelane_b32 v44, s35, 1
	;; [unrolled: 1-line block ×56, first 2 shown]
	s_nop 1
	v_writelane_b32 v44, s31, 56
	s_trap 2
	ds_read_b32 v0, v0
	v_mov_b32_e32 v40, v31
	s_mov_b32 s81, s12
	s_mov_b64 s[82:83], s[8:9]
	s_waitcnt lgkmcnt(0)
	v_cmp_gt_i32_e32 vcc, 1, v0
	s_cbranch_vccnz .LBB13_11
; %bb.1:
	s_mov_b32 s88, 0
	v_and_b32_e32 v41, 0x3ff, v40
	s_mov_b64 s[84:85], src_shared_base
	v_mov_b32_e32 v43, 6
	s_branch .LBB13_3
.LBB13_2:                               ;   in Loop: Header=BB13_3 Depth=1
	s_or_b64 exec, exec, s[86:87]
	s_trap 2
	ds_read_b32 v0, v0
	s_add_i32 s88, s88, 1
	s_waitcnt lgkmcnt(0)
	v_cmp_lt_i32_e32 vcc, s88, v0
	s_cbranch_vccz .LBB13_11
.LBB13_3:                               ; =>This Inner Loop Header: Depth=1
	s_trap 2
	ds_read_b32 v0, v0
	s_cmp_eq_u32 s88, 0
	s_cbranch_scc1 .LBB13_6
; %bb.4:                                ;   in Loop: Header=BB13_3 Depth=1
	s_trap 2
	s_waitcnt lgkmcnt(0)
	ds_read_b32 v1, v0
	s_waitcnt lgkmcnt(0)
	v_xor_b32_e32 v1, v1, v0
	v_and_b32_e32 v1, 0xff0000, v1
	v_cmp_eq_u32_e32 vcc, 0, v1
	s_cbranch_vccnz .LBB13_6
; %bb.5:                                ;   in Loop: Header=BB13_3 Depth=1
	s_barrier
	ds_read_b32 v0, v0
.LBB13_6:                               ;   in Loop: Header=BB13_3 Depth=1
	s_waitcnt lgkmcnt(0)
	v_lshlrev_b32_sdwa v42, v43, v0 dst_sel:DWORD dst_unused:UNUSED_PAD src0_sel:DWORD src1_sel:BYTE_2
	v_cmp_lt_u32_e32 vcc, v41, v42
	s_and_saveexec_b64 s[86:87], vcc
	s_cbranch_execz .LBB13_2
; %bb.7:                                ;   in Loop: Header=BB13_3 Depth=1
	v_cmp_lt_i32_e32 vcc, -1, v0
	s_mov_b64 s[0:1], -1
	s_cbranch_vccnz .LBB13_9
; %bb.8:                                ;   in Loop: Header=BB13_3 Depth=1
	s_mov_b64 s[8:9], s[82:83]
	s_mov_b32 s12, s81
	v_mov_b32_e32 v31, v40
	v_mov_b32_e32 v0, v41
	;; [unrolled: 1-line block ×4, first 2 shown]
	s_getpc_b64 s[0:1]
	s_add_u32 s0, s0, _ZN12_GLOBAL__N_17runRingIa7FuncSumIaE11ProtoSimpleILi1ELi4ELi0ELi2ELi0ELi0EELi0ELi2ELi0ELb0EEEviiP15ncclDevWorkColl@rel32@lo+4
	s_addc_u32 s1, s1, _ZN12_GLOBAL__N_17runRingIa7FuncSumIaE11ProtoSimpleILi1ELi4ELi0ELi2ELi0ELi0EELi0ELi2ELi0ELb0EEEviiP15ncclDevWorkColl@rel32@hi+12
	s_swappc_b64 s[30:31], s[0:1]
	s_mov_b64 s[0:1], 0
.LBB13_9:                               ;   in Loop: Header=BB13_3 Depth=1
	s_andn2_b64 vcc, exec, s[0:1]
	s_cbranch_vccnz .LBB13_2
; %bb.10:                               ;   in Loop: Header=BB13_3 Depth=1
	s_mov_b64 s[8:9], s[82:83]
	s_mov_b32 s12, s81
	v_mov_b32_e32 v31, v40
	v_mov_b32_e32 v0, v41
	;; [unrolled: 1-line block ×4, first 2 shown]
	s_getpc_b64 s[0:1]
	s_add_u32 s0, s0, _ZN12_GLOBAL__N_17runRingIa7FuncSumIaE11ProtoSimpleILi2ELi2ELi0ELi2ELi0ELi0EELi0ELi2ELi0ELb0EEEviiP15ncclDevWorkColl@rel32@lo+4
	s_addc_u32 s1, s1, _ZN12_GLOBAL__N_17runRingIa7FuncSumIaE11ProtoSimpleILi2ELi2ELi0ELi2ELi0ELi0EELi0ELi2ELi0ELb0EEEviiP15ncclDevWorkColl@rel32@hi+12
	s_swappc_b64 s[30:31], s[0:1]
	s_branch .LBB13_2
.LBB13_11:
	scratch_load_dword v63, off, s33        ; 4-byte Folded Reload
	scratch_load_dword v43, off, s33 offset:4 ; 4-byte Folded Reload
	scratch_load_dword v42, off, s33 offset:8 ; 4-byte Folded Reload
	;; [unrolled: 1-line block ×4, first 2 shown]
	v_readlane_b32 s30, v44, 55
	v_readlane_b32 s31, v44, 56
	;; [unrolled: 1-line block ×58, first 2 shown]
	s_or_saveexec_b64 s[2:3], -1
	scratch_load_dword v44, off, s33 offset:20 ; 4-byte Folded Reload
	s_mov_b64 exec, s[2:3]
	s_addk_i32 s32, 0xffe0
	s_mov_b32 s33, s0
	s_waitcnt vmcnt(0)
	s_setpc_b64 s[30:31]
.Lfunc_end13:
	.size	_Z46ncclDevFunc_AllGather_RING_SIMPLE_Sum_i8_0_0_2v, .Lfunc_end13-_Z46ncclDevFunc_AllGather_RING_SIMPLE_Sum_i8_0_0_2v
                                        ; -- End function
	.section	.AMDGPU.csdata,"",@progbits
; Function info:
; codeLenInByte = 1388
; NumSgprs: 95
; NumVgprs: 64
; NumAgprs: 44
; TotalNumVgprs: 108
; ScratchSize: 224
; MemoryBound: 0
	.text
	.p2align	2                               ; -- Begin function _Z41ncclDevFunc_AllGather_PAT_LL_Sum_i8_0_0_2v
	.type	_Z41ncclDevFunc_AllGather_PAT_LL_Sum_i8_0_0_2v,@function
_Z41ncclDevFunc_AllGather_PAT_LL_Sum_i8_0_0_2v: ; @_Z41ncclDevFunc_AllGather_PAT_LL_Sum_i8_0_0_2v
; %bb.0:
	s_waitcnt vmcnt(0) expcnt(0) lgkmcnt(0)
	s_trap 2
	ds_read_b32 v0, v0
	s_waitcnt lgkmcnt(0)
	v_cmp_gt_i32_e32 vcc, 1, v0
	s_cbranch_vccnz .LBB14_6
; %bb.1:
	s_mov_b32 s0, 0
	s_branch .LBB14_3
.LBB14_2:                               ;   in Loop: Header=BB14_3 Depth=1
	s_add_i32 s0, s0, 1
	s_waitcnt lgkmcnt(0)
	v_cmp_lt_i32_e32 vcc, s0, v0
	s_cbranch_vccz .LBB14_6
.LBB14_3:                               ; =>This Inner Loop Header: Depth=1
	s_cmp_eq_u32 s0, 0
	s_cbranch_scc1 .LBB14_2
; %bb.4:                                ;   in Loop: Header=BB14_3 Depth=1
	s_trap 2
	ds_read_b32 v1, v0
	s_waitcnt lgkmcnt(0)
	v_xor_b32_e32 v1, v1, v1
	v_and_b32_e32 v1, 0xff0000, v1
	v_cmp_eq_u32_e32 vcc, 0, v1
	s_cbranch_vccnz .LBB14_2
; %bb.5:                                ;   in Loop: Header=BB14_3 Depth=1
	s_barrier
	s_trap 2
	ds_read_b32 v0, v0
	s_branch .LBB14_2
.LBB14_6:
	s_setpc_b64 s[30:31]
.Lfunc_end14:
	.size	_Z41ncclDevFunc_AllGather_PAT_LL_Sum_i8_0_0_2v, .Lfunc_end14-_Z41ncclDevFunc_AllGather_PAT_LL_Sum_i8_0_0_2v
                                        ; -- End function
	.section	.AMDGPU.csdata,"",@progbits
; Function info:
; codeLenInByte = 120
; NumSgprs: 38
; NumVgprs: 2
; NumAgprs: 0
; TotalNumVgprs: 2
; ScratchSize: 0
; MemoryBound: 0
	.text
	.p2align	2                               ; -- Begin function _Z45ncclDevFunc_AllGather_PAT_SIMPLE_Sum_i8_0_0_2v
	.type	_Z45ncclDevFunc_AllGather_PAT_SIMPLE_Sum_i8_0_0_2v,@function
_Z45ncclDevFunc_AllGather_PAT_SIMPLE_Sum_i8_0_0_2v: ; @_Z45ncclDevFunc_AllGather_PAT_SIMPLE_Sum_i8_0_0_2v
; %bb.0:
	s_waitcnt vmcnt(0) expcnt(0) lgkmcnt(0)
	s_or_saveexec_b64 s[0:1], -1
	scratch_store_dword off, v63, s32 offset:344 ; 4-byte Folded Spill
	s_mov_b64 exec, s[0:1]
	v_accvgpr_write_b32 a9, v40             ;  Reload Reuse
	v_accvgpr_write_b32 a14, v41            ;  Reload Reuse
	v_accvgpr_write_b32 a15, v42            ;  Reload Reuse
	;; [unrolled: 1-line block ×14, first 2 shown]
	v_writelane_b32 v63, s34, 0
	v_writelane_b32 v63, s35, 1
	;; [unrolled: 1-line block ×38, first 2 shown]
	s_nop 1
	v_writelane_b32 v63, s31, 38
	s_trap 2
	ds_read_b32 v0, v0
	s_waitcnt lgkmcnt(0)
	v_cmp_gt_i32_e32 vcc, 1, v0
	s_cbranch_vccnz .LBB15_389
; %bb.1:
	s_load_dword s0, s[8:9], 0x0
	v_mov_b32_e32 v16, 0
	v_and_b32_e32 v32, 0x3ff, v31
	v_and_b32_e32 v0, 63, v32
	s_mov_b32 s26, 0
	s_waitcnt lgkmcnt(0)
	s_cmp_lt_u32 s12, s0
	s_cselect_b32 s0, 12, 18
	s_add_u32 s0, s8, s0
	s_addc_u32 s1, s9, 0
	global_load_ushort a0, v16, s[0:1]
	s_movk_i32 s8, 0x80
	v_accvgpr_write_b32 a1, v0
	v_cmp_eq_u32_e64 s[10:11], 0, v0
	s_mov_b32 s66, s32
	s_mov_b64 s[36:37], src_shared_base
	v_mov_b32_e32 v0, 2
	s_brev_b32 s27, 1
	v_cmp_gt_u32_e64 s[0:1], 32, v32
	v_cmp_eq_u32_e64 s[2:3], 0, v32
	v_cmp_eq_u32_e64 s[4:5], s8, v32
	v_cmp_ne_u32_e64 s[6:7], s8, v32
	v_cmp_gt_u32_e64 s[8:9], s8, v32
	s_addk_i32 s66, 0xd8
	s_mov_b64 s[28:29], 0x1f8
	v_mov_b32_e32 v20, 1
	s_mov_b64 s[30:31], 0x1000
	s_mov_b64 s[34:35], 0x400
	s_movk_i32 s36, 0x270e
	s_movk_i32 s67, 0x88
	v_mov_b32_e32 v34, -1
	v_accvgpr_write_b32 a28, v1             ;  Reload Reuse
	v_accvgpr_write_b32 a29, v0             ;  Reload Reuse
	s_mov_b32 s68, s26
	s_trap 2
	s_branch .LBB15_4
.LBB15_2:                               ;   in Loop: Header=BB15_4 Depth=1
	s_or_b64 exec, exec, s[22:23]
.LBB15_3:                               ;   in Loop: Header=BB15_4 Depth=1
	s_or_b64 exec, exec, s[38:39]
	s_trap 2
	ds_read_b32 v0, v0
	s_add_i32 s68, s68, 1
	s_waitcnt lgkmcnt(0)
	v_cmp_lt_i32_e32 vcc, s68, v0
	s_cbranch_vccz .LBB15_389
.LBB15_4:                               ; =>This Loop Header: Depth=1
                                        ;     Child Loop BB15_18 Depth 2
                                        ;     Child Loop BB15_26 Depth 2
	;; [unrolled: 1-line block ×4, first 2 shown]
                                        ;       Child Loop BB15_54 Depth 3
                                        ;       Child Loop BB15_63 Depth 3
	;; [unrolled: 1-line block ×12, first 2 shown]
                                        ;     Child Loop BB15_232 Depth 2
                                        ;     Child Loop BB15_243 Depth 2
	;; [unrolled: 1-line block ×7, first 2 shown]
                                        ;       Child Loop BB15_290 Depth 3
                                        ;       Child Loop BB15_352 Depth 3
	;; [unrolled: 1-line block ×5, first 2 shown]
	s_trap 2
	ds_read_b32 v0, v0
	s_cmp_eq_u32 s68, 0
	s_waitcnt lgkmcnt(0)
	v_readfirstlane_b32 s12, v0
	s_cbranch_scc1 .LBB15_7
; %bb.5:                                ;   in Loop: Header=BB15_4 Depth=1
	s_trap 2
	ds_read_b32 v0, v0
	s_waitcnt lgkmcnt(0)
	v_xor_b32_e32 v0, s12, v0
	v_and_b32_e32 v0, 0xff0000, v0
	v_cmp_eq_u32_e32 vcc, 0, v0
	s_cbranch_vccnz .LBB15_7
; %bb.6:                                ;   in Loop: Header=BB15_4 Depth=1
	s_barrier
	s_trap 2
	ds_read_b32 v0, v0
	s_waitcnt lgkmcnt(0)
	v_readfirstlane_b32 s12, v0
.LBB15_7:                               ;   in Loop: Header=BB15_4 Depth=1
	s_bfe_u32 s14, s12, 0x80010
	s_lshl_b32 s16, s14, 6
	v_cmp_gt_u32_e32 vcc, s16, v32
	s_and_saveexec_b64 s[38:39], vcc
	s_cbranch_execz .LBB15_3
; %bb.8:                                ;   in Loop: Header=BB15_4 Depth=1
	s_trap 2
	ds_read_b64 v[6:7], v0
	ds_read_b32 v4, v0
	ds_read2_b64 v[0:3], v0 offset1:1
	s_and_b32 s15, s12, 0xff
	s_bfe_u32 s13, s12, 0x80008
	s_not_b32 s12, s15
	s_add_i32 s17, s13, s12
	s_ashr_i32 s18, s17, 31
	s_waitcnt lgkmcnt(0)
	v_mul_lo_u32 v5, v2, s18
	v_mul_hi_u32 v8, v2, s17
	v_add_u32_e32 v5, v8, v5
	v_mul_lo_u32 v8, v3, s17
	v_add_u32_e32 v9, v5, v8
	v_mul_lo_u32 v8, v2, s17
	v_cmp_ne_u32_e32 vcc, s15, v4
	v_readfirstlane_b32 s70, v6
	v_readfirstlane_b32 s69, v7
	v_lshl_add_u64 v[8:9], v[8:9], 0, v[0:1]
	s_cbranch_vccz .LBB15_11
; %bb.9:                                ;   in Loop: Header=BB15_4 Depth=1
	v_cmp_ne_u32_e32 vcc, s13, v4
	s_cbranch_vccz .LBB15_12
; %bb.10:                               ;   in Loop: Header=BB15_4 Depth=1
	v_add_u32_e32 v4, s12, v4
	v_ashrrev_i32_e32 v5, 31, v4
	v_mul_lo_u32 v5, v2, v5
	v_mul_hi_u32 v10, v2, v4
	v_add_u32_e32 v5, v10, v5
	s_trap 2
	ds_read_b64 v[10:11], v0
	v_mul_lo_u32 v12, v3, v4
	v_add_u32_e32 v5, v5, v12
	v_mul_lo_u32 v4, v2, v4
	v_lshl_add_u64 v[4:5], v[4:5], 0, v[0:1]
	s_waitcnt lgkmcnt(0)
	v_lshrrev_b64 v[10:11], 12, v[10:11]
	s_cbranch_execz .LBB15_13
	s_branch .LBB15_14
.LBB15_11:                              ;   in Loop: Header=BB15_4 Depth=1
                                        ; implicit-def: $vgpr10_vgpr11
                                        ; implicit-def: $vgpr4_vgpr5
	s_branch .LBB15_15
.LBB15_12:                              ;   in Loop: Header=BB15_4 Depth=1
                                        ; implicit-def: $vgpr10_vgpr11
                                        ; implicit-def: $vgpr4_vgpr5
.LBB15_13:                              ;   in Loop: Header=BB15_4 Depth=1
	s_trap 2
	ds_read_b32 v2, v0
	v_mov_b64_e32 v[4:5], v[8:9]
	s_waitcnt lgkmcnt(0)
	v_lshrrev_b32_e32 v10, 1, v2
	v_mov_b64_e32 v[2:3], v[6:7]
.LBB15_14:                              ;   in Loop: Header=BB15_4 Depth=1
	s_cbranch_execnz .LBB15_16
.LBB15_15:                              ;   in Loop: Header=BB15_4 Depth=1
	s_trap 2
	ds_read_b64 v[2:3], v0
	v_mov_b64_e32 v[4:5], 0
	s_waitcnt lgkmcnt(0)
	v_lshlrev_b64 v[10:11], 9, v[2:3]
	v_mov_b64_e32 v[2:3], v[0:1]
.LBB15_16:                              ;   in Loop: Header=BB15_4 Depth=1
	s_barrier
	s_and_saveexec_b64 s[12:13], s[0:1]
	s_cbranch_execz .LBB15_19
; %bb.17:                               ;   in Loop: Header=BB15_4 Depth=1
	s_mul_i32 s17, s14, 0xe00
	s_mov_b64 s[14:15], 0
	v_mov_b32_e32 v1, v32
                                        ; implicit-def: $vgpr0
.LBB15_18:                              ;   Parent Loop BB15_4 Depth=1
                                        ; =>  This Inner Loop Header: Depth=2
	v_add_u32_e32 v1, s16, v1
	v_cmp_lt_u32_e32 vcc, 31, v1
	ds_write_b32 v0, v16
	s_or_b64 s[14:15], vcc, s[14:15]
	v_add_u32_e32 v0, s17, v0
	s_andn2_b64 exec, exec, s[14:15]
	s_cbranch_execnz .LBB15_18
.LBB15_19:                              ;   in Loop: Header=BB15_4 Depth=1
	s_or_b64 exec, exec, s[12:13]
	s_and_saveexec_b64 s[12:13], s[2:3]
	s_cbranch_execz .LBB15_21
; %bb.20:                               ;   in Loop: Header=BB15_4 Depth=1
	v_mov_b32_e32 v17, v16
	ds_write_b64 v0, v[16:17]
	s_trap 2
.LBB15_21:                              ;   in Loop: Header=BB15_4 Depth=1
	s_or_b64 exec, exec, s[12:13]
	s_and_saveexec_b64 s[12:13], s[4:5]
	s_cbranch_execz .LBB15_23
; %bb.22:                               ;   in Loop: Header=BB15_4 Depth=1
	ds_write_b32 v0, v16
	s_trap 2
.LBB15_23:                              ;   in Loop: Header=BB15_4 Depth=1
	s_or_b64 exec, exec, s[12:13]
	s_waitcnt lgkmcnt(0)
	s_barrier
	s_and_saveexec_b64 s[12:13], s[6:7]
	s_xor_b64 s[40:41], exec, s[12:13]
	s_cbranch_execz .LBB15_254
; %bb.24:                               ;   in Loop: Header=BB15_4 Depth=1
	s_and_saveexec_b64 s[42:43], s[8:9]
	s_cbranch_execz .LBB15_253
; %bb.25:                               ;   in Loop: Header=BB15_4 Depth=1
	s_trap 2
	ds_read_b128 v[0:3], v0
	s_mov_b64 s[12:13], 0
.LBB15_26:                              ;   Parent Loop BB15_4 Depth=1
                                        ; =>  This Inner Loop Header: Depth=2
	v_mov_b32_e32 v17, v16
	s_trap 2
	flat_load_dword v4, v[16:17] sc0 sc1
	s_waitcnt vmcnt(0) lgkmcnt(0)
	v_cmp_ne_u32_e32 vcc, 0, v4
	s_or_b64 s[12:13], vcc, s[12:13]
	s_andn2_b64 exec, exec, s[12:13]
	s_cbranch_execnz .LBB15_26
; %bb.27:                               ;   in Loop: Header=BB15_4 Depth=1
	s_or_b64 exec, exec, s[12:13]
	v_lshlrev_b32_e32 v5, 6, v4
	v_sub_u32_e32 v6, 0, v5
	v_max_i32_e32 v5, v5, v6
	v_cvt_f32_u32_e32 v6, v5
	v_sub_u32_e32 v7, 0, v5
	v_bfe_i32 v4, v4, 25, 1
	s_trap 2
	v_rcp_iflag_f32_e32 v6, v6
	v_mov_b32_e32 v17, 0x800
	v_mul_f32_e32 v6, 0x4f7ffffe, v6
	v_cvt_u32_f32_e32 v6, v6
	v_mul_lo_u32 v7, v7, v6
	v_mul_hi_u32 v7, v6, v7
	v_add_u32_e32 v6, v6, v7
	v_lshrrev_b32_e32 v6, 25, v6
	v_mul_lo_u32 v7, v6, v5
	v_sub_u32_e32 v7, 0x80, v7
	v_add_u32_e32 v8, 1, v6
	v_cmp_ge_u32_e32 vcc, v7, v5
	s_nop 1
	v_cndmask_b32_e32 v6, v6, v8, vcc
	v_sub_u32_e32 v8, v7, v5
	v_cndmask_b32_e32 v7, v7, v8, vcc
	v_add_u32_e32 v8, 1, v6
	v_cmp_ge_u32_e32 vcc, v7, v5
	s_nop 1
	v_cndmask_b32_e32 v5, v6, v8, vcc
	v_xor_b32_e32 v5, v5, v4
	v_sub_u32_e32 v24, v5, v4
	v_lshlrev_b32_e32 v26, 6, v24
	v_sub_u32_e32 v4, 0, v26
	v_max_i32_e32 v8, v26, v4
	v_cvt_f32_u32_e32 v4, v8
	v_sub_u32_e32 v7, 0, v8
	v_bfe_i32 v10, v24, 25, 1
	v_rcp_iflag_f32_e32 v6, v4
	ds_read_b64 v[4:5], v0
	v_mul_f32_e32 v6, 0x4f7ffffe, v6
	v_cvt_u32_f32_e32 v6, v6
	v_mul_lo_u32 v7, v7, v6
	v_mul_hi_u32 v7, v6, v7
	v_add_u32_e32 v11, v6, v7
	v_mul_hi_u32 v6, v32, v11
	v_mul_lo_u32 v7, v6, v8
	v_sub_u32_e32 v7, v32, v7
	v_add_u32_e32 v9, 1, v6
	v_cmp_ge_u32_e32 vcc, v7, v8
	s_nop 1
	v_cndmask_b32_e32 v6, v6, v9, vcc
	v_sub_u32_e32 v9, v7, v8
	v_cndmask_b32_e32 v7, v7, v9, vcc
	v_add_u32_e32 v9, 1, v6
	v_cmp_ge_u32_e32 vcc, v7, v8
	s_nop 1
	v_cndmask_b32_e32 v6, v6, v9, vcc
	v_xor_b32_e32 v6, v6, v10
	v_sub_u32_e32 v21, v6, v10
	v_mul_lo_u32 v9, v21, v26
	v_sub_u32_e32 v50, v32, v9
	v_cmp_gt_i32_e32 vcc, 5, v50
	v_ashrrev_i32_e32 v51, 31, v50
	s_and_saveexec_b64 s[12:13], vcc
	s_cbranch_execz .LBB15_29
; %bb.28:                               ;   in Loop: Header=BB15_4 Depth=1
	s_getpc_b64 s[14:15]
	s_add_u32 s14, s14, __const.Primitives.roles.6@rel32@lo+4
	s_addc_u32 s15, s15, __const.Primitives.roles.6@rel32@hi+12
	v_lshl_add_u64 v[6:7], v[50:51], 2, s[14:15]
	global_load_dword v6, v[6:7], off
	s_waitcnt vmcnt(0)
	v_or_b32_e32 v17, 0x800, v6
.LBB15_29:                              ;   in Loop: Header=BB15_4 Depth=1
	s_or_b64 exec, exec, s[12:13]
	ds_read_b32 v6, v0
	v_lshlrev_b64 v[12:13], v50, 1
	v_cmp_gt_i32_e32 vcc, 32, v50
	s_trap 2
	s_waitcnt lgkmcnt(0)
	v_ashrrev_i32_e32 v7, 31, v6
	v_cmp_lt_u64_e64 s[12:13], v[12:13], v[6:7]
	s_and_b64 s[14:15], vcc, s[12:13]
	s_and_saveexec_b64 s[12:13], s[14:15]
	s_cbranch_execz .LBB15_31
; %bb.30:                               ;   in Loop: Header=BB15_4 Depth=1
	v_cvt_f32_u32_e32 v7, v6
	ds_read_b32 v25, v0
	v_sub_u32_e32 v12, 0, v6
	v_mov_b32_e32 v30, v26
	v_rcp_iflag_f32_e32 v7, v7
	v_lshlrev_b32_e64 v26, v50, 1
	s_waitcnt lgkmcnt(0)
	v_add_u32_e32 v13, v25, v26
	s_trap 2
	v_mul_f32_e32 v7, 0x4f7ffffe, v7
	v_cvt_u32_f32_e32 v7, v7
	ds_read_b64 v[18:19], v0
	v_sub_u32_e32 v26, v6, v26
	v_add_u32_e32 v25, v26, v25
	v_mul_lo_u32 v12, v12, v7
	v_mul_hi_u32 v12, v7, v12
	v_add_u32_e32 v7, v7, v12
	v_mul_hi_u32 v12, v13, v7
	v_mul_lo_u32 v12, v12, v6
	v_sub_u32_e32 v12, v13, v12
	v_sub_u32_e32 v13, v12, v6
	v_cmp_ge_u32_e32 vcc, v12, v6
	v_mul_hi_u32 v7, v25, v7
	v_mul_lo_u32 v7, v7, v6
	v_cndmask_b32_e32 v12, v12, v13, vcc
	v_sub_u32_e32 v13, v12, v6
	v_cmp_ge_u32_e32 vcc, v12, v6
	v_sub_u32_e32 v7, v25, v7
	v_sub_u32_e32 v25, v7, v6
	v_cndmask_b32_e32 v12, v12, v13, vcc
	v_ashrrev_i32_e32 v13, 31, v12
	s_waitcnt lgkmcnt(0)
	v_lshl_add_u64 v[12:13], v[12:13], 3, v[18:19]
	flat_load_dwordx2 v[22:23], v[12:13]
	v_cmp_ge_u32_e32 vcc, v7, v6
	s_mov_b32 s14, s26
	s_mov_b32 s15, s26
	v_cndmask_b32_e32 v7, v7, v25, vcc
	v_sub_u32_e32 v25, v7, v6
	v_cmp_ge_u32_e32 vcc, v7, v6
	v_mov_b32_e32 v26, v30
	s_waitcnt vmcnt(0) lgkmcnt(0)
	v_lshl_add_u64 v[12:13], v[22:23], 0, s[28:29]
	ds_write_b64 v0, v[12:13]
	flat_load_dwordx2 v[12:13], v[22:23] offset:520
	flat_load_dwordx2 v[28:29], v[22:23] offset:608
	v_cndmask_b32_e32 v6, v7, v25, vcc
	v_ashrrev_i32_e32 v7, 31, v6
	v_lshl_add_u64 v[6:7], v[6:7], 3, v[18:19]
	s_waitcnt vmcnt(0) lgkmcnt(0)
	ds_write_b64 v0, v[12:13]
	flat_load_dwordx4 v[12:15], v[22:23] offset:552
	ds_write_b64 v0, v[28:29]
	s_waitcnt vmcnt(0) lgkmcnt(0)
	ds_write_b64 v0, v[12:13]
	flat_load_dwordx2 v[12:13], v[12:13] sc0 sc1
	ds_write_b64 v0, v[14:15]
	flat_load_dwordx2 v[6:7], v[6:7]
	s_waitcnt vmcnt(0) lgkmcnt(0)
	flat_load_dwordx2 v[14:15], v[6:7] offset:104
	flat_load_dword v25, v[22:23] offset:576
	v_mov_b64_e32 v[22:23], s[14:15]
	s_waitcnt vmcnt(0) lgkmcnt(0)
	ds_write2_b64 v0, v[14:15], v[6:7] offset1:1
	flat_load_dwordx2 v[14:15], v[6:7] offset:96
	s_waitcnt vmcnt(0) lgkmcnt(0)
	ds_write_b64 v0, v[14:15]
	flat_load_dwordx2 v[14:15], v[6:7] offset:16
	flat_load_dwordx2 v[18:19], v[6:7] offset:56
	ds_write_b64 v0, v[22:23]
	ds_write_b64 v0, v[12:13]
	ds_write_b32 v0, v25
	s_waitcnt vmcnt(0) lgkmcnt(0)
	ds_write2_b64 v0, v[14:15], v[18:19] offset1:1
	flat_load_dwordx2 v[12:13], v[18:19] sc0 sc1
	flat_load_dwordx2 v[14:15], v[6:7] offset:48
	s_waitcnt vmcnt(0) lgkmcnt(0)
	ds_write2_b64 v0, v[14:15], v[12:13] offset1:1
	flat_load_dword v6, v[6:7] offset:72
	ds_write_b64 v0, v[22:23]
	s_waitcnt vmcnt(0) lgkmcnt(0)
	ds_write_b32 v0, v6
.LBB15_31:                              ;   in Loop: Header=BB15_4 Depth=1
	s_or_b64 exec, exec, s[12:13]
	v_cmp_eq_u32_e32 vcc, 0, v50
	s_trap 2
	s_and_saveexec_b64 s[12:13], vcc
	s_cbranch_execz .LBB15_33
; %bb.32:                               ;   in Loop: Header=BB15_4 Depth=1
	ds_write2_b64 v0, v[2:3], v[0:1] offset0:14 offset1:15
	ds_write_b64 v0, v[4:5]
	s_trap 2
.LBB15_33:                              ;   in Loop: Header=BB15_4 Depth=1
	s_or_b64 exec, exec, s[12:13]
	v_accvgpr_read_b32 v0, a0
	v_cmp_ne_u32_e64 s[12:13], v26, v0
                                        ; implicit-def: $vgpr30_vgpr31
                                        ; implicit-def: $vgpr0
	s_and_saveexec_b64 s[14:15], s[12:13]
	s_xor_b64 s[14:15], exec, s[14:15]
	s_cbranch_execz .LBB15_49
; %bb.34:                               ;   in Loop: Header=BB15_4 Depth=1
	v_mov_b64_e32 v[30:31], 0
	v_accvgpr_read_b32 v0, a1
	s_and_saveexec_b64 s[16:17], s[10:11]
	s_cbranch_execz .LBB15_48
; %bb.35:                               ;   in Loop: Header=BB15_4 Depth=1
	s_mov_b64 s[20:21], exec
	v_mbcnt_lo_u32_b32 v0, s20, 0
	v_mbcnt_hi_u32_b32 v0, s21, v0
	v_cmp_eq_u32_e32 vcc, 0, v0
	s_waitcnt lgkmcnt(0)
	s_and_saveexec_b64 s[18:19], vcc
	s_cbranch_execz .LBB15_37
; %bb.36:                               ;   in Loop: Header=BB15_4 Depth=1
	s_bcnt1_i32_b64 s20, s[20:21]
	v_mov_b32_e32 v0, s20
	v_mov_b32_e32 v1, v16
	ds_add_u64 v0, v[0:1]
	s_trap 2
.LBB15_37:                              ;   in Loop: Header=BB15_4 Depth=1
	s_or_b64 exec, exec, s[18:19]
	s_trap 2
	ds_read_b64 v[0:1], v0
	s_waitcnt lgkmcnt(0)
	v_cmp_lt_u64_e32 vcc, 1, v[0:1]
	s_cbranch_vccnz .LBB15_47
; %bb.38:                               ;   in Loop: Header=BB15_4 Depth=1
	s_mov_b32 s46, 0
	s_mov_b64 s[18:19], 0
                                        ; implicit-def: $sgpr20_sgpr21
                                        ; implicit-def: $sgpr22_sgpr23
	s_branch .LBB15_40
.LBB15_39:                              ;   in Loop: Header=BB15_40 Depth=2
	s_or_b64 exec, exec, s[44:45]
	s_and_b64 s[24:25], exec, vcc
	s_or_b64 s[18:19], s[24:25], s[18:19]
	s_andn2_b64 s[20:21], s[20:21], exec
	s_and_b64 s[24:25], s[22:23], exec
	s_or_b64 s[20:21], s[20:21], s[24:25]
	s_andn2_b64 exec, exec, s[18:19]
	s_cbranch_execz .LBB15_44
.LBB15_40:                              ;   Parent Loop BB15_4 Depth=1
                                        ; =>  This Inner Loop Header: Depth=2
	s_add_i32 s46, s46, 1
	s_cmpk_lg_i32 s46, 0x2710
	s_cselect_b64 s[24:25], -1, 0
	s_and_b64 vcc, exec, s[24:25]
                                        ; implicit-def: $sgpr44_sgpr45
	s_cbranch_vccnz .LBB15_42
; %bb.41:                               ;   in Loop: Header=BB15_40 Depth=2
	s_trap 2
	ds_read_b64 v[0:1], v0
	s_andn2_b64 s[24:25], s[24:25], exec
	s_mov_b32 s46, 0
	s_mov_b64 s[44:45], -1
	s_waitcnt lgkmcnt(0)
	flat_load_dword v0, v[0:1] sc0 sc1
	s_waitcnt vmcnt(0) lgkmcnt(0)
	buffer_inv sc0 sc1
	v_cmp_eq_u32_e32 vcc, 0, v0
	s_and_b64 vcc, vcc, exec
	s_or_b64 s[24:25], s[24:25], vcc
.LBB15_42:                              ;   in Loop: Header=BB15_40 Depth=2
	s_andn2_b64 s[22:23], s[22:23], exec
	s_and_b64 s[44:45], s[44:45], exec
	s_mov_b64 vcc, -1
	s_or_b64 s[22:23], s[22:23], s[44:45]
	s_and_saveexec_b64 s[44:45], s[24:25]
	s_cbranch_execz .LBB15_39
; %bb.43:                               ;   in Loop: Header=BB15_40 Depth=2
	s_sleep 1
	s_trap 2
	ds_read_b64 v[0:1], v0
	s_andn2_b64 s[22:23], s[22:23], exec
	s_waitcnt lgkmcnt(0)
	v_cmp_lt_u64_e32 vcc, 1, v[0:1]
	s_orn2_b64 vcc, vcc, exec
	s_branch .LBB15_39
.LBB15_44:                              ;   in Loop: Header=BB15_4 Depth=1
	s_or_b64 exec, exec, s[18:19]
	s_and_saveexec_b64 s[18:19], s[20:21]
	s_xor_b64 s[18:19], exec, s[18:19]
	s_cbranch_execz .LBB15_46
; %bb.45:                               ;   in Loop: Header=BB15_4 Depth=1
	ds_write_b32 v0, v20
	s_trap 2
.LBB15_46:                              ;   in Loop: Header=BB15_4 Depth=1
	s_or_b64 exec, exec, s[18:19]
.LBB15_47:                              ;   in Loop: Header=BB15_4 Depth=1
	v_mov_b64_e32 v[30:31], 2
	v_mov_b32_e32 v0, 0
	;;#ASMSTART
	s_wakeup
	;;#ASMEND
.LBB15_48:                              ;   in Loop: Header=BB15_4 Depth=1
	s_or_b64 exec, exec, s[16:17]
.LBB15_49:                              ;   in Loop: Header=BB15_4 Depth=1
	s_or_saveexec_b64 s[14:15], s[14:15]
	v_accvgpr_write_b32 a2, v32
	s_xor_b64 exec, exec, s[14:15]
	s_cbranch_execz .LBB15_51
; %bb.50:                               ;   in Loop: Header=BB15_4 Depth=1
	v_mov_b64_e32 v[30:31], 0
	v_accvgpr_read_b32 v0, a1
	s_waitcnt lgkmcnt(0)
	s_barrier
.LBB15_51:                              ;   in Loop: Header=BB15_4 Depth=1
	s_or_b64 exec, exec, s[14:15]
	v_lshrrev_b32_e32 v1, 25, v11
	v_mul_lo_u32 v2, v1, v8
	v_sub_u32_e32 v2, 0x80, v2
	v_add_u32_e32 v3, 1, v1
	v_cmp_ge_u32_e32 vcc, v2, v8
	v_cmp_eq_u32_e64 s[14:15], 0, v0
	v_lshrrev_b32_e32 v0, 26, v51
	v_cndmask_b32_e32 v1, v1, v3, vcc
	v_sub_u32_e32 v3, v2, v8
	v_cndmask_b32_e32 v2, v2, v3, vcc
	v_add_u32_e32 v0, v50, v0
	v_add_u32_e32 v3, 1, v1
	v_cmp_ge_u32_e32 vcc, v2, v8
	v_ashrrev_i32_e32 v23, 6, v0
	v_and_b32_e32 v0, 0xffffffc0, v0
	v_cndmask_b32_e32 v1, v1, v3, vcc
	v_sub_u32_e32 v28, v50, v0
	v_lshlrev_b32_e32 v0, 12, v23
	v_lshlrev_b32_e32 v2, 12, v24
	v_xor_b32_e32 v1, v1, v10
	v_lshl_add_u32 v32, v28, 4, v0
	v_add_u32_e32 v0, 0xfffff000, v2
	v_sub_u32_e32 v25, v1, v10
	v_ashrrev_i32_e32 v1, 31, v0
	v_lshlrev_b32_e32 v38, 10, v24
	v_lshl_add_u64 v[36:37], v[0:1], 0, s[30:31]
	v_add_u32_e32 v0, 0xfffffc00, v38
	v_ashrrev_i32_e32 v1, 31, v0
	v_lshl_add_u64 v[48:49], v[0:1], 0, s[34:35]
	v_subrev_u32_e32 v0, 64, v26
	v_ashrrev_i32_e32 v1, 31, v0
	v_lshl_add_u64 v[56:57], v[0:1], 0, 64
	v_ashrrev_i32_e32 v3, 31, v2
	v_accvgpr_read_b32 v0, a2
	v_accvgpr_write_b32 a11, v3
	v_accvgpr_write_b32 a12, v56
	v_cmp_gt_i32_e64 s[16:17], 1, v28
	v_ashrrev_i32_e32 v33, 31, v32
	v_cmp_eq_u32_e64 s[18:19], v0, v9
	v_accvgpr_write_b32 a10, v2
	v_ashrrev_i32_e32 v39, 31, v38
	v_ashrrev_i32_e32 v27, 31, v26
	s_mov_b64 s[44:45], 0
	v_accvgpr_write_b32 a6, v50
	v_accvgpr_write_b32 a7, v23
	;; [unrolled: 1-line block ×4, first 2 shown]
	s_trap 2
                                        ; implicit-def: $vgpr52_vgpr53
	s_branch .LBB15_53
.LBB15_52:                              ;   in Loop: Header=BB15_53 Depth=2
	s_or_b64 exec, exec, s[20:21]
	s_waitcnt lgkmcnt(0)
	v_cmp_ne_u32_e32 vcc, 0, v19
	s_or_b64 s[44:45], vcc, s[44:45]
	v_add_u32_e32 v21, v21, v25
	s_andn2_b64 exec, exec, s[44:45]
	s_cbranch_execz .LBB15_223
.LBB15_53:                              ;   Parent Loop BB15_4 Depth=1
                                        ; =>  This Loop Header: Depth=2
                                        ;       Child Loop BB15_54 Depth 3
                                        ;       Child Loop BB15_63 Depth 3
	;; [unrolled: 1-line block ×12, first 2 shown]
	s_mov_b64 s[20:21], 0
	s_trap 2
.LBB15_54:                              ;   Parent Loop BB15_4 Depth=1
                                        ;     Parent Loop BB15_53 Depth=2
                                        ; =>    This Inner Loop Header: Depth=3
	ds_read_b32 v0, v0 offset:36
	s_waitcnt lgkmcnt(0)
	v_cmp_ne_u32_e32 vcc, 0, v0
	s_or_b64 s[20:21], vcc, s[20:21]
	s_andn2_b64 exec, exec, s[20:21]
	s_cbranch_execnz .LBB15_54
; %bb.55:                               ;   in Loop: Header=BB15_53 Depth=2
	s_or_b64 exec, exec, s[20:21]
	ds_read_b32 v19, v0 offset:32
	v_and_b32_e32 v0, 2, v0
	v_cmp_ne_u32_e32 vcc, 0, v0
	s_and_saveexec_b64 s[20:21], vcc
	s_xor_b64 s[20:21], exec, s[20:21]
	s_cbranch_execz .LBB15_67
; %bb.56:                               ;   in Loop: Header=BB15_53 Depth=2
	s_and_saveexec_b64 s[22:23], s[12:13]
	s_xor_b64 s[22:23], exec, s[22:23]
	s_cbranch_execz .LBB15_83
; %bb.57:                               ;   in Loop: Header=BB15_53 Depth=2
	s_and_saveexec_b64 s[24:25], s[14:15]
	s_cbranch_execz .LBB15_146
; %bb.58:                               ;   in Loop: Header=BB15_53 Depth=2
	s_mov_b64 s[48:49], exec
	v_mbcnt_lo_u32_b32 v0, s48, 0
	v_mbcnt_hi_u32_b32 v0, s49, v0
	v_cmp_eq_u32_e32 vcc, 0, v0
	s_waitcnt lgkmcnt(0)
	s_and_saveexec_b64 s[46:47], vcc
	s_cbranch_execz .LBB15_60
; %bb.59:                               ;   in Loop: Header=BB15_53 Depth=2
	s_bcnt1_i32_b64 vcc_lo, s[48:49]
	v_mov_b32_e32 v0, vcc_lo
	v_mov_b32_e32 v1, v16
	ds_add_u64 v0, v[0:1]
	s_trap 2
.LBB15_60:                              ;   in Loop: Header=BB15_53 Depth=2
	s_or_b64 exec, exec, s[46:47]
	s_trap 2
	ds_read_b64 v[0:1], v0
	v_lshl_add_u64 v[30:31], v[30:31], 0, 2
	s_waitcnt lgkmcnt(0)
	v_cmp_lt_u64_e32 vcc, v[0:1], v[30:31]
	s_and_saveexec_b64 s[46:47], vcc
	s_cbranch_execz .LBB15_145
; %bb.61:                               ;   in Loop: Header=BB15_53 Depth=2
	s_mov_b32 s58, 0
	s_mov_b64 s[48:49], 0
                                        ; implicit-def: $sgpr50_sgpr51
                                        ; implicit-def: $sgpr52_sgpr53
	s_branch .LBB15_63
.LBB15_62:                              ;   in Loop: Header=BB15_63 Depth=3
	s_or_b64 exec, exec, s[56:57]
	s_and_b64 vcc, exec, vcc
	s_or_b64 s[48:49], vcc, s[48:49]
	s_andn2_b64 vcc, s[50:51], exec
	s_and_b64 s[50:51], s[52:53], exec
	s_or_b64 s[50:51], vcc, s[50:51]
	s_andn2_b64 exec, exec, s[48:49]
	s_cbranch_execz .LBB15_143
.LBB15_63:                              ;   Parent Loop BB15_4 Depth=1
                                        ;     Parent Loop BB15_53 Depth=2
                                        ; =>    This Inner Loop Header: Depth=3
	s_add_i32 s58, s58, 1
	s_cmpk_lg_i32 s58, 0x2710
	s_cselect_b64 s[54:55], -1, 0
	s_and_b64 vcc, exec, s[54:55]
                                        ; implicit-def: $sgpr56_sgpr57
	s_cbranch_vccnz .LBB15_65
; %bb.64:                               ;   in Loop: Header=BB15_63 Depth=3
	s_trap 2
	ds_read_b64 v[0:1], v0
	s_andn2_b64 s[54:55], s[54:55], exec
	s_mov_b32 s58, 0
	s_mov_b64 s[56:57], -1
	s_waitcnt lgkmcnt(0)
	flat_load_dword v0, v[0:1] sc0 sc1
	s_waitcnt vmcnt(0) lgkmcnt(0)
	buffer_inv sc0 sc1
	v_cmp_eq_u32_e32 vcc, 0, v0
	s_and_b64 vcc, vcc, exec
	s_or_b64 s[54:55], s[54:55], vcc
.LBB15_65:                              ;   in Loop: Header=BB15_63 Depth=3
	s_andn2_b64 s[52:53], s[52:53], exec
	s_and_b64 s[56:57], s[56:57], exec
	s_mov_b64 vcc, -1
	s_or_b64 s[52:53], s[52:53], s[56:57]
	s_and_saveexec_b64 s[56:57], s[54:55]
	s_cbranch_execz .LBB15_62
; %bb.66:                               ;   in Loop: Header=BB15_63 Depth=3
	s_sleep 1
	s_trap 2
	ds_read_b64 v[0:1], v0
	s_andn2_b64 s[52:53], s[52:53], exec
	s_waitcnt lgkmcnt(0)
	v_cmp_ge_u64_e32 vcc, v[0:1], v[30:31]
	s_orn2_b64 vcc, vcc, exec
	s_branch .LBB15_62
.LBB15_67:                              ;   in Loop: Header=BB15_53 Depth=2
	s_andn2_saveexec_b64 s[46:47], s[20:21]
	s_cbranch_execz .LBB15_88
.LBB15_68:                              ;   in Loop: Header=BB15_53 Depth=2
	ds_read_b64 v[4:5], v0
	ds_read2_b64 v[0:3], v0 offset0:14 offset1:15
	v_and_b32_e32 v7, 36, v17
	v_cmp_ne_u32_e64 s[20:21], 0, v7
	v_mov_b64_e32 v[54:55], 0
	s_waitcnt lgkmcnt(0)
	v_cmp_lt_i32_e32 vcc, -1, v4
	s_waitcnt lgkmcnt(0)
	ds_read_b32 v6, v0 offset:28
	ds_read2_b32 v[42:43], v0 offset0:5 offset1:6
	s_and_b64 s[48:49], vcc, s[20:21]
	s_and_saveexec_b64 s[20:21], s[48:49]
	s_cbranch_execz .LBB15_70
; %bb.69:                               ;   in Loop: Header=BB15_53 Depth=2
	s_trap 2
	ds_read_b64 v[52:53], v0
	v_mov_b32_e32 v55, s37
.LBB15_70:                              ;   in Loop: Header=BB15_53 Depth=2
	s_or_b64 exec, exec, s[20:21]
	v_and_b32_e32 v4, 24, v17
	v_cmp_lt_i32_e32 vcc, -1, v5
	v_cmp_ne_u32_e64 s[20:21], 0, v4
	s_and_b64 s[50:51], vcc, s[20:21]
	s_and_saveexec_b64 s[20:21], s[50:51]
	s_cbranch_execz .LBB15_72
; %bb.71:                               ;   in Loop: Header=BB15_53 Depth=2
	s_trap 2
	s_waitcnt lgkmcnt(0)
	ds_read_b64 v[52:53], v0
	v_mov_b32_e32 v55, s37
.LBB15_72:                              ;   in Loop: Header=BB15_53 Depth=2
	s_or_b64 exec, exec, s[20:21]
	v_and_b32_e32 v4, 4, v17
	v_cmp_ne_u32_e32 vcc, 0, v4
	s_waitcnt lgkmcnt(0)
	v_max_i32_e32 v40, 0, v6
	s_and_b64 s[22:23], s[48:49], vcc
	s_waitcnt lgkmcnt(0)
	v_lshl_add_u64 v[44:45], v[52:53], 0, 1
	s_and_saveexec_b64 s[20:21], s[22:23]
	s_cbranch_execz .LBB15_96
; %bb.73:                               ;   in Loop: Header=BB15_53 Depth=2
	flat_load_dwordx2 v[6:7], v[54:55] offset:24
	flat_load_dword v10, v[54:55] offset:64
	ds_read2_b32 v[8:9], v0 offset0:2 offset1:4
	v_lshl_add_u64 v[4:5], v[52:53], 0, 1
	s_mov_b64 s[22:23], 0
                                        ; implicit-def: $sgpr54_sgpr55
                                        ; implicit-def: $sgpr52_sgpr53
	s_waitcnt lgkmcnt(0)
	v_add_u32_e32 v11, v52, v9
	v_and_b32_e32 v11, 7, v11
	v_ashrrev_i32_e32 v9, 31, v8
	s_waitcnt vmcnt(0)
	v_mad_i64_i32 v[6:7], s[24:25], v11, v10, v[6:7]
	v_lshl_add_u64 v[6:7], v[6:7], 0, v[8:9]
	v_mov_b32_e32 v8, 0
	ds_write_b64 v0, v[6:7] offset:584
                                        ; implicit-def: $sgpr24_sgpr25
	s_branch .LBB15_78
.LBB15_74:                              ;   in Loop: Header=BB15_78 Depth=3
	s_or_b64 exec, exec, s[64:65]
	v_mov_b32_e32 v6, 0
	s_orn2_b64 s[62:63], s[62:63], exec
.LBB15_75:                              ;   in Loop: Header=BB15_78 Depth=3
	s_or_b64 exec, exec, s[60:61]
	s_and_b64 s[60:61], s[62:63], exec
	v_mov_b32_e32 v8, v6
.LBB15_76:                              ;   in Loop: Header=BB15_78 Depth=3
	s_or_b64 exec, exec, s[58:59]
	s_xor_b64 vcc, s[60:61], -1
	s_andn2_b64 s[54:55], s[54:55], exec
	s_and_b64 vcc, vcc, exec
	s_andn2_b64 s[52:53], s[52:53], exec
	s_or_b64 s[54:55], s[54:55], vcc
                                        ; implicit-def: $vgpr6_vgpr7
.LBB15_77:                              ;   in Loop: Header=BB15_78 Depth=3
	s_or_b64 exec, exec, s[56:57]
	s_and_b64 vcc, exec, s[54:55]
	s_or_b64 s[22:23], vcc, s[22:23]
	s_andn2_b64 s[24:25], s[24:25], exec
	s_and_b64 vcc, s[52:53], exec
	s_or_b64 s[24:25], s[24:25], vcc
	s_andn2_b64 exec, exec, s[22:23]
	s_cbranch_execz .LBB15_89
.LBB15_78:                              ;   Parent Loop BB15_4 Depth=1
                                        ;     Parent Loop BB15_53 Depth=2
                                        ; =>    This Inner Loop Header: Depth=3
	flat_load_dwordx2 v[10:11], v[54:55] offset:48
	ds_read_b32 v6, v0 offset:16
	s_or_b64 s[52:53], s[52:53], exec
	s_or_b64 s[54:55], s[54:55], exec
	s_waitcnt lgkmcnt(0)
	v_ashrrev_i32_e32 v7, 31, v6
	v_lshl_add_u64 v[12:13], v[4:5], 0, v[6:7]
	s_waitcnt vmcnt(0)
	v_cmp_lt_u64_e32 vcc, v[10:11], v[12:13]
	s_and_saveexec_b64 s[56:57], vcc
	s_cbranch_execz .LBB15_77
; %bb.79:                               ;   in Loop: Header=BB15_78 Depth=3
	flat_load_dwordx2 v[6:7], v[54:55] offset:40
	v_and_b32_e32 v9, 64, v17
	v_cmp_eq_u32_e32 vcc, 0, v9
	s_mov_b64 s[60:61], 0
	s_waitcnt vmcnt(0) lgkmcnt(0)
	flat_load_dwordx2 v[6:7], v[6:7] sc0 sc1
	s_waitcnt vmcnt(0) lgkmcnt(0)
	flat_store_dwordx2 v[54:55], v[6:7] offset:48
	s_and_saveexec_b64 s[58:59], vcc
	s_cbranch_execz .LBB15_76
; %bb.80:                               ;   in Loop: Header=BB15_78 Depth=3
	v_add_u32_e32 v6, 1, v8
	v_cmp_lt_i32_e32 vcc, s36, v8
	s_mov_b64 s[62:63], -1
	s_and_saveexec_b64 s[60:61], vcc
	s_cbranch_execz .LBB15_75
; %bb.81:                               ;   in Loop: Header=BB15_78 Depth=3
	s_trap 2
	ds_read_b64 v[6:7], v0
	s_waitcnt vmcnt(0) lgkmcnt(0)
	flat_load_dword v6, v[6:7] sc0 sc1
	s_waitcnt vmcnt(0) lgkmcnt(0)
	buffer_inv sc0 sc1
	v_cmp_ne_u32_e32 vcc, 0, v6
	s_and_saveexec_b64 s[64:65], vcc
	s_cbranch_execz .LBB15_74
; %bb.82:                               ;   in Loop: Header=BB15_78 Depth=3
	v_or_b32_e32 v17, 64, v17
	s_xor_b64 s[62:63], exec, -1
	ds_write_b32 v0, v6
	s_trap 2
	s_branch .LBB15_74
.LBB15_83:                              ;   in Loop: Header=BB15_53 Depth=2
	s_andn2_saveexec_b64 s[22:23], s[22:23]
	s_cbranch_execz .LBB15_147
.LBB15_84:                              ;   in Loop: Header=BB15_53 Depth=2
	s_waitcnt lgkmcnt(0)
	s_barrier
	s_or_b64 exec, exec, s[22:23]
	s_and_saveexec_b64 s[22:23], s[12:13]
	s_xor_b64 s[22:23], exec, s[22:23]
	s_cbranch_execnz .LBB15_148
.LBB15_85:                              ;   in Loop: Header=BB15_53 Depth=2
	s_andn2_saveexec_b64 s[22:23], s[22:23]
	s_cbranch_execz .LBB15_87
.LBB15_86:                              ;   in Loop: Header=BB15_53 Depth=2
	s_waitcnt lgkmcnt(0)
	s_barrier
.LBB15_87:                              ;   in Loop: Header=BB15_53 Depth=2
	s_or_b64 exec, exec, s[22:23]
	s_andn2_saveexec_b64 s[46:47], s[20:21]
	s_cbranch_execnz .LBB15_68
.LBB15_88:                              ;   in Loop: Header=BB15_53 Depth=2
	s_or_b64 exec, exec, s[46:47]
	s_and_saveexec_b64 s[20:21], s[18:19]
	s_cbranch_execz .LBB15_52
	s_branch .LBB15_216
.LBB15_89:                              ;   in Loop: Header=BB15_53 Depth=2
	s_or_b64 exec, exec, s[22:23]
	s_xor_b64 s[22:23], s[24:25], -1
	s_and_saveexec_b64 s[24:25], s[22:23]
	s_xor_b64 s[22:23], exec, s[24:25]
	s_cbranch_execz .LBB15_91
; %bb.90:                               ;   in Loop: Header=BB15_53 Depth=2
	ds_read_b32 v6, v0 offset:16
	s_waitcnt lgkmcnt(0)
	v_ashrrev_i32_e32 v7, 31, v6
.LBB15_91:                              ;   in Loop: Header=BB15_53 Depth=2
	s_or_b64 exec, exec, s[22:23]
	flat_load_dwordx3 v[8:10], v[54:55] offset:56
	ds_read_b32 v11, v0 offset:8
	v_lshl_add_u64 v[4:5], v[6:7], 0, v[52:53]
	s_waitcnt lgkmcnt(0)
	v_add_u32_e32 v6, v11, v40
	v_ashrrev_i32_e32 v7, 31, v6
	s_waitcnt vmcnt(0)
	v_ashrrev_i32_e32 v11, 31, v10
	v_mad_u64_u32 v[6:7], s[22:23], v4, v10, v[6:7]
	v_mul_lo_u32 v4, v4, v11
	v_mul_lo_u32 v5, v5, v10
	v_add3_u32 v7, v5, v7, v4
	v_cmp_ge_u64_e32 vcc, v[8:9], v[6:7]
	s_and_saveexec_b64 s[22:23], vcc
	s_xor_b64 s[22:23], exec, s[22:23]
	s_cbranch_execz .LBB15_93
; %bb.92:                               ;   in Loop: Header=BB15_53 Depth=2
	ds_read_b64 v[4:5], v0 offset:136
	s_waitcnt lgkmcnt(0)
	ds_write_b64 v0, v[4:5] offset:208
.LBB15_93:                              ;   in Loop: Header=BB15_53 Depth=2
	s_andn2_saveexec_b64 s[22:23], s[22:23]
	s_cbranch_execz .LBB15_95
; %bb.94:                               ;   in Loop: Header=BB15_53 Depth=2
	ds_read_b64 v[4:5], v0 offset:48
	s_waitcnt lgkmcnt(0)
	v_lshl_add_u64 v[4:5], v[2:3], 0, v[4:5]
	ds_write_b64 v0, v[4:5]
.LBB15_95:                              ;   in Loop: Header=BB15_53 Depth=2
	s_or_b64 exec, exec, s[22:23]
.LBB15_96:                              ;   in Loop: Header=BB15_53 Depth=2
	s_or_b64 exec, exec, s[20:21]
	v_and_b32_e32 v4, 8, v17
	v_cmp_ne_u32_e32 vcc, 0, v4
	s_and_b64 s[22:23], s[50:51], vcc
	s_and_saveexec_b64 s[20:21], s[22:23]
	s_cbranch_execz .LBB15_108
; %bb.97:                               ;   in Loop: Header=BB15_53 Depth=2
	v_lshl_add_u64 v[4:5], v[52:53], 0, 1
	s_mov_b64 s[22:23], 0
	v_mov_b32_e32 v6, 0
                                        ; implicit-def: $sgpr24_sgpr25
	s_branch .LBB15_102
.LBB15_98:                              ;   in Loop: Header=BB15_102 Depth=3
	s_or_b64 exec, exec, s[60:61]
	v_mov_b32_e32 v7, 0
	s_orn2_b64 s[58:59], s[58:59], exec
.LBB15_99:                              ;   in Loop: Header=BB15_102 Depth=3
	s_or_b64 exec, exec, s[56:57]
	s_and_b64 s[56:57], s[58:59], exec
	v_mov_b32_e32 v6, v7
.LBB15_100:                             ;   in Loop: Header=BB15_102 Depth=3
	s_or_b64 exec, exec, s[54:55]
	s_xor_b64 vcc, s[56:57], -1
	s_andn2_b64 s[24:25], s[24:25], exec
	s_and_b64 vcc, vcc, exec
	s_or_b64 s[24:25], s[24:25], vcc
.LBB15_101:                             ;   in Loop: Header=BB15_102 Depth=3
	s_or_b64 exec, exec, s[52:53]
	s_and_b64 vcc, exec, s[24:25]
	s_or_b64 s[22:23], vcc, s[22:23]
	s_andn2_b64 exec, exec, s[22:23]
	s_cbranch_execz .LBB15_107
.LBB15_102:                             ;   Parent Loop BB15_4 Depth=1
                                        ;     Parent Loop BB15_53 Depth=2
                                        ; =>    This Inner Loop Header: Depth=3
	flat_load_dwordx2 v[8:9], v[54:55] offset:48
	s_or_b64 s[24:25], s[24:25], exec
	s_waitcnt vmcnt(0) lgkmcnt(0)
	v_lshl_add_u64 v[8:9], v[8:9], 0, 8
	v_cmp_lt_u64_e32 vcc, v[8:9], v[4:5]
	s_and_saveexec_b64 s[52:53], vcc
	s_cbranch_execz .LBB15_101
; %bb.103:                              ;   in Loop: Header=BB15_102 Depth=3
	flat_load_dwordx2 v[8:9], v[54:55] offset:32
	v_and_b32_e32 v7, 64, v17
	v_cmp_eq_u32_e32 vcc, 0, v7
	s_mov_b64 s[56:57], 0
	s_waitcnt vmcnt(0) lgkmcnt(0)
	flat_load_dwordx2 v[8:9], v[8:9] sc0 sc1
	s_waitcnt vmcnt(0) lgkmcnt(0)
	flat_store_dwordx2 v[54:55], v[8:9] offset:48
	s_and_saveexec_b64 s[54:55], vcc
	s_cbranch_execz .LBB15_100
; %bb.104:                              ;   in Loop: Header=BB15_102 Depth=3
	v_add_u32_e32 v7, 1, v6
	v_cmp_lt_i32_e32 vcc, s36, v6
	s_mov_b64 s[58:59], -1
	s_and_saveexec_b64 s[56:57], vcc
	s_cbranch_execz .LBB15_99
; %bb.105:                              ;   in Loop: Header=BB15_102 Depth=3
	s_trap 2
	ds_read_b64 v[6:7], v0
	s_waitcnt vmcnt(0) lgkmcnt(0)
	flat_load_dword v6, v[6:7] sc0 sc1
	s_waitcnt vmcnt(0) lgkmcnt(0)
	buffer_inv sc0 sc1
	v_cmp_ne_u32_e32 vcc, 0, v6
	s_and_saveexec_b64 s[60:61], vcc
	s_cbranch_execz .LBB15_98
; %bb.106:                              ;   in Loop: Header=BB15_102 Depth=3
	v_or_b32_e32 v17, 64, v17
	s_xor_b64 s[58:59], exec, -1
	ds_write_b32 v0, v6
	s_trap 2
	s_branch .LBB15_98
.LBB15_107:                             ;   in Loop: Header=BB15_53 Depth=2
	s_or_b64 exec, exec, s[22:23]
	flat_load_dwordx2 v[4:5], v[54:55] offset:24
	flat_load_dword v7, v[54:55] offset:64
	ds_read_b32 v6, v0 offset:12
	v_and_b32_e32 v8, 7, v52
	s_waitcnt vmcnt(0) lgkmcnt(0)
	v_mad_i64_i32 v[4:5], s[22:23], v8, v7, v[4:5]
	v_ashrrev_i32_e32 v7, 31, v6
	v_lshl_add_u64 v[4:5], v[4:5], 0, v[6:7]
	ds_write_b64 v0, v[4:5] offset:584
.LBB15_108:                             ;   in Loop: Header=BB15_53 Depth=2
	s_or_b64 exec, exec, s[20:21]
	s_trap 2
	ds_read_b32 v4, v0
	ds_read_b64 v[46:47], v0
	v_and_b32_e32 v5, 1, v17
	v_cmp_eq_u32_e64 s[20:21], 1, v5
	s_waitcnt lgkmcnt(0)
	v_cmp_gt_i32_e32 vcc, 0, v4
	s_and_b64 s[24:25], vcc, s[20:21]
	s_and_saveexec_b64 s[22:23], s[24:25]
	s_cbranch_execz .LBB15_120
; %bb.109:                              ;   in Loop: Header=BB15_53 Depth=2
	ds_read_b64 v[4:5], v0 offset:40
	v_mov_b32_e32 v41, v16
	s_waitcnt lgkmcnt(0)
	v_lshl_add_u64 v[0:1], v[0:1], 0, v[4:5]
	v_lshl_add_u64 v[4:5], v[4:5], 0, v[40:41]
	v_cmp_lt_u64_e32 vcc, v[46:47], v[4:5]
	ds_write_b64 v0, v[0:1] offset:584
	s_and_saveexec_b64 s[24:25], vcc
	s_cbranch_execz .LBB15_111
; %bb.110:                              ;   in Loop: Header=BB15_53 Depth=2
	ds_read_b64 v[0:1], v0 offset:48
	v_mov_b64_e32 v[46:47], v[4:5]
	s_waitcnt lgkmcnt(0)
	v_lshl_add_u64 v[0:1], v[2:3], 0, v[0:1]
.LBB15_111:                             ;   in Loop: Header=BB15_53 Depth=2
	s_or_b64 exec, exec, s[24:25]
	ds_write_b64 v0, v[0:1]
	s_or_b64 exec, exec, s[22:23]
	s_and_saveexec_b64 s[22:23], s[12:13]
	s_xor_b64 s[22:23], exec, s[22:23]
	s_cbranch_execnz .LBB15_121
.LBB15_112:                             ;   in Loop: Header=BB15_53 Depth=2
	s_andn2_saveexec_b64 s[22:23], s[22:23]
	s_cbranch_execz .LBB15_114
.LBB15_113:                             ;   in Loop: Header=BB15_53 Depth=2
	s_waitcnt lgkmcnt(0)
	s_barrier
.LBB15_114:                             ;   in Loop: Header=BB15_53 Depth=2
	s_or_b64 exec, exec, s[22:23]
	ds_read_b32 v5, v0 offset:4
	ds_read2_b64 v[0:3], v0 offset0:17 offset1:26
	s_trap 2
	s_mov_b64 s[24:25], -1
	s_waitcnt lgkmcnt(0)
	ds_read_b32 v4, v0
	s_and_saveexec_b64 s[22:23], s[16:17]
	s_cbranch_execz .LBB15_116
; %bb.115:                              ;   in Loop: Header=BB15_53 Depth=2
	ds_read_b32 v6, v0 offset:584
	s_waitcnt lgkmcnt(0)
	v_and_b32_e32 v6, 15, v6
	v_cmp_eq_u32_e32 vcc, 0, v6
	s_orn2_b64 s[24:25], vcc, exec
.LBB15_116:                             ;   in Loop: Header=BB15_53 Depth=2
	s_or_b64 exec, exec, s[22:23]
	v_cmp_gt_i32_e32 vcc, 0, v5
	v_lshrrev_b32_e32 v5, 28, v5
	v_and_b32_e32 v5, 8, v5
	v_cndmask_b32_e64 v6, 2, 1, vcc
	v_cmp_eq_u64_e32 vcc, v[0:1], v[2:3]
	v_add_u32_e32 v41, v0, v5
	s_nop 0
	v_subbrev_co_u32_e32 v18, vcc, 0, v6, vcc
	v_cmp_lt_i32_e32 vcc, v28, v18
	s_and_saveexec_b64 s[22:23], vcc
	s_cbranch_execz .LBB15_118
; %bb.117:                              ;   in Loop: Header=BB15_53 Depth=2
	v_lshl_add_u32 v0, v28, 3, v41
	ds_read_b32 v0, v0 offset:584
	s_waitcnt lgkmcnt(0)
	v_and_b32_e32 v0, 15, v0
	v_cmp_eq_u32_e32 vcc, 0, v0
	s_and_b64 vcc, s[24:25], vcc
	s_andn2_b64 s[24:25], s[24:25], exec
	s_and_b64 vcc, vcc, exec
	s_or_b64 s[24:25], s[24:25], vcc
.LBB15_118:                             ;   in Loop: Header=BB15_53 Depth=2
	s_or_b64 exec, exec, s[22:23]
	s_xor_b64 s[24:25], s[24:25], -1
	s_waitcnt lgkmcnt(0)
	v_cmp_eq_u32_e32 vcc, 0, v4
	v_cndmask_b32_e64 v0, 0, 1, s[24:25]
	v_mov_b32_e32 v8, 0
	v_cndmask_b32_e32 v62, 0, v40, vcc
	s_mov_b64 s[22:23], -1
	;;#ASMSTART
	;;#ASMEND
	s_nop 0
	v_cmp_ne_u32_e32 vcc, 0, v0
	s_cbranch_vccz .LBB15_131
; %bb.119:                              ;   in Loop: Header=BB15_53 Depth=2
	v_mov_b32_e32 v9, v50
	v_mov_b32_e32 v4, v23
	s_and_saveexec_b64 s[24:25], s[22:23]
	s_cbranch_execnz .LBB15_171
	s_branch .LBB15_183
.LBB15_120:                             ;   in Loop: Header=BB15_53 Depth=2
	s_or_b64 exec, exec, s[22:23]
	s_and_saveexec_b64 s[22:23], s[12:13]
	s_xor_b64 s[22:23], exec, s[22:23]
	s_cbranch_execz .LBB15_112
.LBB15_121:                             ;   in Loop: Header=BB15_53 Depth=2
	s_and_saveexec_b64 s[24:25], s[14:15]
	s_cbranch_execz .LBB15_161
; %bb.122:                              ;   in Loop: Header=BB15_53 Depth=2
	s_mov_b64 s[54:55], exec
	v_mbcnt_lo_u32_b32 v0, s54, 0
	v_mbcnt_hi_u32_b32 v0, s55, v0
	v_cmp_eq_u32_e32 vcc, 0, v0
	s_waitcnt lgkmcnt(0)
	s_and_saveexec_b64 s[52:53], vcc
	s_cbranch_execz .LBB15_124
; %bb.123:                              ;   in Loop: Header=BB15_53 Depth=2
	s_bcnt1_i32_b64 vcc_lo, s[54:55]
	v_mov_b32_e32 v0, vcc_lo
	v_mov_b32_e32 v1, v16
	ds_add_u64 v0, v[0:1]
	s_trap 2
.LBB15_124:                             ;   in Loop: Header=BB15_53 Depth=2
	s_or_b64 exec, exec, s[52:53]
	s_trap 2
	ds_read_b64 v[0:1], v0
	v_lshl_add_u64 v[30:31], v[30:31], 0, 2
	s_waitcnt lgkmcnt(0)
	v_cmp_lt_u64_e32 vcc, v[0:1], v[30:31]
	s_and_saveexec_b64 s[52:53], vcc
	s_cbranch_execz .LBB15_160
; %bb.125:                              ;   in Loop: Header=BB15_53 Depth=2
	s_mov_b32 s64, 0
	s_mov_b64 s[54:55], 0
                                        ; implicit-def: $sgpr56_sgpr57
                                        ; implicit-def: $sgpr58_sgpr59
	s_branch .LBB15_127
.LBB15_126:                             ;   in Loop: Header=BB15_127 Depth=3
	s_or_b64 exec, exec, s[62:63]
	s_and_b64 vcc, exec, vcc
	s_or_b64 s[54:55], vcc, s[54:55]
	s_andn2_b64 vcc, s[56:57], exec
	s_and_b64 s[56:57], s[58:59], exec
	s_or_b64 s[56:57], vcc, s[56:57]
	s_andn2_b64 exec, exec, s[54:55]
	s_cbranch_execz .LBB15_158
.LBB15_127:                             ;   Parent Loop BB15_4 Depth=1
                                        ;     Parent Loop BB15_53 Depth=2
                                        ; =>    This Inner Loop Header: Depth=3
	s_add_i32 s64, s64, 1
	s_cmpk_lg_i32 s64, 0x2710
	s_cselect_b64 s[60:61], -1, 0
	s_and_b64 vcc, exec, s[60:61]
                                        ; implicit-def: $sgpr62_sgpr63
	s_cbranch_vccnz .LBB15_129
; %bb.128:                              ;   in Loop: Header=BB15_127 Depth=3
	s_trap 2
	ds_read_b64 v[0:1], v0
	s_andn2_b64 s[60:61], s[60:61], exec
	s_mov_b32 s64, 0
	s_mov_b64 s[62:63], -1
	s_waitcnt lgkmcnt(0)
	flat_load_dword v0, v[0:1] sc0 sc1
	s_waitcnt vmcnt(0) lgkmcnt(0)
	buffer_inv sc0 sc1
	v_cmp_eq_u32_e32 vcc, 0, v0
	s_and_b64 vcc, vcc, exec
	s_or_b64 s[60:61], s[60:61], vcc
.LBB15_129:                             ;   in Loop: Header=BB15_127 Depth=3
	s_andn2_b64 s[58:59], s[58:59], exec
	s_and_b64 s[62:63], s[62:63], exec
	s_mov_b64 vcc, -1
	s_or_b64 s[58:59], s[58:59], s[62:63]
	s_and_saveexec_b64 s[62:63], s[60:61]
	s_cbranch_execz .LBB15_126
; %bb.130:                              ;   in Loop: Header=BB15_127 Depth=3
	s_sleep 1
	s_trap 2
	ds_read_b64 v[0:1], v0
	s_andn2_b64 s[58:59], s[58:59], exec
	s_waitcnt lgkmcnt(0)
	v_cmp_ge_u64_e32 vcc, v[0:1], v[30:31]
	s_orn2_b64 vcc, vcc, exec
	s_branch .LBB15_126
.LBB15_131:                             ;   in Loop: Header=BB15_53 Depth=2
	v_lshrrev_b32_e32 v0, 12, v62
	v_sub_u32_e32 v22, v0, v23
	v_cmp_lt_i32_e32 vcc, 0, v22
	s_and_saveexec_b64 s[24:25], vcc
	s_cbranch_execz .LBB15_137
; %bb.132:                              ;   in Loop: Header=BB15_53 Depth=2
	ds_read_b64 v[56:57], v0 offset:584
	ds_read_b64 v[58:59], v41 offset:584
	v_cmp_lt_u32_e32 vcc, 1, v18
	s_mov_b64 s[52:53], 0
	v_mov_b64_e32 v[60:61], 0
	s_branch .LBB15_134
.LBB15_133:                             ;   in Loop: Header=BB15_134 Depth=3
	s_or_b64 exec, exec, s[22:23]
	v_sub_u32_e32 v22, v22, v24
	v_accvgpr_read_b32 v0, a10
	v_accvgpr_read_b32 v1, a11
	v_cmp_gt_i32_e64 s[22:23], 1, v22
	v_lshl_add_u64 v[60:61], v[60:61], 0, v[0:1]
	v_lshl_add_u64 v[56:57], v[56:57], 0, v[36:37]
	s_or_b64 s[52:53], s[22:23], s[52:53]
	v_lshl_add_u64 v[58:59], v[58:59], 0, v[36:37]
	s_andn2_b64 exec, exec, s[52:53]
	s_cbranch_execz .LBB15_136
.LBB15_134:                             ;   Parent Loop BB15_4 Depth=1
                                        ;     Parent Loop BB15_53 Depth=2
                                        ; =>    This Inner Loop Header: Depth=3
	s_waitcnt lgkmcnt(0)
	v_lshl_add_u64 v[0:1], v[32:33], 0, v[56:57]
	global_load_dwordx4 v[12:15], v[0:1], off nt
	global_load_dwordx4 v[8:11], v[0:1], off offset:1024 nt
	global_load_dwordx4 v[4:7], v[0:1], off offset:2048 nt
	s_nop 0
	global_load_dwordx4 v[0:3], v[0:1], off offset:3072 nt
	s_waitcnt lgkmcnt(0)
	v_lshl_add_u64 v[28:29], v[32:33], 0, v[58:59]
	s_waitcnt vmcnt(0)
	global_store_dwordx4 v[28:29], v[12:15], off nt
	s_waitcnt vmcnt(3)
	global_store_dwordx4 v[28:29], v[8:11], off offset:1024 nt
	s_waitcnt vmcnt(3)
	global_store_dwordx4 v[28:29], v[4:7], off offset:2048 nt
	;; [unrolled: 2-line block ×3, first 2 shown]
	s_and_saveexec_b64 s[22:23], vcc
	s_cbranch_execz .LBB15_133
; %bb.135:                              ;   in Loop: Header=BB15_134 Depth=3
	ds_read_b64 v[28:29], v41 offset:592
	v_lshl_add_u64 v[34:35], v[32:33], 0, v[60:61]
	s_waitcnt lgkmcnt(0)
	v_lshl_add_u64 v[28:29], v[34:35], 0, v[28:29]
	global_store_dwordx4 v[28:29], v[12:15], off nt
	global_store_dwordx4 v[28:29], v[8:11], off offset:1024 nt
	global_store_dwordx4 v[28:29], v[4:7], off offset:2048 nt
	;; [unrolled: 1-line block ×3, first 2 shown]
	s_branch .LBB15_133
.LBB15_136:                             ;   in Loop: Header=BB15_53 Depth=2
	s_or_b64 exec, exec, s[52:53]
	v_accvgpr_read_b32 v57, a13
	v_mov_b32_e32 v34, -1
	v_accvgpr_read_b32 v50, a6
	v_accvgpr_read_b32 v28, a8
	;; [unrolled: 1-line block ×3, first 2 shown]
.LBB15_137:                             ;   in Loop: Header=BB15_53 Depth=2
	s_or_b64 exec, exec, s[24:25]
	v_and_b32_e32 v0, 0x7ffff000, v62
	v_cmp_ne_u32_e32 vcc, v0, v62
	s_mov_b64 s[22:23], 0
	v_mov_b32_e32 v8, 0
                                        ; implicit-def: $vgpr9
                                        ; implicit-def: $vgpr4
	s_and_saveexec_b64 s[52:53], vcc
	s_cbranch_execz .LBB15_170
; %bb.138:                              ;   in Loop: Header=BB15_53 Depth=2
	v_lshlrev_b32_e32 v1, 6, v22
	v_sub_u32_e32 v1, v28, v1
	v_ashrrev_i32_e32 v3, 31, v1
	v_lshrrev_b32_e32 v3, 26, v3
	v_add_u32_e32 v3, v1, v3
	v_ashrrev_i32_e32 v4, 6, v3
	v_and_b32_e32 v3, 0xffffffc0, v3
	v_and_b32_e32 v2, 0xfff, v62
	v_sub_u32_e32 v12, v1, v3
	v_and_b32_e32 v5, 0xc00, v62
	v_lshlrev_b32_e32 v1, 4, v12
	v_sub_u32_e32 v14, v2, v5
	v_lshl_add_u32 v1, v4, 10, v1
	v_bfe_u32 v3, v62, 10, 2
	v_cmp_lt_i32_e32 vcc, 15, v14
	v_sub_u32_e32 v15, v2, v1
	s_nop 0
	v_addc_co_u32_e64 v2, s[22:23], 0, v3, vcc
	v_sub_u32_e32 v13, v2, v4
	v_cmp_lt_i32_e64 s[22:23], 15, v15
	s_and_saveexec_b64 s[54:55], s[22:23]
	s_cbranch_execz .LBB15_167
; %bb.139:                              ;   in Loop: Header=BB15_53 Depth=2
	ds_read_b64 v[6:7], v41 offset:584
	ds_read_b64 v[8:9], v0 offset:584
	v_add_u32_e32 v4, v1, v0
	v_ashrrev_i32_e32 v5, 31, v4
	v_cmp_lt_i32_e64 s[22:23], 1, v18
	s_mov_b64 s[56:57], 0
	v_mov_b64_e32 v[10:11], v[4:5]
	s_branch .LBB15_141
.LBB15_140:                             ;   in Loop: Header=BB15_141 Depth=3
	s_or_b64 exec, exec, s[24:25]
	v_sub_u32_e32 v15, v15, v38
	v_cmp_gt_i32_e64 s[24:25], 16, v15
	v_sub_u32_e32 v13, v13, v24
	v_lshl_add_u64 v[10:11], v[10:11], 0, v[38:39]
	s_or_b64 s[56:57], s[24:25], s[56:57]
	v_lshl_add_u64 v[4:5], v[4:5], 0, v[48:49]
	s_andn2_b64 exec, exec, s[56:57]
	s_cbranch_execz .LBB15_166
.LBB15_141:                             ;   Parent Loop BB15_4 Depth=1
                                        ;     Parent Loop BB15_53 Depth=2
                                        ; =>    This Inner Loop Header: Depth=3
	s_waitcnt lgkmcnt(0)
	v_lshl_add_u64 v[0:1], v[8:9], 0, v[4:5]
	global_load_dwordx4 v[0:3], v[0:1], off nt
	v_lshl_add_u64 v[22:23], v[6:7], 0, v[4:5]
	s_waitcnt vmcnt(0)
	global_store_dwordx4 v[22:23], v[0:3], off nt
	s_and_saveexec_b64 s[24:25], s[22:23]
	s_cbranch_execz .LBB15_140
; %bb.142:                              ;   in Loop: Header=BB15_141 Depth=3
	ds_read_b64 v[22:23], v41 offset:592
	s_waitcnt lgkmcnt(0)
	v_lshl_add_u64 v[22:23], v[10:11], 0, v[22:23]
	global_store_dwordx4 v[22:23], v[0:3], off nt
	s_branch .LBB15_140
.LBB15_143:                             ;   in Loop: Header=BB15_53 Depth=2
	s_or_b64 exec, exec, s[48:49]
	s_and_saveexec_b64 vcc, s[50:51]
	s_xor_b64 vcc, exec, vcc
	s_cbranch_execz .LBB15_145
; %bb.144:                              ;   in Loop: Header=BB15_53 Depth=2
	ds_write_b32 v0, v20
	s_trap 2
.LBB15_145:                             ;   in Loop: Header=BB15_53 Depth=2
	s_or_b64 exec, exec, s[46:47]
	;;#ASMSTART
	s_wakeup
	;;#ASMEND
.LBB15_146:                             ;   in Loop: Header=BB15_53 Depth=2
	s_or_b64 exec, exec, s[24:25]
	s_andn2_saveexec_b64 s[22:23], s[22:23]
	s_cbranch_execnz .LBB15_84
.LBB15_147:                             ;   in Loop: Header=BB15_53 Depth=2
	s_or_b64 exec, exec, s[22:23]
	s_and_saveexec_b64 s[22:23], s[12:13]
	s_xor_b64 s[22:23], exec, s[22:23]
	s_cbranch_execz .LBB15_85
.LBB15_148:                             ;   in Loop: Header=BB15_53 Depth=2
	s_and_saveexec_b64 s[24:25], s[14:15]
	s_cbranch_execz .LBB15_165
; %bb.149:                              ;   in Loop: Header=BB15_53 Depth=2
	s_mov_b64 s[48:49], exec
	v_mbcnt_lo_u32_b32 v0, s48, 0
	v_mbcnt_hi_u32_b32 v0, s49, v0
	v_cmp_eq_u32_e32 vcc, 0, v0
	s_waitcnt lgkmcnt(0)
	s_and_saveexec_b64 s[46:47], vcc
	s_cbranch_execz .LBB15_151
; %bb.150:                              ;   in Loop: Header=BB15_53 Depth=2
	s_bcnt1_i32_b64 vcc_lo, s[48:49]
	v_mov_b32_e32 v0, vcc_lo
	v_mov_b32_e32 v1, v16
	ds_add_u64 v0, v[0:1]
	s_trap 2
.LBB15_151:                             ;   in Loop: Header=BB15_53 Depth=2
	s_or_b64 exec, exec, s[46:47]
	s_trap 2
	ds_read_b64 v[0:1], v0
	v_lshl_add_u64 v[30:31], v[30:31], 0, 2
	s_waitcnt lgkmcnt(0)
	v_cmp_lt_u64_e32 vcc, v[0:1], v[30:31]
	s_and_saveexec_b64 s[46:47], vcc
	s_cbranch_execz .LBB15_164
; %bb.152:                              ;   in Loop: Header=BB15_53 Depth=2
	s_mov_b32 s58, 0
	s_mov_b64 s[48:49], 0
                                        ; implicit-def: $sgpr50_sgpr51
                                        ; implicit-def: $sgpr52_sgpr53
	s_branch .LBB15_154
.LBB15_153:                             ;   in Loop: Header=BB15_154 Depth=3
	s_or_b64 exec, exec, s[56:57]
	s_and_b64 vcc, exec, vcc
	s_or_b64 s[48:49], vcc, s[48:49]
	s_andn2_b64 vcc, s[50:51], exec
	s_and_b64 s[50:51], s[52:53], exec
	s_or_b64 s[50:51], vcc, s[50:51]
	s_andn2_b64 exec, exec, s[48:49]
	s_cbranch_execz .LBB15_162
.LBB15_154:                             ;   Parent Loop BB15_4 Depth=1
                                        ;     Parent Loop BB15_53 Depth=2
                                        ; =>    This Inner Loop Header: Depth=3
	s_add_i32 s58, s58, 1
	s_cmpk_lg_i32 s58, 0x2710
	s_cselect_b64 s[54:55], -1, 0
	s_and_b64 vcc, exec, s[54:55]
                                        ; implicit-def: $sgpr56_sgpr57
	s_cbranch_vccnz .LBB15_156
; %bb.155:                              ;   in Loop: Header=BB15_154 Depth=3
	s_trap 2
	ds_read_b64 v[0:1], v0
	s_andn2_b64 s[54:55], s[54:55], exec
	s_mov_b32 s58, 0
	s_mov_b64 s[56:57], -1
	s_waitcnt lgkmcnt(0)
	flat_load_dword v0, v[0:1] sc0 sc1
	s_waitcnt vmcnt(0) lgkmcnt(0)
	buffer_inv sc0 sc1
	v_cmp_eq_u32_e32 vcc, 0, v0
	s_and_b64 vcc, vcc, exec
	s_or_b64 s[54:55], s[54:55], vcc
.LBB15_156:                             ;   in Loop: Header=BB15_154 Depth=3
	s_andn2_b64 s[52:53], s[52:53], exec
	s_and_b64 s[56:57], s[56:57], exec
	s_mov_b64 vcc, -1
	s_or_b64 s[52:53], s[52:53], s[56:57]
	s_and_saveexec_b64 s[56:57], s[54:55]
	s_cbranch_execz .LBB15_153
; %bb.157:                              ;   in Loop: Header=BB15_154 Depth=3
	s_sleep 1
	s_trap 2
	ds_read_b64 v[0:1], v0
	s_andn2_b64 s[52:53], s[52:53], exec
	s_waitcnt lgkmcnt(0)
	v_cmp_ge_u64_e32 vcc, v[0:1], v[30:31]
	s_orn2_b64 vcc, vcc, exec
	s_branch .LBB15_153
.LBB15_158:                             ;   in Loop: Header=BB15_53 Depth=2
	s_or_b64 exec, exec, s[54:55]
	s_and_saveexec_b64 vcc, s[56:57]
	s_xor_b64 vcc, exec, vcc
	s_cbranch_execz .LBB15_160
; %bb.159:                              ;   in Loop: Header=BB15_53 Depth=2
	ds_write_b32 v0, v20
	s_trap 2
.LBB15_160:                             ;   in Loop: Header=BB15_53 Depth=2
	s_or_b64 exec, exec, s[52:53]
	;;#ASMSTART
	s_wakeup
	;;#ASMEND
.LBB15_161:                             ;   in Loop: Header=BB15_53 Depth=2
	s_or_b64 exec, exec, s[24:25]
	s_andn2_saveexec_b64 s[22:23], s[22:23]
	s_cbranch_execnz .LBB15_113
	s_branch .LBB15_114
.LBB15_162:                             ;   in Loop: Header=BB15_53 Depth=2
	s_or_b64 exec, exec, s[48:49]
	s_and_saveexec_b64 vcc, s[50:51]
	s_xor_b64 vcc, exec, vcc
	s_cbranch_execz .LBB15_164
; %bb.163:                              ;   in Loop: Header=BB15_53 Depth=2
	ds_write_b32 v0, v20
	s_trap 2
.LBB15_164:                             ;   in Loop: Header=BB15_53 Depth=2
	s_or_b64 exec, exec, s[46:47]
	;;#ASMSTART
	s_wakeup
	;;#ASMEND
.LBB15_165:                             ;   in Loop: Header=BB15_53 Depth=2
	s_or_b64 exec, exec, s[24:25]
	s_andn2_saveexec_b64 s[22:23], s[22:23]
	s_cbranch_execnz .LBB15_86
	s_branch .LBB15_87
.LBB15_166:                             ;   in Loop: Header=BB15_53 Depth=2
	s_or_b64 exec, exec, s[56:57]
	v_accvgpr_read_b32 v23, a7
.LBB15_167:                             ;   in Loop: Header=BB15_53 Depth=2
	s_or_b64 exec, exec, s[54:55]
	v_and_b32_e32 v1, 15, v62
	v_cndmask_b32_e32 v0, v14, v1, vcc
	v_cmp_ne_u32_e64 s[22:23], 0, v0
	s_mov_b64 s[24:25], 0
	v_mov_b32_e32 v8, 0
                                        ; implicit-def: $vgpr9
                                        ; implicit-def: $vgpr4
	s_and_saveexec_b64 s[54:55], s[22:23]
	s_cbranch_execz .LBB15_169
; %bb.168:                              ;   in Loop: Header=BB15_53 Depth=2
	v_sub_u32_e32 v1, v14, v1
	v_and_b32_e32 v2, 0x7ffffc00, v62
	v_cndmask_b32_e32 v1, 0, v1, vcc
	v_cmp_lt_i32_e32 vcc, 0, v13
	v_add_u32_e32 v8, v1, v2
	s_mov_b64 s[24:25], exec
	v_cndmask_b32_e32 v1, 0, v24, vcc
	v_sub_u32_e32 v1, v1, v13
	v_lshl_add_u32 v9, v1, 6, v12
	v_ashrrev_i32_e32 v1, 31, v9
	v_lshrrev_b32_e32 v1, 26, v1
	v_add_u32_e32 v1, v9, v1
	v_ashrrev_i32_e32 v4, 6, v1
.LBB15_169:                             ;   in Loop: Header=BB15_53 Depth=2
	s_or_b64 exec, exec, s[54:55]
	s_and_b64 s[22:23], s[24:25], exec
	v_mov_b32_e32 v62, v0
.LBB15_170:                             ;   in Loop: Header=BB15_53 Depth=2
	s_or_b64 exec, exec, s[52:53]
	s_and_saveexec_b64 s[24:25], s[22:23]
	s_cbranch_execz .LBB15_183
.LBB15_171:                             ;   in Loop: Header=BB15_53 Depth=2
	v_ashrrev_i32_e32 v0, 31, v62
	v_lshrrev_b32_e32 v0, 22, v0
	v_add_u32_e32 v0, v62, v0
	v_ashrrev_i32_e32 v12, 10, v0
	v_sub_u32_e32 v10, v12, v4
	v_ashrrev_i32_e32 v0, 31, v9
	v_cmp_lt_i32_e32 vcc, 0, v10
	v_lshrrev_b32_e32 v11, 26, v0
	s_and_saveexec_b64 s[52:53], vcc
	s_cbranch_execz .LBB15_177
; %bb.172:                              ;   in Loop: Header=BB15_53 Depth=2
	ds_read_b64 v[0:1], v0 offset:584
	ds_read_b64 v[2:3], v41 offset:584
	v_add_u32_e32 v5, v9, v11
	v_and_b32_e32 v5, 0xffffffc0, v5
	v_sub_u32_e32 v5, v9, v5
	v_lshlrev_b32_e32 v4, 10, v4
	v_accvgpr_write_b32 a4, v26
	v_add3_u32 v4, v5, v4, v8
	v_accvgpr_write_b32 a3, v25
	v_accvgpr_write_b32 a5, v27
	v_ashrrev_i32_e32 v5, 31, v4
	v_cmp_lt_i32_e32 vcc, 1, v18
	s_mov_b64 s[54:55], 0
	v_mov_b64_e32 v[6:7], 0
	s_branch .LBB15_174
.LBB15_173:                             ;   in Loop: Header=BB15_174 Depth=3
	s_or_b64 exec, exec, s[22:23]
	v_sub_u32_e32 v10, v10, v24
	v_cmp_gt_i32_e64 s[22:23], 1, v10
	v_lshl_add_u64 v[6:7], v[6:7], 0, v[38:39]
	v_lshl_add_u64 v[0:1], v[0:1], 0, v[48:49]
	s_or_b64 s[54:55], s[22:23], s[54:55]
	v_lshl_add_u64 v[2:3], v[2:3], 0, v[48:49]
	s_andn2_b64 exec, exec, s[54:55]
	s_cbranch_execz .LBB15_176
.LBB15_174:                             ;   Parent Loop BB15_4 Depth=1
                                        ;     Parent Loop BB15_53 Depth=2
                                        ; =>    This Inner Loop Header: Depth=3
	s_waitcnt lgkmcnt(0)
	v_lshl_add_u64 v[26:27], v[4:5], 0, v[0:1]
	flat_load_ubyte v13, v[26:27] nt
	flat_load_ubyte v14, v[26:27] offset:64 nt
	flat_load_ubyte v15, v[26:27] offset:128 nt
	;; [unrolled: 1-line block ×15, first 2 shown]
	s_waitcnt lgkmcnt(0)
	v_lshl_add_u64 v[26:27], v[4:5], 0, v[2:3]
	s_waitcnt vmcnt(0)
	flat_store_byte v[26:27], v13 nt
	flat_store_byte v[26:27], v14 offset:64 nt
	flat_store_byte v[26:27], v15 offset:128 nt
	flat_store_byte v[26:27], v22 offset:192 nt
	flat_store_byte v[26:27], v56 offset:256 nt
	flat_store_byte v[26:27], v57 offset:320 nt
	flat_store_byte v[26:27], v58 offset:384 nt
	flat_store_byte v[26:27], v59 offset:448 nt
	flat_store_byte v[26:27], v60 offset:512 nt
	flat_store_byte v[26:27], v61 offset:576 nt
	flat_store_byte v[26:27], v25 offset:640 nt
	flat_store_byte v[26:27], v29 offset:704 nt
	flat_store_byte v[26:27], v23 offset:768 nt
	flat_store_byte v[26:27], v28 offset:832 nt
	flat_store_byte v[26:27], v34 offset:896 nt
	flat_store_byte v[26:27], v35 offset:960 nt
	s_and_saveexec_b64 s[22:23], vcc
	s_cbranch_execz .LBB15_173
; %bb.175:                              ;   in Loop: Header=BB15_174 Depth=3
	ds_read_b64 v[26:27], v41 offset:592
	v_lshl_add_u64 v[50:51], v[4:5], 0, v[6:7]
	s_waitcnt lgkmcnt(0)
	v_lshl_add_u64 v[26:27], v[50:51], 0, v[26:27]
	flat_store_byte v[26:27], v13 nt
	flat_store_byte v[26:27], v14 offset:64 nt
	flat_store_byte v[26:27], v15 offset:128 nt
	;; [unrolled: 1-line block ×15, first 2 shown]
	s_branch .LBB15_173
.LBB15_176:                             ;   in Loop: Header=BB15_53 Depth=2
	s_or_b64 exec, exec, s[54:55]
	v_accvgpr_read_b32 v27, a5
	v_accvgpr_read_b32 v57, a13
	v_mov_b32_e32 v34, -1
	v_accvgpr_read_b32 v26, a4
	v_accvgpr_read_b32 v50, a6
	;; [unrolled: 1-line block ×6, first 2 shown]
.LBB15_177:                             ;   in Loop: Header=BB15_53 Depth=2
	s_or_b64 exec, exec, s[52:53]
	v_lshlrev_b32_e32 v0, 10, v12
	v_cmp_ne_u32_e32 vcc, v62, v0
	s_and_b64 exec, exec, vcc
	s_cbranch_execz .LBB15_183
; %bb.178:                              ;   in Loop: Header=BB15_53 Depth=2
	v_add_u32_e32 v1, v9, v11
	v_and_b32_e32 v1, 0xffffffc0, v1
	v_sub_u32_e32 v1, v9, v1
	v_lshlrev_b32_e32 v2, 6, v10
	v_sub_u32_e32 v1, v1, v2
	v_add_u32_e32 v0, v0, v1
	v_sub_u32_e32 v9, v62, v0
	v_cmp_lt_i32_e32 vcc, 0, v9
	s_and_b64 exec, exec, vcc
	s_cbranch_execz .LBB15_183
; %bb.179:                              ;   in Loop: Header=BB15_53 Depth=2
	v_add_u32_e32 v0, v0, v8
	ds_read_b64 v[2:3], v41 offset:584
	ds_read_b64 v[4:5], v0 offset:584
	v_ashrrev_i32_e32 v1, 31, v0
	v_cmp_lt_i32_e32 vcc, 1, v18
	s_mov_b64 s[52:53], 0
	v_mov_b64_e32 v[6:7], v[0:1]
	s_branch .LBB15_181
.LBB15_180:                             ;   in Loop: Header=BB15_181 Depth=3
	s_or_b64 exec, exec, s[22:23]
	v_sub_u32_e32 v9, v9, v26
	v_cmp_gt_i32_e64 s[22:23], 1, v9
	v_lshl_add_u64 v[6:7], v[6:7], 0, v[26:27]
	s_or_b64 s[52:53], s[22:23], s[52:53]
	v_lshl_add_u64 v[0:1], v[0:1], 0, v[56:57]
	s_andn2_b64 exec, exec, s[52:53]
	s_cbranch_execz .LBB15_183
.LBB15_181:                             ;   Parent Loop BB15_4 Depth=1
                                        ;     Parent Loop BB15_53 Depth=2
                                        ; =>    This Inner Loop Header: Depth=3
	s_waitcnt lgkmcnt(0)
	v_lshl_add_u64 v[10:11], v[4:5], 0, v[0:1]
	flat_load_ubyte v8, v[10:11] nt
	v_lshl_add_u64 v[10:11], v[2:3], 0, v[0:1]
	s_waitcnt vmcnt(0) lgkmcnt(0)
	flat_store_byte v[10:11], v8 nt
	s_and_saveexec_b64 s[22:23], vcc
	s_cbranch_execz .LBB15_180
; %bb.182:                              ;   in Loop: Header=BB15_181 Depth=3
	ds_read_b64 v[10:11], v41 offset:592
	s_waitcnt lgkmcnt(0)
	v_lshl_add_u64 v[10:11], v[6:7], 0, v[10:11]
	flat_store_byte v[10:11], v8 nt
	s_branch .LBB15_180
.LBB15_183:                             ;   in Loop: Header=BB15_53 Depth=2
	s_or_b64 exec, exec, s[24:25]
	v_cmp_ne_u32_e32 vcc, 0, v43
	v_and_b32_e32 v0, 16, v17
	s_and_b64 s[22:23], vcc, s[50:51]
	v_cmp_ne_u32_e32 vcc, 0, v0
	s_and_b64 s[22:23], s[22:23], vcc
	s_and_saveexec_b64 s[24:25], s[22:23]
	s_cbranch_execz .LBB15_187
; %bb.184:                              ;   in Loop: Header=BB15_53 Depth=2
	flat_load_dwordx2 v[0:1], v[54:55] offset:16
	s_waitcnt vmcnt(0) lgkmcnt(0)
	v_cmp_ne_u64_e32 vcc, 0, v[0:1]
	s_and_saveexec_b64 s[50:51], vcc
	s_cbranch_execz .LBB15_186
; %bb.185:                              ;   in Loop: Header=BB15_53 Depth=2
	ds_read_b32 v2, v0 offset:12
	v_and_b32_e32 v3, 7, v52
	v_mad_u64_u32 v[0:1], vcc, v3, 24, v[0:1]
	s_waitcnt lgkmcnt(0)
	v_add_u32_e32 v2, v2, v40
	v_ashrrev_i32_e32 v3, 31, v2
	flat_store_dwordx2 v[0:1], v[2:3] offset:8
.LBB15_186:                             ;   in Loop: Header=BB15_53 Depth=2
	s_or_b64 exec, exec, s[50:51]
	flat_load_dwordx2 v[0:1], v[54:55] offset:8
	v_mov_b64_e32 v[52:53], v[44:45]
	flat_store_dwordx2 v[54:55], v[44:45]
	s_waitcnt vmcnt(0) lgkmcnt(0)
	flat_store_dwordx2 v[0:1], v[44:45] offset:104 nt
.LBB15_187:                             ;   in Loop: Header=BB15_53 Depth=2
	s_or_b64 exec, exec, s[24:25]
	v_cmp_ne_u32_e32 vcc, 0, v42
	v_and_b32_e32 v0, 32, v17
	s_and_b64 s[24:25], s[48:49], vcc
	v_cmp_ne_u32_e32 vcc, 0, v0
	s_and_b64 s[24:25], s[24:25], vcc
	s_and_saveexec_b64 vcc, s[24:25]
	s_cbranch_execz .LBB15_189
; %bb.188:                              ;   in Loop: Header=BB15_53 Depth=2
	flat_load_dwordx2 v[0:1], v[54:55] offset:8
	v_lshl_add_u64 v[52:53], v[52:53], 0, 1
	flat_store_dwordx2 v[54:55], v[52:53]
	s_waitcnt vmcnt(0) lgkmcnt(0)
	flat_store_dwordx2 v[0:1], v[52:53] offset:104 nt
.LBB15_189:                             ;   in Loop: Header=BB15_53 Depth=2
	s_or_b64 exec, exec, vcc
	ds_read_b32 v0, v0
	s_waitcnt lgkmcnt(0)
	v_cmp_lt_i32_e32 vcc, -1, v0
	s_and_saveexec_b64 s[48:49], vcc
	s_xor_b64 s[48:49], exec, s[48:49]
	s_cbranch_execz .LBB15_204
; %bb.190:                              ;   in Loop: Header=BB15_53 Depth=2
	v_and_b32_e32 v0, 4, v17
	v_cmp_ne_u32_e32 vcc, 0, v0
	s_and_saveexec_b64 s[50:51], vcc
	s_cbranch_execz .LBB15_192
; %bb.191:                              ;   in Loop: Header=BB15_53 Depth=2
	flat_load_dword v4, v[54:55] offset:64
	ds_read2_b32 v[0:1], v0 offset0:2 offset1:4
	s_waitcnt lgkmcnt(0)
	v_add_u32_e32 v0, v0, v40
	v_ashrrev_i32_e32 v3, 31, v1
	v_mov_b32_e32 v2, v1
	v_ashrrev_i32_e32 v1, 31, v0
	v_lshl_add_u64 v[2:3], v[52:53], 0, v[2:3]
	s_waitcnt vmcnt(0)
	v_ashrrev_i32_e32 v5, 31, v4
	v_mad_u64_u32 v[0:1], vcc, v2, v4, v[0:1]
	v_mul_lo_u32 v2, v2, v5
	v_mul_lo_u32 v3, v3, v4
	v_add3_u32 v1, v3, v1, v2
	flat_atomic_smax_x2 v[54:55], v[0:1] offset:56
.LBB15_192:                             ;   in Loop: Header=BB15_53 Depth=2
	s_or_b64 exec, exec, s[50:51]
                                        ; implicit-def: $vgpr46_vgpr47
	s_andn2_saveexec_b64 s[48:49], s[48:49]
	s_cbranch_execnz .LBB15_205
.LBB15_193:                             ;   in Loop: Header=BB15_53 Depth=2
	s_or_b64 exec, exec, s[48:49]
	s_and_saveexec_b64 s[20:21], s[12:13]
	s_xor_b64 s[20:21], exec, s[20:21]
	s_cbranch_execz .LBB15_211
.LBB15_194:                             ;   in Loop: Header=BB15_53 Depth=2
	s_and_saveexec_b64 s[48:49], s[14:15]
	s_cbranch_execz .LBB15_220
; %bb.195:                              ;   in Loop: Header=BB15_53 Depth=2
	s_mov_b64 s[52:53], exec
	v_mbcnt_lo_u32_b32 v0, s52, 0
	v_mbcnt_hi_u32_b32 v0, s53, v0
	v_cmp_eq_u32_e32 vcc, 0, v0
	s_waitcnt lgkmcnt(0)
	s_and_saveexec_b64 s[50:51], vcc
	s_cbranch_execz .LBB15_197
; %bb.196:                              ;   in Loop: Header=BB15_53 Depth=2
	s_bcnt1_i32_b64 vcc_lo, s[52:53]
	v_mov_b32_e32 v0, vcc_lo
	v_mov_b32_e32 v1, v16
	ds_add_u64 v0, v[0:1]
	s_trap 2
.LBB15_197:                             ;   in Loop: Header=BB15_53 Depth=2
	s_or_b64 exec, exec, s[50:51]
	s_trap 2
	ds_read_b64 v[0:1], v0
	v_lshl_add_u64 v[30:31], v[30:31], 0, 2
	s_waitcnt lgkmcnt(0)
	v_cmp_lt_u64_e32 vcc, v[0:1], v[30:31]
	s_and_saveexec_b64 s[50:51], vcc
	s_cbranch_execz .LBB15_219
; %bb.198:                              ;   in Loop: Header=BB15_53 Depth=2
	s_mov_b32 s62, 0
	s_mov_b64 s[52:53], 0
                                        ; implicit-def: $sgpr54_sgpr55
                                        ; implicit-def: $sgpr56_sgpr57
	s_branch .LBB15_200
.LBB15_199:                             ;   in Loop: Header=BB15_200 Depth=3
	s_or_b64 exec, exec, s[60:61]
	s_and_b64 vcc, exec, vcc
	s_or_b64 s[52:53], vcc, s[52:53]
	s_andn2_b64 vcc, s[54:55], exec
	s_and_b64 s[54:55], s[56:57], exec
	s_or_b64 s[54:55], vcc, s[54:55]
	s_andn2_b64 exec, exec, s[52:53]
	s_cbranch_execz .LBB15_217
.LBB15_200:                             ;   Parent Loop BB15_4 Depth=1
                                        ;     Parent Loop BB15_53 Depth=2
                                        ; =>    This Inner Loop Header: Depth=3
	s_add_i32 s62, s62, 1
	s_cmpk_lg_i32 s62, 0x2710
	s_cselect_b64 s[58:59], -1, 0
	s_and_b64 vcc, exec, s[58:59]
                                        ; implicit-def: $sgpr60_sgpr61
	s_cbranch_vccnz .LBB15_202
; %bb.201:                              ;   in Loop: Header=BB15_200 Depth=3
	s_trap 2
	ds_read_b64 v[0:1], v0
	s_andn2_b64 s[58:59], s[58:59], exec
	s_mov_b32 s62, 0
	s_mov_b64 s[60:61], -1
	s_waitcnt vmcnt(0) lgkmcnt(0)
	flat_load_dword v0, v[0:1] sc0 sc1
	s_waitcnt vmcnt(0) lgkmcnt(0)
	buffer_inv sc0 sc1
	v_cmp_eq_u32_e32 vcc, 0, v0
	s_and_b64 vcc, vcc, exec
	s_or_b64 s[58:59], s[58:59], vcc
.LBB15_202:                             ;   in Loop: Header=BB15_200 Depth=3
	s_andn2_b64 s[56:57], s[56:57], exec
	s_and_b64 s[60:61], s[60:61], exec
	s_mov_b64 vcc, -1
	s_or_b64 s[56:57], s[56:57], s[60:61]
	s_and_saveexec_b64 s[60:61], s[58:59]
	s_cbranch_execz .LBB15_199
; %bb.203:                              ;   in Loop: Header=BB15_200 Depth=3
	s_sleep 1
	s_trap 2
	ds_read_b64 v[0:1], v0
	s_andn2_b64 s[56:57], s[56:57], exec
	s_waitcnt lgkmcnt(0)
	v_cmp_ge_u64_e32 vcc, v[0:1], v[30:31]
	s_orn2_b64 vcc, vcc, exec
	s_branch .LBB15_199
.LBB15_204:                             ;   in Loop: Header=BB15_53 Depth=2
	s_andn2_saveexec_b64 s[48:49], s[48:49]
	s_cbranch_execz .LBB15_193
.LBB15_205:                             ;   in Loop: Header=BB15_53 Depth=2
	s_and_saveexec_b64 s[50:51], s[20:21]
	s_cbranch_execz .LBB15_210
; %bb.206:                              ;   in Loop: Header=BB15_53 Depth=2
	s_mov_b64 s[52:53], exec
	s_mov_b64 s[20:21], s[26:27]
.LBB15_207:                             ;   Parent Loop BB15_4 Depth=1
                                        ;     Parent Loop BB15_53 Depth=2
                                        ; =>    This Inner Loop Header: Depth=3
	s_ff1_i32_b64 s54, s[52:53]
	v_readlane_b32 s55, v47, s54
	v_readlane_b32 s56, v46, s54
	s_nop 0
	v_mov_b32_e32 v1, s55
	v_mov_b32_e32 v0, s56
	v_cmp_gt_i64_e32 vcc, s[20:21], v[0:1]
	s_and_b64 vcc, vcc, exec
	s_cselect_b32 s21, s21, s55
	s_cselect_b32 s20, s20, s56
	s_lshl_b64 vcc, 1, s54
	s_andn2_b64 s[52:53], s[52:53], vcc
	s_cmp_lg_u64 s[52:53], 0
	s_cbranch_scc1 .LBB15_207
; %bb.208:                              ;   in Loop: Header=BB15_53 Depth=2
	v_mbcnt_lo_u32_b32 v0, exec_lo, 0
	v_mbcnt_hi_u32_b32 v0, exec_hi, v0
	v_cmp_eq_u32_e32 vcc, 0, v0
	s_and_saveexec_b64 s[52:53], vcc
	s_xor_b64 s[52:53], exec, s[52:53]
	s_cbranch_execz .LBB15_210
; %bb.209:                              ;   in Loop: Header=BB15_53 Depth=2
	v_mov_b64_e32 v[0:1], s[20:21]
	ds_max_i64 v0, v[0:1]
	s_trap 2
.LBB15_210:                             ;   in Loop: Header=BB15_53 Depth=2
	s_or_b64 exec, exec, s[50:51]
	s_or_b64 exec, exec, s[48:49]
	s_and_saveexec_b64 s[20:21], s[12:13]
	s_xor_b64 s[20:21], exec, s[20:21]
	s_cbranch_execnz .LBB15_194
.LBB15_211:                             ;   in Loop: Header=BB15_53 Depth=2
	s_andn2_saveexec_b64 s[20:21], s[20:21]
	s_cbranch_execz .LBB15_221
.LBB15_212:                             ;   in Loop: Header=BB15_53 Depth=2
	s_waitcnt lgkmcnt(0)
	s_barrier
	s_or_b64 exec, exec, s[20:21]
	s_and_saveexec_b64 s[20:21], s[22:23]
	s_cbranch_execnz .LBB15_222
.LBB15_213:                             ;   in Loop: Header=BB15_53 Depth=2
	s_or_b64 exec, exec, s[20:21]
	s_and_saveexec_b64 s[20:21], s[24:25]
	s_cbranch_execz .LBB15_215
.LBB15_214:                             ;   in Loop: Header=BB15_53 Depth=2
	flat_load_dwordx2 v[0:1], v[54:55] offset:32
	s_waitcnt vmcnt(0) lgkmcnt(0)
	flat_store_dwordx2 v[0:1], v[52:53] nt
.LBB15_215:                             ;   in Loop: Header=BB15_53 Depth=2
	s_or_b64 exec, exec, s[20:21]
	s_or_b64 exec, exec, s[46:47]
	s_and_saveexec_b64 s[20:21], s[18:19]
	s_cbranch_execz .LBB15_52
.LBB15_216:                             ;   in Loop: Header=BB15_53 Depth=2
	ds_write_b32 v0, v16 offset:36
	s_branch .LBB15_52
.LBB15_217:                             ;   in Loop: Header=BB15_53 Depth=2
	s_or_b64 exec, exec, s[52:53]
	s_and_saveexec_b64 vcc, s[54:55]
	s_xor_b64 vcc, exec, vcc
	s_cbranch_execz .LBB15_219
; %bb.218:                              ;   in Loop: Header=BB15_53 Depth=2
	ds_write_b32 v0, v20
	s_trap 2
.LBB15_219:                             ;   in Loop: Header=BB15_53 Depth=2
	s_or_b64 exec, exec, s[50:51]
	;;#ASMSTART
	s_wakeup
	;;#ASMEND
.LBB15_220:                             ;   in Loop: Header=BB15_53 Depth=2
	s_or_b64 exec, exec, s[48:49]
	s_andn2_saveexec_b64 s[20:21], s[20:21]
	s_cbranch_execnz .LBB15_212
.LBB15_221:                             ;   in Loop: Header=BB15_53 Depth=2
	s_or_b64 exec, exec, s[20:21]
	s_and_saveexec_b64 s[20:21], s[22:23]
	s_cbranch_execz .LBB15_213
.LBB15_222:                             ;   in Loop: Header=BB15_53 Depth=2
	flat_load_dwordx2 v[0:1], v[54:55] offset:40
	s_waitcnt vmcnt(0) lgkmcnt(0)
	flat_store_dwordx2 v[0:1], v[52:53] nt
	s_or_b64 exec, exec, s[20:21]
	s_and_saveexec_b64 s[20:21], s[24:25]
	s_cbranch_execnz .LBB15_214
	s_branch .LBB15_215
.LBB15_223:                             ;   in Loop: Header=BB15_4 Depth=1
	s_or_b64 exec, exec, s[44:45]
	v_and_b32_e32 v0, 0x800, v17
	v_cmp_eq_u32_e32 vcc, 0, v0
	s_and_b64 s[16:17], exec, vcc
	v_accvgpr_read_b32 v32, a2
	s_mov_b64 exec, s[16:17]
	s_cbranch_execz .LBB15_253
; %bb.224:                              ;   in Loop: Header=BB15_4 Depth=1
	v_and_b32_e32 v0, 48, v17
	v_cmp_ne_u32_e32 vcc, 0, v0
	s_and_saveexec_b64 s[16:17], vcc
	s_cbranch_execz .LBB15_226
; %bb.225:                              ;   in Loop: Header=BB15_4 Depth=1
	v_mov_b64_e32 v[0:1], 0x68
	flat_store_dwordx2 v[0:1], v[52:53]
.LBB15_226:                             ;   in Loop: Header=BB15_4 Depth=1
	s_or_b64 exec, exec, s[16:17]
	v_and_b32_e32 v0, 0x88, v17
	v_cmp_eq_u32_e32 vcc, s67, v0
	s_and_saveexec_b64 s[16:17], vcc
	s_cbranch_execz .LBB15_237
; %bb.227:                              ;   in Loop: Header=BB15_4 Depth=1
	v_add_u32_e32 v0, -1, v52
	v_and_b32_e32 v0, 7, v0
	v_mad_u64_u32 v[0:1], s[18:19], v0, 24, 8
	s_mov_b64 s[18:19], 0
	v_mov_b32_e32 v2, 0
                                        ; implicit-def: $sgpr20_sgpr21
	s_branch .LBB15_232
.LBB15_228:                             ;   in Loop: Header=BB15_232 Depth=2
	s_or_b64 exec, exec, s[48:49]
	v_mov_b32_e32 v3, 0
	s_orn2_b64 s[46:47], s[46:47], exec
.LBB15_229:                             ;   in Loop: Header=BB15_232 Depth=2
	s_or_b64 exec, exec, s[44:45]
	s_and_b64 s[44:45], s[46:47], exec
	v_mov_b32_e32 v2, v3
.LBB15_230:                             ;   in Loop: Header=BB15_232 Depth=2
	s_or_b64 exec, exec, s[24:25]
	s_xor_b64 s[24:25], s[44:45], -1
	s_andn2_b64 s[20:21], s[20:21], exec
	s_and_b64 s[24:25], s[24:25], exec
	s_or_b64 s[20:21], s[20:21], s[24:25]
.LBB15_231:                             ;   in Loop: Header=BB15_232 Depth=2
	s_or_b64 exec, exec, s[22:23]
	s_and_b64 s[22:23], exec, s[20:21]
	s_or_b64 s[18:19], s[22:23], s[18:19]
	s_andn2_b64 exec, exec, s[18:19]
	s_cbranch_execz .LBB15_237
.LBB15_232:                             ;   Parent Loop BB15_4 Depth=1
                                        ; =>  This Inner Loop Header: Depth=2
	flat_load_dwordx2 v[4:5], v[0:1] sc0 sc1
	s_waitcnt vmcnt(0)
	s_or_b64 s[20:21], s[20:21], exec
	s_waitcnt lgkmcnt(0)
	v_cmp_ne_u64_e32 vcc, -1, v[4:5]
	s_and_saveexec_b64 s[22:23], vcc
	s_cbranch_execz .LBB15_231
; %bb.233:                              ;   in Loop: Header=BB15_232 Depth=2
	v_and_b32_e32 v3, 64, v17
	v_cmp_eq_u32_e32 vcc, 0, v3
	s_mov_b64 s[44:45], 0
	s_and_saveexec_b64 s[24:25], vcc
	s_cbranch_execz .LBB15_230
; %bb.234:                              ;   in Loop: Header=BB15_232 Depth=2
	v_add_u32_e32 v3, 1, v2
	v_cmp_lt_i32_e32 vcc, s36, v2
	s_mov_b64 s[46:47], -1
	s_and_saveexec_b64 s[44:45], vcc
	s_cbranch_execz .LBB15_229
; %bb.235:                              ;   in Loop: Header=BB15_232 Depth=2
	s_trap 2
	ds_read_b64 v[2:3], v0
	s_waitcnt lgkmcnt(0)
	flat_load_dword v2, v[2:3] sc0 sc1
	s_waitcnt vmcnt(0) lgkmcnt(0)
	buffer_inv sc0 sc1
	v_cmp_ne_u32_e32 vcc, 0, v2
	s_and_saveexec_b64 s[48:49], vcc
	s_cbranch_execz .LBB15_228
; %bb.236:                              ;   in Loop: Header=BB15_232 Depth=2
	v_or_b32_e32 v17, 64, v17
	s_xor_b64 s[46:47], exec, -1
	ds_write_b32 v0, v2
	s_trap 2
	s_branch .LBB15_228
.LBB15_237:                             ;   in Loop: Header=BB15_4 Depth=1
	s_or_b64 exec, exec, s[16:17]
	v_cmp_ne_u32_e32 vcc, 1, v24
	s_and_b64 exec, exec, vcc
	s_cbranch_execz .LBB15_253
; %bb.238:                              ;   in Loop: Header=BB15_4 Depth=1
	s_and_saveexec_b64 s[16:17], s[12:13]
	s_xor_b64 s[12:13], exec, s[16:17]
	s_cbranch_execz .LBB15_251
; %bb.239:                              ;   in Loop: Header=BB15_4 Depth=1
	s_and_saveexec_b64 s[16:17], s[14:15]
	s_cbranch_execz .LBB15_250
; %bb.240:                              ;   in Loop: Header=BB15_4 Depth=1
	v_mov_b64_e32 v[0:1], 1
	s_waitcnt lgkmcnt(0)
	ds_add_u64 v0, v[0:1] offset:272
	ds_read_b64 v[0:1], v0 offset:272
	v_ashrrev_i32_e32 v25, 31, v24
	s_waitcnt lgkmcnt(0)
	v_cmp_lt_u64_e32 vcc, v[0:1], v[24:25]
	s_and_saveexec_b64 s[14:15], vcc
	s_cbranch_execz .LBB15_249
; %bb.241:                              ;   in Loop: Header=BB15_4 Depth=1
	s_mov_b32 s46, 0
	s_mov_b64 s[18:19], 0
                                        ; implicit-def: $sgpr20_sgpr21
                                        ; implicit-def: $sgpr22_sgpr23
	s_branch .LBB15_243
.LBB15_242:                             ;   in Loop: Header=BB15_243 Depth=2
	s_or_b64 exec, exec, s[44:45]
	s_and_b64 s[24:25], exec, vcc
	s_or_b64 s[18:19], s[24:25], s[18:19]
	s_andn2_b64 s[20:21], s[20:21], exec
	s_and_b64 s[24:25], s[22:23], exec
	s_or_b64 s[20:21], s[20:21], s[24:25]
	s_andn2_b64 exec, exec, s[18:19]
	s_cbranch_execz .LBB15_247
.LBB15_243:                             ;   Parent Loop BB15_4 Depth=1
                                        ; =>  This Inner Loop Header: Depth=2
	s_add_i32 s46, s46, 1
	s_cmpk_lg_i32 s46, 0x2710
	s_cselect_b64 s[24:25], -1, 0
	s_and_b64 vcc, exec, s[24:25]
                                        ; implicit-def: $sgpr44_sgpr45
	s_cbranch_vccnz .LBB15_245
; %bb.244:                              ;   in Loop: Header=BB15_243 Depth=2
	s_trap 2
	ds_read_b64 v[0:1], v0
	s_andn2_b64 s[24:25], s[24:25], exec
	s_mov_b32 s46, 0
	s_mov_b64 s[44:45], -1
	s_waitcnt vmcnt(0) lgkmcnt(0)
	flat_load_dword v0, v[0:1] sc0 sc1
	s_waitcnt vmcnt(0) lgkmcnt(0)
	buffer_inv sc0 sc1
	v_cmp_eq_u32_e32 vcc, 0, v0
	s_and_b64 vcc, vcc, exec
	s_or_b64 s[24:25], s[24:25], vcc
.LBB15_245:                             ;   in Loop: Header=BB15_243 Depth=2
	s_andn2_b64 s[22:23], s[22:23], exec
	s_and_b64 s[44:45], s[44:45], exec
	s_mov_b64 vcc, -1
	s_or_b64 s[22:23], s[22:23], s[44:45]
	s_and_saveexec_b64 s[44:45], s[24:25]
	s_cbranch_execz .LBB15_242
; %bb.246:                              ;   in Loop: Header=BB15_243 Depth=2
	s_sleep 1
	ds_read_b64 v[0:1], v0 offset:272
	s_andn2_b64 s[22:23], s[22:23], exec
	s_waitcnt lgkmcnt(0)
	v_cmp_ge_u64_e32 vcc, v[0:1], v[24:25]
	s_orn2_b64 vcc, vcc, exec
	s_branch .LBB15_242
.LBB15_247:                             ;   in Loop: Header=BB15_4 Depth=1
	s_or_b64 exec, exec, s[18:19]
	s_and_saveexec_b64 s[18:19], s[20:21]
	s_xor_b64 s[18:19], exec, s[18:19]
	s_cbranch_execz .LBB15_249
; %bb.248:                              ;   in Loop: Header=BB15_4 Depth=1
	ds_write_b32 v0, v20
	s_trap 2
.LBB15_249:                             ;   in Loop: Header=BB15_4 Depth=1
	s_or_b64 exec, exec, s[14:15]
	;;#ASMSTART
	s_wakeup
	;;#ASMEND
.LBB15_250:                             ;   in Loop: Header=BB15_4 Depth=1
	s_or_b64 exec, exec, s[16:17]
.LBB15_251:                             ;   in Loop: Header=BB15_4 Depth=1
	s_andn2_saveexec_b64 s[12:13], s[12:13]
	s_cbranch_execz .LBB15_253
; %bb.252:                              ;   in Loop: Header=BB15_4 Depth=1
	s_waitcnt lgkmcnt(0)
	s_barrier
.LBB15_253:                             ;   in Loop: Header=BB15_4 Depth=1
	s_or_b64 exec, exec, s[42:43]
                                        ; implicit-def: $vgpr2_vgpr3
                                        ; implicit-def: $vgpr8_vgpr9
                                        ; implicit-def: $vgpr6_vgpr7
                                        ; implicit-def: $vgpr10_vgpr11
                                        ; implicit-def: $vgpr4_vgpr5
.LBB15_254:                             ;   in Loop: Header=BB15_4 Depth=1
	s_andn2_saveexec_b64 s[12:13], s[40:41]
	s_cbranch_execz .LBB15_3
; %bb.255:                              ;   in Loop: Header=BB15_4 Depth=1
	v_sub_u32_e64 v1, s69, 1 clamp
	v_lshl_add_u64 v[8:9], v[8:9], 0, v[6:7]
	v_readfirstlane_b32 s12, v1
	s_flbit_i32_b32 s12, s12
	s_sub_i32 s12, 32, s12
	s_lshl_b32 s12, 1, s12
	s_cmp_gt_u32 s69, 1
	v_lshl_add_u64 v[6:7], v[4:5], 0, v[2:3]
	s_cselect_b32 s19, s12, 1
	v_and_b32_e32 v0, 0x3ffffe00, v10
	scratch_store_dwordx4 off, v[4:7], s32
	scratch_store_dwordx2 off, v[8:9], s32 offset:16
	scratch_store_dword off, v0, s32 offset:24
	v_mov_b32_e32 v4, s70
	v_mov_b32_e32 v5, s69
	;; [unrolled: 1-line block ×3, first 2 shown]
	scratch_store_dwordx3 off, v[4:6], s32 offset:32
	scratch_store_dword off, v6, s32 offset:68
	s_lshr_b32 s12, s69, 31
	v_accvgpr_read_b32 v5, a28              ;  Reload Reuse
	v_accvgpr_read_b32 v4, a29              ;  Reload Reuse
	s_add_i32 s69, s69, s12
	s_mov_b32 s18, 1
	v_mov_b32_e32 v6, v4
	v_mov_b32_e32 v7, v20
	v_accvgpr_write_b32 a28, v5             ;  Reload Reuse
	v_accvgpr_write_b32 a29, v4             ;  Reload Reuse
	v_mov_b32_e32 v1, v16
	s_ashr_i32 s17, s69, 1
	scratch_store_dwordx2 off, v[6:7], s32 offset:52
	s_branch .LBB15_257
.LBB15_256:                             ;   in Loop: Header=BB15_257 Depth=2
	s_andn2_b64 vcc, exec, s[14:15]
	s_cbranch_vccz .LBB15_261
.LBB15_257:                             ;   Parent Loop BB15_4 Depth=1
                                        ; =>  This Inner Loop Header: Depth=2
	s_mov_b32 s20, s18
	s_ashr_i32 s12, s18, 31
	v_mul_hi_u32 v4, v2, s20
	v_mul_lo_u32 v5, v2, s12
	v_add_u32_e32 v4, v4, v5
	v_mul_lo_u32 v5, v3, s20
	v_add_u32_e32 v5, v4, v5
	v_mul_lo_u32 v4, v2, s20
	v_cmp_lt_u64_e32 vcc, v[0:1], v[4:5]
	s_mov_b32 s16, s19
	v_mov_b64_e32 v[6:7], 0
	s_cbranch_vccnz .LBB15_259
; %bb.258:                              ;   in Loop: Header=BB15_257 Depth=2
	v_cvt_f32_u32_e32 v5, v4
	v_sub_u32_e32 v6, 0, v4
	v_rcp_iflag_f32_e32 v5, v5
	s_nop 0
	v_mul_f32_e32 v5, 0x4f7ffffe, v5
	v_cvt_u32_f32_e32 v5, v5
	v_mul_lo_u32 v6, v6, v5
	v_mul_hi_u32 v6, v5, v6
	v_add_u32_e32 v5, v5, v6
	v_mul_hi_u32 v5, v0, v5
	v_mul_lo_u32 v7, v5, v4
	v_sub_u32_e32 v7, v0, v7
	v_add_u32_e32 v6, 1, v5
	v_sub_u32_e32 v8, v7, v4
	v_cmp_ge_u32_e32 vcc, v7, v4
	s_nop 1
	v_cndmask_b32_e32 v7, v7, v8, vcc
	v_cndmask_b32_e32 v5, v5, v6, vcc
	v_add_u32_e32 v6, 1, v5
	v_cmp_ge_u32_e32 vcc, v7, v4
	v_mov_b32_e32 v7, v16
	s_nop 0
	v_cndmask_b32_e32 v6, v5, v6, vcc
.LBB15_259:                             ;   in Loop: Header=BB15_257 Depth=2
	s_cmp_lt_i32 s20, s17
	s_cselect_b64 s[12:13], -1, 0
	s_cmp_ge_i32 s20, s17
	v_cmp_gt_u64_e32 vcc, 2, v[6:7]
	s_cselect_b64 s[18:19], -1, 0
	s_or_b64 s[18:19], s[18:19], vcc
	s_mov_b64 s[14:15], -1
	s_and_b64 vcc, exec, s[18:19]
                                        ; implicit-def: $sgpr18
                                        ; implicit-def: $sgpr19
	s_cbranch_vccnz .LBB15_256
; %bb.260:                              ;   in Loop: Header=BB15_257 Depth=2
	s_lshr_b32 s14, s16, 31
	s_lshl_b32 s18, s20, 1
	s_add_i32 s14, s16, s14
	v_mov_b32_e32 v4, s18
	s_ashr_i32 s19, s14, 1
	scratch_store_dword off, v4, s32 offset:56
	v_mov_b32_e32 v4, s19
	s_mov_b64 s[14:15], 0
	scratch_store_dword off, v4, s32 offset:68
	s_branch .LBB15_256
.LBB15_261:                             ;   in Loop: Header=BB15_4 Depth=1
	v_mov_b32_e32 v4, s20
	s_cmp_gt_i32 s20, 1
	s_mov_b32 s21, 2
	scratch_store_dword off, v4, s32 offset:44
	s_cbranch_scc1 .LBB15_263
; %bb.262:                              ;   in Loop: Header=BB15_4 Depth=1
	v_mov_b32_e32 v4, s20
	s_mov_b32 s21, s20
	scratch_store_dword off, v4, s32 offset:52
.LBB15_263:                             ;   in Loop: Header=BB15_4 Depth=1
	s_andn2_b64 vcc, exec, s[12:13]
	s_cbranch_vccnz .LBB15_268
; %bb.264:                              ;   in Loop: Header=BB15_4 Depth=1
	s_lshr_b32 s13, s16, 31
	s_lshl_b32 s12, s20, 1
	s_add_i32 s13, s16, s13
	v_mov_b32_e32 v4, s12
	s_ashr_i32 s13, s13, 1
	scratch_store_dword off, v4, s32 offset:56
	v_mov_b32_e32 v4, s13
	s_cmp_ge_i32 s12, s17
	scratch_store_dword off, v4, s32 offset:68
	s_cbranch_scc1 .LBB15_267
; %bb.265:                              ;   in Loop: Header=BB15_4 Depth=1
	s_ashr_i32 s14, s16, 31
	s_lshr_b32 s13, s14, 30
	s_lshl_b32 s12, s20, 2
	s_add_i32 s13, s16, s13
	v_mov_b32_e32 v4, s12
	s_ashr_i32 s13, s13, 2
	scratch_store_dword off, v4, s32 offset:56
	v_mov_b32_e32 v4, s13
	s_cmp_ge_i32 s12, s17
	scratch_store_dword off, v4, s32 offset:68
	s_cbranch_scc1 .LBB15_267
; %bb.266:                              ;   in Loop: Header=BB15_4 Depth=1
	s_lshr_b32 s13, s14, 29
	s_lshl_b32 s12, s20, 3
	s_add_i32 s13, s16, s13
	v_mov_b32_e32 v4, s12
	s_ashr_i32 s13, s13, 3
	scratch_store_dword off, v4, s32 offset:56
	v_mov_b32_e32 v4, s13
	scratch_store_dword off, v4, s32 offset:68
.LBB15_267:                             ;   in Loop: Header=BB15_4 Depth=1
	s_mov_b32 s20, s12
	s_mov_b32 s16, s13
.LBB15_268:                             ;   in Loop: Header=BB15_4 Depth=1
	v_sub_u32_e64 v4, s16, 1 clamp
	s_nop 0
	v_readfirstlane_b32 s12, v4
	s_flbit_i32_b32 s12, s12
	s_sub_i32 s14, 32, s12
	s_cmp_lt_u32 s16, 2
	s_cselect_b64 s[12:13], -1, 0
	s_and_b64 vcc, s[12:13], exec
	v_cmp_lt_i64_e64 s[12:13], v[0:1], v[2:3]
	s_cselect_b32 s23, 0, s14
	s_mov_b32 s16, 0
	v_cndmask_b32_e64 v0, v2, v0, s[12:13]
	s_lshr_b32 s12, s20, 31
	s_add_i32 s12, s20, s12
	s_ashr_i32 s22, s12, 1
	s_add_i32 s12, s20, -2
	s_cmp_lt_u32 s12, -3
	s_cselect_b64 s[12:13], -1, 0
	s_and_b64 s[14:15], s[12:13], exec
	s_cselect_b32 s14, 2, 1
	scratch_store_dword off, v0, s32 offset:28
	v_mov_b32_e32 v0, s22
	v_mov_b32_e32 v1, s14
	;; [unrolled: 1-line block ×4, first 2 shown]
	scratch_store_dwordx4 off, v[0:3], s32 offset:72
	s_cbranch_vccnz .LBB15_284
; %bb.269:                              ;   in Loop: Header=BB15_4 Depth=1
	s_cmp_gt_u32 s23, 1
	s_mov_b64 s[14:15], -1
	s_cbranch_scc0 .LBB15_273
; %bb.270:                              ;   in Loop: Header=BB15_4 Depth=1
	s_and_b32 s16, s23, 62
	s_mov_b32 s14, s23
	s_mov_b32 s15, 1
	;; [unrolled: 1-line block ×5, first 2 shown]
.LBB15_271:                             ;   Parent Loop BB15_4 Depth=1
                                        ; =>  This Inner Loop Header: Depth=2
	v_mov_b32_e32 v21, v20
	s_sub_i32 s24, s14, s15
	s_sub_i32 s25, s23, s17
	s_add_i32 vcc_lo, s19, 0xffffff80
	s_add_i32 s17, s17, 2
	s_add_i32 s15, s15, 2
	s_add_i32 s18, s18, -2
	scratch_store_dwordx2 off, v[20:21], s19
	s_add_i32 s19, s19, 8
	v_mov_b32_e32 v0, s25
	v_mov_b32_e32 v1, s24
	s_cmp_lg_u32 s18, 0
	scratch_store_dwordx2 off, v[0:1], vcc_lo
	s_cbranch_scc1 .LBB15_271
; %bb.272:                              ;   in Loop: Header=BB15_4 Depth=1
	s_cmp_lg_u32 s23, s16
	s_cselect_b64 s[14:15], -1, 0
.LBB15_273:                             ;   in Loop: Header=BB15_4 Depth=1
	s_and_b64 vcc, exec, s[14:15]
	s_cbranch_vccz .LBB15_276
; %bb.274:                              ;   in Loop: Header=BB15_4 Depth=1
	s_lshl_b32 s14, s16, 2
	s_add_i32 s14, s66, s14
	s_sub_i32 s15, s23, s16
.LBB15_275:                             ;   Parent Loop BB15_4 Depth=1
                                        ; =>  This Inner Loop Header: Depth=2
	s_add_i32 s16, s14, 0xffffff80
	v_mov_b32_e32 v0, s15
	scratch_store_dword off, v20, s14
	s_add_i32 s14, s14, 4
	s_add_i32 s15, s15, -1
	s_cmp_eq_u32 s15, 0
	scratch_store_dword off, v0, s16
	s_cbranch_scc0 .LBB15_275
.LBB15_276:                             ;   in Loop: Header=BB15_4 Depth=1
	s_mov_b32 s24, 0
	v_mov_b32_e32 v3, 0
	s_mov_b32 s25, s66
	s_branch .LBB15_280
.LBB15_277:                             ;   in Loop: Header=BB15_280 Depth=2
	s_or_b64 exec, exec, s[18:19]
	v_add_u32_e32 v1, 1, v1
	scratch_store_dword off, v1, s25
.LBB15_278:                             ;   in Loop: Header=BB15_280 Depth=2
	s_or_b64 exec, exec, s[16:17]
	v_mov_b32_e32 v3, v0
.LBB15_279:                             ;   in Loop: Header=BB15_280 Depth=2
	s_or_b64 exec, exec, s[14:15]
	s_add_i32 s24, s24, 1
	s_add_i32 s25, s25, 4
	s_cmp_lg_u32 s23, s24
	s_cbranch_scc0 .LBB15_284
.LBB15_280:                             ;   Parent Loop BB15_4 Depth=1
                                        ; =>  This Inner Loop Header: Depth=2
	s_add_i32 s40, s25, 0xffffff80
	scratch_load_dword v0, off, s40
	s_waitcnt vmcnt(0)
	v_add_u32_e32 v0, -1, v0
	v_cmp_eq_u32_e32 vcc, 0, v0
	scratch_store_dword off, v0, s40
	s_and_saveexec_b64 s[14:15], vcc
	s_cbranch_execz .LBB15_279
; %bb.281:                              ;   in Loop: Header=BB15_280 Depth=2
	s_lshl_b32 s41, 1, s24
	v_xor_b32_e32 v0, s41, v3
	v_mov_b32_e32 v1, s41
	scratch_store_dword off, v0, s32 offset:84
	scratch_store_dword off, v1, s40
	v_and_b32_e32 v1, s41, v3
	v_cmp_ne_u32_e32 vcc, 0, v1
	s_and_saveexec_b64 s[16:17], vcc
	s_cbranch_execz .LBB15_278
; %bb.282:                              ;   in Loop: Header=BB15_280 Depth=2
	scratch_load_dword v1, off, s25
	v_mov_b32_e32 v2, s23
	s_waitcnt vmcnt(0)
	v_ffbl_b32_e32 v4, v1
	v_cmp_eq_u32_e32 vcc, 0, v1
	s_nop 1
	v_cndmask_b32_e32 v2, v4, v2, vcc
	v_add3_u32 v2, s41, -1, v2
	v_cmp_eq_u32_e32 vcc, 0, v2
	scratch_store_dword off, v2, s40
	s_and_saveexec_b64 s[18:19], vcc
	s_cbranch_execz .LBB15_277
; %bb.283:                              ;   in Loop: Header=BB15_280 Depth=2
	v_mov_b32_e32 v0, s41
	scratch_store_dword off, v3, s32 offset:84
	scratch_store_dword off, v0, s40
	v_mov_b32_e32 v0, v3
	s_branch .LBB15_277
.LBB15_284:                             ;   in Loop: Header=BB15_4 Depth=1
	s_nop 0
	v_mov_b32_e32 v0, v3
	v_mov_b32_e32 v1, v16
	s_andn2_b64 vcc, exec, s[12:13]
	scratch_store_dwordx2 off, v[0:1], s32 offset:60
	s_cbranch_vccnz .LBB15_286
; %bb.285:                              ;   in Loop: Header=BB15_4 Depth=1
	s_lshl_b32 s12, s22, 1
	s_ashr_i32 s13, s22, 31
	s_add_i32 s12, s12, s13
	s_xor_b32 s12, s12, s13
	v_cvt_f32_u32_e32 v0, s12
	s_ashr_i32 s14, s20, 31
	s_xor_b32 s13, s14, s13
	s_sub_i32 s14, 0, s12
	v_rcp_iflag_f32_e32 v0, v0
	s_abs_i32 s15, s20
	v_mul_f32_e32 v0, 0x4f7ffffe, v0
	v_cvt_u32_f32_e32 v0, v0
	s_nop 0
	v_readfirstlane_b32 s16, v0
	s_mul_i32 s14, s14, s16
	s_mul_hi_u32 s14, s16, s14
	s_add_i32 s16, s16, s14
	s_mul_hi_u32 s14, s15, s16
	s_mul_i32 s16, s14, s12
	s_sub_i32 s15, s15, s16
	s_add_i32 s17, s14, 1
	s_sub_i32 s16, s15, s12
	s_cmp_ge_u32 s15, s12
	s_cselect_b32 s14, s17, s14
	s_cselect_b32 s15, s16, s15
	s_add_i32 s16, s14, 1
	s_cmp_ge_u32 s15, s12
	s_cselect_b32 s12, s16, s14
	s_xor_b32 s12, s12, s13
	s_sub_i32 s20, s12, s13
.LBB15_286:                             ;   in Loop: Header=BB15_4 Depth=1
	v_mov_b32_e32 v0, s20
	scratch_store_dword off, v0, s32 offset:48
	v_mov_b32_e32 v0, s21
	s_mov_b32 s52, 0
	s_mov_b64 s[22:23], 0
	ds_write_b32 v0, v0
	s_trap 2
	s_branch .LBB15_289
.LBB15_287:                             ;   in Loop: Header=BB15_289 Depth=2
	s_or_b64 exec, exec, s[12:13]
	s_andn2_b64 s[18:19], s[18:19], exec
.LBB15_288:                             ;   in Loop: Header=BB15_289 Depth=2
	s_or_b64 exec, exec, s[16:17]
	s_add_i32 s52, s52, 1
	s_and_b64 s[12:13], exec, s[18:19]
	v_cndmask_b32_e64 v0, 1, 3, s[14:15]
	s_or_b64 s[22:23], s[12:13], s[22:23]
	ds_write_b32 v0, v0 offset:36
	s_andn2_b64 exec, exec, s[22:23]
	s_cbranch_execz .LBB15_2
.LBB15_289:                             ;   Parent Loop BB15_4 Depth=1
                                        ; =>  This Loop Header: Depth=2
                                        ;       Child Loop BB15_290 Depth 3
                                        ;       Child Loop BB15_352 Depth 3
	;; [unrolled: 1-line block ×5, first 2 shown]
	s_trap 2
.LBB15_290:                             ;   Parent Loop BB15_4 Depth=1
                                        ;     Parent Loop BB15_289 Depth=2
                                        ; =>    This Inner Loop Header: Depth=3
	ds_read_b32 v0, v0 offset:36
	s_waitcnt lgkmcnt(0)
	v_cmp_ne_u32_e32 vcc, 0, v0
	s_cbranch_vccnz .LBB15_290
; %bb.291:                              ;   in Loop: Header=BB15_289 Depth=2
	scratch_load_dword v10, off, s32 offset:76
	scratch_load_dword v12, off, s32 offset:48
	;; [unrolled: 1-line block ×3, first 2 shown]
	scratch_load_dwordx2 v[4:5], off, s32
	scratch_load_dword v11, off, s32 offset:64
	s_mov_b64 s[14:15], -1
	s_waitcnt vmcnt(0)
	ds_write2_b32 v0, v13, v16 offset0:7 offset1:8
	ds_write_b64 v0, v[4:5] offset:40
	v_cmp_lt_i32_e32 vcc, v11, v12
	s_and_saveexec_b64 s[24:25], vcc
	s_cbranch_execz .LBB15_327
; %bb.292:                              ;   in Loop: Header=BB15_289 Depth=2
	v_cmp_lt_i32_e32 vcc, 0, v10
                                        ; implicit-def: $sgpr12_sgpr13
	s_and_saveexec_b64 s[14:15], vcc
	s_xor_b64 s[40:41], exec, s[14:15]
	s_cbranch_execz .LBB15_320
; %bb.293:                              ;   in Loop: Header=BB15_289 Depth=2
	v_cmp_lt_i32_e32 vcc, 1, v10
                                        ; implicit-def: $sgpr42_sgpr43
	s_and_saveexec_b64 s[12:13], vcc
	s_xor_b64 s[16:17], exec, s[12:13]
	s_cbranch_execz .LBB15_305
; %bb.294:                              ;   in Loop: Header=BB15_289 Depth=2
	v_cmp_eq_u32_e32 vcc, 2, v10
	s_mov_b64 s[12:13], 0
	s_and_saveexec_b64 s[18:19], vcc
	s_cbranch_execz .LBB15_304
; %bb.295:                              ;   in Loop: Header=BB15_289 Depth=2
	scratch_load_dword v2, off, s32 offset:44
	scratch_load_dwordx2 v[0:1], off, s32 offset:68
	v_sub_u32_e32 v8, 0, v11
	v_max_i32_e32 v17, v11, v8
	v_lshlrev_b32_e32 v6, 1, v11
	v_ashrrev_i32_e32 v9, 31, v11
	v_or_b32_e32 v14, 1, v6
                                        ; implicit-def: $sgpr12_sgpr13
	s_waitcnt vmcnt(1)
	v_sub_u32_e32 v3, 0, v2
	v_max_i32_e32 v3, v2, v3
	v_cvt_f32_u32_e32 v7, v3
	s_waitcnt vmcnt(0)
	v_mul_lo_u32 v8, v0, v1
	v_rcp_iflag_f32_e32 v15, v7
	v_ashrrev_i32_e32 v7, 31, v2
	v_mul_f32_e32 v0, 0x4f7ffffe, v15
	v_cvt_u32_f32_e32 v1, v0
	v_mul_lo_u32 v0, v8, v14
	v_xor_b32_e32 v14, v9, v7
	v_sub_u32_e32 v9, 0, v3
	v_mul_lo_u32 v9, v9, v1
	v_mul_hi_u32 v9, v1, v9
	v_add_u32_e32 v9, v1, v9
	v_mul_hi_u32 v1, v17, v9
	v_mul_lo_u32 v15, v1, v3
	v_sub_u32_e32 v15, v17, v15
	v_add_u32_e32 v18, 1, v1
	v_cmp_ge_u32_e32 vcc, v15, v3
	v_sub_u32_e32 v17, v15, v3
	s_nop 0
	v_cndmask_b32_e32 v1, v1, v18, vcc
	v_cndmask_b32_e32 v15, v15, v17, vcc
	v_add_u32_e32 v17, 1, v1
	v_cmp_ge_u32_e32 vcc, v15, v3
	s_nop 1
	v_cndmask_b32_e32 v1, v1, v17, vcc
	v_xor_b32_e32 v1, v1, v14
	v_sub_u32_e32 v1, v1, v14
	v_mul_lo_u32 v14, v1, v2
	v_sub_u32_e32 v15, v11, v14
	v_add_u32_e32 v14, -1, v2
	v_cmp_ne_u32_e32 vcc, v15, v14
                                        ; implicit-def: $vgpr14
	s_and_saveexec_b64 s[14:15], vcc
	s_xor_b64 s[14:15], exec, s[14:15]
	s_cbranch_execz .LBB15_297
; %bb.296:                              ;   in Loop: Header=BB15_289 Depth=2
	scratch_load_dword v14, off, s32 offset:36
	v_lshl_add_u32 v17, v8, 1, v0
	s_waitcnt vmcnt(0)
	v_cmp_ge_i32_e32 vcc, v17, v14
	s_and_b64 s[12:13], vcc, exec
.LBB15_297:                             ;   in Loop: Header=BB15_289 Depth=2
	s_andn2_saveexec_b64 s[14:15], s[14:15]
	s_cbranch_execz .LBB15_299
; %bb.298:                              ;   in Loop: Header=BB15_289 Depth=2
	scratch_load_dword v14, off, s32 offset:36
	s_or_b64 s[12:13], s[12:13], exec
.LBB15_299:                             ;   in Loop: Header=BB15_289 Depth=2
	s_or_b64 exec, exec, s[14:15]
	scratch_load_dword v17, off, s32 offset:40
	scratch_load_dword v21, off, s32 offset:32
	scratch_load_dwordx2 v[18:19], off, s32 offset:16
	s_waitcnt vmcnt(3)
	v_sub_u32_e32 v22, 0, v14
	v_max_i32_e32 v22, v14, v22
	v_cvt_f32_u32_e32 v23, v22
	v_cndmask_b32_e64 v24, 0, 1, s[12:13]
	v_mul_lo_u32 v15, v15, v13
	ds_write2_b32 v0, v16, v24 offset0:5 offset1:6
	ds_write2_b32 v0, v15, v1 offset0:3 offset1:4
	v_rcp_iflag_f32_e32 v23, v23
	v_sub_u32_e32 v1, 0, v22
	v_ffbl_b32_e32 v25, v0
	v_cmp_eq_u32_e64 s[12:13], 0, v8
	v_mul_f32_e32 v23, 0x4f7ffffe, v23
	v_cvt_u32_f32_e32 v23, v23
	v_cmp_ge_i32_e32 vcc, v0, v14
                                        ; implicit-def: $sgpr20_sgpr21
	v_mul_lo_u32 v1, v1, v23
	v_mul_hi_u32 v1, v23, v1
	v_add_u32_e32 v15, v23, v1
	s_waitcnt vmcnt(2)
	v_cndmask_b32_e64 v1, v25, v17, s[12:13]
	v_lshl_add_u32 v0, -1, v1, v0
	s_waitcnt vmcnt(1)
	v_add3_u32 v14, v0, v14, v21
	v_sub_u32_e32 v21, 0, v14
	v_ashrrev_i32_e32 v17, 31, v14
	v_max_i32_e32 v14, v14, v21
	v_mul_hi_u32 v15, v14, v15
	v_mul_lo_u32 v15, v15, v22
	v_sub_u32_e32 v14, v14, v15
	v_sub_u32_e32 v15, v14, v22
	v_cmp_ge_u32_e64 s[14:15], v14, v22
	v_cmp_ne_u32_e64 s[12:13], 0, v0
	v_ffbl_b32_e32 v0, v0
	v_cndmask_b32_e64 v14, v14, v15, s[14:15]
	v_sub_u32_e32 v15, v14, v22
	v_cmp_ge_u32_e64 s[14:15], v14, v22
	s_nop 1
	v_cndmask_b32_e64 v14, v14, v15, s[14:15]
	v_xor_b32_e32 v14, v14, v17
	v_sub_u32_e32 v14, v14, v17
	v_ashrrev_i32_e32 v17, 31, v14
	s_waitcnt vmcnt(0)
	v_mul_lo_u32 v19, v19, v14
	v_mad_u64_u32 v[14:15], s[14:15], v18, v14, v[4:5]
	v_mul_lo_u32 v17, v18, v17
	v_add3_u32 v15, v19, v15, v17
	ds_write2_b64 v0, v[0:1], v[14:15] offset1:6
	s_and_saveexec_b64 s[14:15], s[12:13]
	s_xor_b64 s[14:15], exec, s[14:15]
	s_cbranch_execz .LBB15_301
; %bb.300:                              ;   in Loop: Header=BB15_289 Depth=2
	v_mul_lo_u32 v1, v8, v6
	v_add_u32_e32 v0, 1, v0
	v_ashrrev_i32_e32 v0, v0, v1
	v_sub_u32_e32 v6, 0, v0
	v_ashrrev_i32_e32 v1, 31, v0
	v_max_i32_e32 v6, v0, v6
	v_xor_b32_e32 v1, v1, v7
	v_mul_hi_u32 v7, v6, v9
	v_mul_lo_u32 v8, v7, v3
	v_sub_u32_e32 v6, v6, v8
	v_add_u32_e32 v8, 1, v7
	v_cmp_ge_u32_e64 s[12:13], v6, v3
	s_and_b64 s[20:21], vcc, exec
	s_nop 0
	v_cndmask_b32_e64 v7, v7, v8, s[12:13]
	v_sub_u32_e32 v8, v6, v3
	v_cndmask_b32_e64 v6, v6, v8, s[12:13]
	v_add_u32_e32 v8, 1, v7
	v_cmp_ge_u32_e64 s[12:13], v6, v3
	s_nop 1
	v_cndmask_b32_e64 v3, v7, v8, s[12:13]
	v_xor_b32_e32 v3, v3, v1
	v_sub_u32_e32 v1, v3, v1
	v_mul_lo_u32 v2, v1, v2
	v_sub_u32_e32 v0, v0, v2
	v_mul_lo_u32 v0, v0, v13
	ds_write2_b32 v0, v0, v1 offset0:2 offset1:4
.LBB15_301:                             ;   in Loop: Header=BB15_289 Depth=2
	s_andn2_saveexec_b64 s[12:13], s[14:15]
	s_cbranch_execz .LBB15_303
; %bb.302:                              ;   in Loop: Header=BB15_289 Depth=2
	s_andn2_b64 s[14:15], s[20:21], exec
	s_and_b64 s[20:21], vcc, exec
	s_or_b64 s[20:21], s[14:15], s[20:21]
	ds_write_b32 v0, v34 offset:8
.LBB15_303:                             ;   in Loop: Header=BB15_289 Depth=2
	s_or_b64 exec, exec, s[12:13]
	s_and_b64 s[12:13], s[20:21], exec
.LBB15_304:                             ;   in Loop: Header=BB15_289 Depth=2
	s_or_b64 exec, exec, s[18:19]
	s_and_b64 s[42:43], s[12:13], exec
                                        ; implicit-def: $vgpr13
.LBB15_305:                             ;   in Loop: Header=BB15_289 Depth=2
	s_andn2_saveexec_b64 s[44:45], s[16:17]
	s_cbranch_execz .LBB15_319
; %bb.306:                              ;   in Loop: Header=BB15_289 Depth=2
	scratch_load_dword v6, off, s32 offset:68
	scratch_load_dwordx4 v[0:3], off, s32 offset:32
	scratch_load_dword v15, off, s32 offset:60
	scratch_load_dwordx2 v[8:9], off, s32 offset:16
	v_ashrrev_i32_e32 v7, 31, v11
	v_sub_u32_e32 v14, 0, v11
	v_max_i32_e32 v22, v11, v14
	s_waitcnt vmcnt(3)
	v_mul_lo_u32 v19, v6, v11
	s_waitcnt vmcnt(2)
	v_sub_u32_e32 v17, 0, v1
	v_ashrrev_i32_e32 v21, 31, v3
	v_max_i32_e32 v24, v1, v17
	v_xor_b32_e32 v25, v7, v21
	v_add_u32_e32 v7, v3, v21
	v_cvt_f32_u32_e32 v26, v24
	v_xor_b32_e32 v23, v7, v21
	v_cvt_f32_u32_e32 v28, v23
	s_waitcnt vmcnt(1)
	v_add_u32_e32 v14, v19, v15
	v_rcp_iflag_f32_e32 v26, v26
	v_ffbl_b32_e32 v17, v14
	v_rcp_iflag_f32_e32 v28, v28
	v_cmp_eq_u32_e32 vcc, 0, v14
	v_mul_f32_e32 v26, 0x4f7ffffe, v26
	v_cvt_u32_f32_e32 v26, v26
	v_cndmask_b32_e32 v7, v17, v2, vcc
	v_lshlrev_b32_e64 v2, v7, -1
	v_mul_f32_e32 v28, 0x4f7ffffe, v28
	v_add_u32_e32 v17, v2, v14
	v_cvt_u32_f32_e32 v28, v28
	v_add3_u32 v0, v0, v1, v17
	v_sub_u32_e32 v27, 0, v24
	v_sub_u32_e32 v31, 0, v0
	;; [unrolled: 1-line block ×3, first 2 shown]
	v_ashrrev_i32_e32 v30, 31, v0
	v_max_i32_e32 v31, v0, v31
	v_mul_lo_u32 v0, v27, v26
	v_mul_hi_u32 v0, v26, v0
	v_mul_lo_u32 v27, v29, v28
	v_add_u32_e32 v0, v26, v0
	v_mul_hi_u32 v26, v28, v27
	v_mul_hi_u32 v27, v31, v0
	v_add_u32_e32 v0, v28, v26
	v_mul_lo_u32 v26, v27, v24
	v_mul_hi_u32 v27, v22, v0
	v_sub_u32_e32 v26, v31, v26
	v_mul_lo_u32 v28, v27, v23
	v_sub_u32_e32 v31, v26, v24
	v_sub_u32_e32 v22, v22, v28
	v_cmp_ge_u32_e32 vcc, v26, v24
	v_add_u32_e32 v29, 1, v27
	v_sub_u32_e32 v28, v22, v23
	v_cndmask_b32_e32 v26, v26, v31, vcc
	v_cmp_ge_u32_e32 vcc, v22, v23
	v_add_u32_e32 v18, -1, v3
	v_add_u32_e32 v6, v14, v6
	v_cndmask_b32_e32 v27, v27, v29, vcc
	v_sub_u32_e32 v29, v26, v24
	v_cndmask_b32_e32 v22, v22, v28, vcc
	v_cmp_ge_u32_e32 vcc, v26, v24
	v_add_u32_e32 v28, 1, v27
	v_cmp_ge_i32_e64 s[14:15], v6, v1
	v_cndmask_b32_e32 v24, v26, v29, vcc
	v_cmp_ge_u32_e32 vcc, v22, v23
	v_xor_b32_e32 v24, v24, v30
	v_sub_u32_e32 v24, v24, v30
	v_cndmask_b32_e32 v22, v27, v28, vcc
	v_xor_b32_e32 v22, v22, v25
	v_sub_u32_e32 v22, v22, v25
	v_mul_lo_u32 v28, v22, v3
	v_cmp_eq_u32_e32 vcc, 0, v7
	v_ashrrev_i32_e32 v27, 31, v24
	s_waitcnt vmcnt(0)
	v_mul_lo_u32 v9, v9, v24
	v_mad_u64_u32 v[24:25], s[20:21], v8, v24, v[4:5]
	v_cndmask_b32_e64 v26, v22, 0, vcc
	v_sub_u32_e32 v22, v11, v28
	v_cmp_eq_u32_e64 s[20:21], v22, v18
	v_cmp_gt_i32_e64 s[16:17], v6, v1
	v_mul_lo_u32 v8, v8, v27
	s_or_b64 s[14:15], s[20:21], s[14:15]
	v_add3_u32 v25, v9, v25, v8
	v_mul_lo_u32 v8, v22, v13
	v_cndmask_b32_e64 v22, 0, 1, s[14:15]
	s_or_b64 s[14:15], s[20:21], s[16:17]
	s_and_b64 s[14:15], vcc, s[14:15]
	v_cmp_ne_u32_e64 s[12:13], 0, v7
	v_cmp_ne_u32_e64 s[18:19], 0, v17
	v_ffbl_b32_e32 v6, v17
	v_mov_b32_e32 v9, v8
	v_cndmask_b32_e64 v27, 0, 1, s[14:15]
	ds_write_b64 v0, v[24:25] offset:48
	ds_write2_b64 v0, v[6:7], v[8:9] offset1:1
	ds_write_b32 v0, v22 offset:24
	ds_write_b64 v0, v[26:27] offset:16
	s_and_saveexec_b64 s[14:15], s[18:19]
	s_xor_b64 s[16:17], exec, s[14:15]
	s_cbranch_execz .LBB15_314
; %bb.307:                              ;   in Loop: Header=BB15_289 Depth=2
	v_sub_u32_e32 v7, 0, v15
	v_cmp_eq_u32_e64 s[14:15], v2, v7
	s_and_saveexec_b64 s[18:19], s[14:15]
	s_cbranch_execz .LBB15_313
; %bb.308:                              ;   in Loop: Header=BB15_289 Depth=2
	v_add_u32_e32 v2, 1, v6
	v_ashrrev_i32_e32 v7, v2, v19
	v_sub_u32_e32 v8, 0, v7
	v_max_i32_e32 v8, v7, v8
	v_mul_hi_u32 v0, v8, v0
	v_mul_lo_u32 v9, v0, v23
	v_sub_u32_e32 v8, v8, v9
	v_add_u32_e32 v9, 1, v0
	v_cmp_ge_u32_e64 s[14:15], v8, v23
	v_ashrrev_i32_e32 v2, 31, v7
	v_xor_b32_e32 v2, v2, v21
	v_cndmask_b32_e64 v0, v0, v9, s[14:15]
	v_sub_u32_e32 v9, v8, v23
	v_cndmask_b32_e64 v8, v8, v9, s[14:15]
	v_add_u32_e32 v9, 1, v0
	v_cmp_ge_u32_e64 s[14:15], v8, v23
	s_nop 1
	v_cndmask_b32_e64 v0, v0, v9, s[14:15]
	v_xor_b32_e32 v0, v0, v2
	v_sub_u32_e32 v2, v0, v2
	v_mul_lo_u32 v0, v2, v3
	v_sub_u32_e32 v0, v7, v0
	v_mul_lo_u32 v3, v0, v13
	ds_write_b32 v0, v3 offset:8
                                        ; implicit-def: $sgpr14
	s_and_saveexec_b64 s[20:21], s[12:13]
	s_xor_b64 s[12:13], exec, s[20:21]
; %bb.309:                              ;   in Loop: Header=BB15_289 Depth=2
	s_mov_b32 s14, 0
                                        ; implicit-def: $vgpr0
                                        ; implicit-def: $vgpr18
                                        ; implicit-def: $vgpr7
                                        ; implicit-def: $vgpr6
; %bb.310:                              ;   in Loop: Header=BB15_289 Depth=2
	s_or_saveexec_b64 s[20:21], s[12:13]
	v_mov_b32_e32 v3, s14
	s_xor_b64 exec, exec, s[20:21]
; %bb.311:                              ;   in Loop: Header=BB15_289 Depth=2
	v_cmp_eq_u32_e64 s[12:13], v0, v18
	v_lshlrev_b32_e32 v0, 1, v7
	v_add_lshl_u32 v0, v0, 3, v6
	v_cmp_ge_i32_e64 s[14:15], v0, v1
	s_or_b64 s[12:13], s[12:13], s[14:15]
	v_cndmask_b32_e64 v3, 0, 1, s[12:13]
	v_mov_b32_e32 v2, 0
; %bb.312:                              ;   in Loop: Header=BB15_289 Depth=2
	s_or_b64 exec, exec, s[20:21]
	ds_write_b64 v0, v[2:3] offset:16
.LBB15_313:                             ;   in Loop: Header=BB15_289 Depth=2
	s_or_b64 exec, exec, s[18:19]
.LBB15_314:                             ;   in Loop: Header=BB15_289 Depth=2
	s_andn2_saveexec_b64 s[12:13], s[16:17]
	s_cbranch_execz .LBB15_316
; %bb.315:                              ;   in Loop: Header=BB15_289 Depth=2
	ds_write2_b32 v0, v34, v16 offset0:2 offset1:5
.LBB15_316:                             ;   in Loop: Header=BB15_289 Depth=2
	s_or_b64 exec, exec, s[12:13]
	v_cmp_ge_i32_e64 s[14:15], v14, v1
	v_cmp_lt_i32_e64 s[12:13], v17, v1
	s_and_b64 s[12:13], s[14:15], s[12:13]
	s_and_b64 s[16:17], vcc, s[12:13]
	s_and_saveexec_b64 s[12:13], s[16:17]
	s_cbranch_execz .LBB15_318
; %bb.317:                              ;   in Loop: Header=BB15_289 Depth=2
	s_andn2_b64 s[14:15], s[14:15], exec
	ds_write2_b32 v0, v34, v34 offset0:1 offset1:3
	ds_write_b32 v0, v16 offset:24
.LBB15_318:                             ;   in Loop: Header=BB15_289 Depth=2
	s_or_b64 exec, exec, s[12:13]
	s_andn2_b64 s[12:13], s[42:43], exec
	s_and_b64 s[14:15], s[14:15], exec
	s_or_b64 s[42:43], s[12:13], s[14:15]
.LBB15_319:                             ;   in Loop: Header=BB15_289 Depth=2
	s_or_b64 exec, exec, s[44:45]
	s_and_b64 s[12:13], s[42:43], exec
                                        ; implicit-def: $vgpr13
.LBB15_320:                             ;   in Loop: Header=BB15_289 Depth=2
	s_andn2_saveexec_b64 s[14:15], s[40:41]
	s_cbranch_execz .LBB15_326
; %bb.321:                              ;   in Loop: Header=BB15_289 Depth=2
	v_cmp_eq_u32_e32 vcc, 0, v10
	s_mov_b64 s[18:19], 0
	s_and_saveexec_b64 s[16:17], vcc
	s_cbranch_execz .LBB15_325
; %bb.322:                              ;   in Loop: Header=BB15_289 Depth=2
	scratch_load_dword v8, off, s32 offset:68
	scratch_load_dword v6, off, s32 offset:60
	scratch_load_dwordx2 v[0:1], off, s32 offset:32
	scratch_load_dword v9, off, s32 offset:44
	scratch_load_dwordx2 v[2:3], off, s32 offset:16
	v_sub_u32_e32 v7, 0, v11
	v_max_i32_e32 v15, v11, v7
	v_mov_b32_e32 v17, v34
	v_ashrrev_i32_e32 v14, 31, v11
	s_waitcnt vmcnt(2)
	ds_write2_b32 v0, v34, v16 offset0:3 offset1:4
	ds_write_b64 v0, v[16:17]
	v_mad_u64_u32 v[6:7], s[18:19], v8, v11, v[6:7]
	v_sub_u32_e32 v7, 0, v1
	s_waitcnt vmcnt(1)
	v_sub_u32_e32 v18, 0, v9
	v_max_i32_e32 v7, v1, v7
	v_add_u32_e32 v19, -1, v9
	v_max_i32_e32 v9, v9, v18
	v_cvt_f32_u32_e32 v18, v7
	v_cvt_f32_u32_e32 v21, v9
	v_add_u32_e32 v0, v0, v6
	v_sub_u32_e32 v23, 0, v0
	v_rcp_iflag_f32_e32 v18, v18
	v_rcp_iflag_f32_e32 v21, v21
	v_sub_u32_e32 v24, 0, v7
	v_ashrrev_i32_e32 v22, 31, v0
	v_mul_f32_e32 v18, 0x4f7ffffe, v18
	v_mul_f32_e32 v21, 0x4f7ffffe, v21
	v_cvt_u32_f32_e32 v18, v18
	v_cvt_u32_f32_e32 v21, v21
	v_sub_u32_e32 v25, 0, v9
	v_max_i32_e32 v0, v0, v23
	v_mul_lo_u32 v23, v24, v18
	v_mul_lo_u32 v24, v25, v21
	v_mul_hi_u32 v23, v18, v23
	v_mul_hi_u32 v24, v21, v24
	v_add_u32_e32 v18, v18, v23
	v_add_u32_e32 v21, v21, v24
	v_mul_hi_u32 v18, v0, v18
	v_mul_hi_u32 v21, v15, v21
	v_mul_lo_u32 v18, v18, v7
	v_mul_lo_u32 v21, v21, v9
	v_sub_u32_e32 v0, v0, v18
	v_sub_u32_e32 v15, v15, v21
	;; [unrolled: 1-line block ×3, first 2 shown]
	v_cmp_ge_u32_e32 vcc, v0, v7
	v_sub_u32_e32 v21, v15, v9
	v_mov_b32_e32 v17, v16
	v_cndmask_b32_e32 v0, v0, v18, vcc
	v_cmp_ge_u32_e32 vcc, v15, v9
	v_sub_u32_e32 v18, v0, v7
	s_nop 0
	v_cndmask_b32_e32 v15, v15, v21, vcc
	v_cmp_ge_u32_e32 vcc, v0, v7
	v_sub_u32_e32 v21, v15, v9
	s_nop 0
	v_cndmask_b32_e32 v0, v0, v18, vcc
	v_cmp_ge_u32_e32 vcc, v15, v9
	v_xor_b32_e32 v0, v0, v22
	v_sub_u32_e32 v0, v0, v22
	v_cndmask_b32_e32 v7, v15, v21, vcc
	v_xor_b32_e32 v7, v7, v14
	v_ashrrev_i32_e32 v9, 31, v0
	v_sub_u32_e32 v7, v7, v14
	s_waitcnt vmcnt(0)
	v_mul_lo_u32 v3, v3, v0
	v_mad_u64_u32 v[14:15], s[18:19], v2, v0, v[4:5]
	v_mul_lo_u32 v2, v2, v9
	v_mul_lo_u32 v0, v7, v13
	v_add3_u32 v15, v3, v15, v2
	v_cmp_ne_u32_e32 vcc, v7, v19
	ds_write_b32 v0, v0 offset:8
	ds_write2_b64 v0, v[16:17], v[14:15] offset0:5 offset1:6
	v_mov_b32_e32 v0, 1
	s_and_saveexec_b64 s[18:19], vcc
; %bb.323:                              ;   in Loop: Header=BB15_289 Depth=2
	v_add_u32_e32 v0, v6, v8
	v_cmp_ge_i32_e32 vcc, v0, v1
	s_nop 1
	v_cndmask_b32_e64 v0, 0, 1, vcc
; %bb.324:                              ;   in Loop: Header=BB15_289 Depth=2
	s_or_b64 exec, exec, s[18:19]
	v_cmp_ge_i32_e32 vcc, v6, v1
	s_and_b64 s[18:19], vcc, exec
	ds_write2_b32 v0, v0, v16 offset0:5 offset1:6
.LBB15_325:                             ;   in Loop: Header=BB15_289 Depth=2
	s_or_b64 exec, exec, s[16:17]
	s_andn2_b64 s[12:13], s[12:13], exec
	s_and_b64 s[16:17], s[18:19], exec
	s_or_b64 s[12:13], s[12:13], s[16:17]
.LBB15_326:                             ;   in Loop: Header=BB15_289 Depth=2
	s_or_b64 exec, exec, s[14:15]
	s_orn2_b64 s[14:15], s[12:13], exec
.LBB15_327:                             ;   in Loop: Header=BB15_289 Depth=2
	s_or_b64 exec, exec, s[24:25]
	scratch_load_dword v0, off, s32 offset:52
	v_add_u32_e32 v1, 1, v11
	scratch_store_dword off, v1, s32 offset:64
                                        ; implicit-def: $sgpr18_sgpr19
	s_waitcnt vmcnt(1)
	v_max_i32_e32 v2, v12, v0
	v_cmp_le_i32_e32 vcc, v2, v1
	s_and_saveexec_b64 s[12:13], vcc
	s_xor_b64 s[16:17], exec, s[12:13]
	s_cbranch_execz .LBB15_384
; %bb.328:                              ;   in Loop: Header=BB15_289 Depth=2
	v_cmp_lt_i32_e32 vcc, 1, v10
                                        ; implicit-def: $vgpr2
	s_and_saveexec_b64 s[12:13], vcc
	s_xor_b64 s[12:13], exec, s[12:13]
	s_cbranch_execz .LBB15_332
; %bb.329:                              ;   in Loop: Header=BB15_289 Depth=2
	v_cmp_eq_u32_e32 vcc, 2, v10
	v_mov_b32_e32 v2, 1
	s_and_saveexec_b64 s[18:19], vcc
	s_cbranch_execz .LBB15_331
; %bb.330:                              ;   in Loop: Header=BB15_289 Depth=2
	scratch_load_dword v0, off, s32 offset:72
	s_waitcnt vmcnt(0)
	v_lshrrev_b32_e32 v1, 31, v0
	v_add_u32_e32 v2, 1, v0
	v_add_u32_e32 v0, v0, v1
	v_cmp_gt_u32_e32 vcc, 3, v2
	v_ashrrev_i32_e32 v0, 1, v0
	scratch_store_dword off, v0, s32 offset:72
	v_cndmask_b32_e64 v2, 2, 1, vcc
.LBB15_331:                             ;   in Loop: Header=BB15_289 Depth=2
	s_or_b64 exec, exec, s[18:19]
.LBB15_332:                             ;   in Loop: Header=BB15_289 Depth=2
	s_andn2_saveexec_b64 s[12:13], s[12:13]
	s_cbranch_execz .LBB15_336
; %bb.333:                              ;   in Loop: Header=BB15_289 Depth=2
	v_cmp_eq_u32_e32 vcc, 1, v10
	v_mov_b32_e32 v2, 1
	s_and_saveexec_b64 s[18:19], vcc
	s_cbranch_execz .LBB15_335
; %bb.334:                              ;   in Loop: Header=BB15_289 Depth=2
	scratch_load_dword v0, off, s32 offset:60
	s_waitcnt vmcnt(0)
	v_and_b32_e32 v0, 0x80000001, v0
	v_cmp_ne_u32_e32 vcc, 1, v0
	s_nop 1
	v_cndmask_b32_e64 v2, 0, 1, vcc
.LBB15_335:                             ;   in Loop: Header=BB15_289 Depth=2
	s_or_b64 exec, exec, s[18:19]
.LBB15_336:                             ;   in Loop: Header=BB15_289 Depth=2
	s_or_b64 exec, exec, s[12:13]
	v_cmp_eq_u32_e32 vcc, 0, v10
	v_cmp_ne_u32_e64 s[20:21], 0, v10
	s_mov_b64 s[12:13], -1
	scratch_store_dword off, v2, s32 offset:76
	s_and_saveexec_b64 s[18:19], s[20:21]
	s_cbranch_execz .LBB15_346
; %bb.337:                              ;   in Loop: Header=BB15_289 Depth=2
	v_cmp_eq_u32_e64 s[12:13], 1, v10
	s_mov_b64 s[40:41], 0
	s_and_saveexec_b64 s[24:25], s[12:13]
	s_cbranch_execz .LBB15_339
; %bb.338:                              ;   in Loop: Header=BB15_289 Depth=2
	scratch_load_dword v0, off, s32 offset:60
	s_waitcnt vmcnt(0)
	v_and_b32_e32 v0, 1, v0
	v_cmp_eq_u32_e64 s[12:13], 0, v0
	s_and_b64 s[40:41], s[12:13], exec
.LBB15_339:                             ;   in Loop: Header=BB15_289 Depth=2
	s_or_b64 exec, exec, s[24:25]
	s_orn2_b64 s[12:13], s[40:41], exec
	s_or_b64 exec, exec, s[18:19]
	s_and_saveexec_b64 s[18:19], s[12:13]
	s_cbranch_execnz .LBB15_347
.LBB15_340:                             ;   in Loop: Header=BB15_289 Depth=2
	s_or_b64 exec, exec, s[18:19]
	s_mov_b64 s[12:13], 0
	s_and_saveexec_b64 s[18:19], vcc
	s_cbranch_execz .LBB15_342
.LBB15_341:                             ;   in Loop: Header=BB15_289 Depth=2
	scratch_load_dword v0, off, s32 offset:68
	scratch_load_dword v1, off, s32 offset:60
	s_andn2_b64 s[20:21], s[20:21], exec
	s_mov_b64 s[12:13], exec
	s_waitcnt vmcnt(1)
	v_lshrrev_b32_e32 v3, 31, v0
	v_add_u32_e32 v0, v0, v3
	v_ashrrev_i32_e32 v0, 1, v0
	s_waitcnt vmcnt(0)
	v_cmp_ne_u32_e32 vcc, v1, v0
	s_and_b64 s[24:25], vcc, exec
	s_or_b64 s[20:21], s[20:21], s[24:25]
.LBB15_342:                             ;   in Loop: Header=BB15_289 Depth=2
	s_or_b64 exec, exec, s[18:19]
                                        ; implicit-def: $sgpr18_sgpr19
	s_and_saveexec_b64 s[24:25], s[20:21]
	s_xor_b64 s[20:21], exec, s[24:25]
	s_cbranch_execz .LBB15_356
; %bb.343:                              ;   in Loop: Header=BB15_289 Depth=2
	scratch_load_dword v0, off, s32 offset:56
	v_cmp_lt_u32_e32 vcc, 1, v2
	scratch_store_dword off, v16, s32 offset:64
	s_waitcnt vmcnt(1)
	scratch_store_dword off, v0, s32 offset:48
	s_and_saveexec_b64 s[18:19], vcc
	s_cbranch_execz .LBB15_345
; %bb.344:                              ;   in Loop: Header=BB15_289 Depth=2
	scratch_load_dword v1, off, s32 offset:72
	v_sub_u32_e32 v6, 0, v0
	v_max_i32_e32 v6, v0, v6
	s_waitcnt vmcnt(0)
	v_lshlrev_b32_e32 v1, 1, v1
	v_sub_u32_e32 v2, 0, v1
	v_max_i32_e32 v2, v1, v2
	v_cvt_f32_u32_e32 v3, v2
	v_xor_b32_e32 v0, v0, v1
	v_sub_u32_e32 v1, 0, v2
	v_ashrrev_i32_e32 v0, 31, v0
	v_rcp_iflag_f32_e32 v3, v3
	s_nop 0
	v_mul_f32_e32 v3, 0x4f7ffffe, v3
	v_cvt_u32_f32_e32 v3, v3
	v_mul_lo_u32 v1, v1, v3
	v_mul_hi_u32 v1, v3, v1
	v_add_u32_e32 v1, v3, v1
	v_mul_hi_u32 v1, v6, v1
	v_mul_lo_u32 v3, v1, v2
	v_sub_u32_e32 v3, v6, v3
	v_add_u32_e32 v7, 1, v1
	v_cmp_ge_u32_e32 vcc, v3, v2
	v_sub_u32_e32 v6, v3, v2
	s_nop 0
	v_cndmask_b32_e32 v1, v1, v7, vcc
	v_cndmask_b32_e32 v3, v3, v6, vcc
	v_add_u32_e32 v6, 1, v1
	v_cmp_ge_u32_e32 vcc, v3, v2
	s_nop 1
	v_cndmask_b32_e32 v1, v1, v6, vcc
	v_xor_b32_e32 v1, v1, v0
	v_sub_u32_e32 v0, v1, v0
	scratch_store_dword off, v0, s32 offset:48
.LBB15_345:                             ;   in Loop: Header=BB15_289 Depth=2
	s_or_b64 exec, exec, s[18:19]
	s_mov_b64 s[18:19], 0
	s_andn2_b64 s[12:13], s[12:13], exec
	s_or_b64 exec, exec, s[20:21]
	s_and_saveexec_b64 s[20:21], s[12:13]
	s_cbranch_execz .LBB15_383
	s_branch .LBB15_357
.LBB15_346:                             ;   in Loop: Header=BB15_289 Depth=2
	s_or_b64 exec, exec, s[18:19]
	s_and_saveexec_b64 s[18:19], s[12:13]
	s_cbranch_execz .LBB15_340
.LBB15_347:                             ;   in Loop: Header=BB15_289 Depth=2
	scratch_load_dwordx2 v[0:1], off, s32 offset:80
	s_waitcnt vmcnt(0)
	v_cmp_lt_i32_e64 s[12:13], 0, v0
	s_and_saveexec_b64 s[24:25], s[12:13]
	s_cbranch_execz .LBB15_377
; %bb.348:                              ;   in Loop: Header=BB15_289 Depth=2
	s_mov_b32 s48, 0
	s_mov_b64 s[40:41], 0
	s_mov_b32 s49, s66
	s_branch .LBB15_352
.LBB15_349:                             ;   in Loop: Header=BB15_352 Depth=3
	s_or_b64 exec, exec, s[46:47]
	v_add_u32_e32 v1, 1, v6
	scratch_store_dword off, v1, s49
.LBB15_350:                             ;   in Loop: Header=BB15_352 Depth=3
	s_or_b64 exec, exec, s[44:45]
	v_mov_b32_e32 v1, v3
.LBB15_351:                             ;   in Loop: Header=BB15_352 Depth=3
	s_or_b64 exec, exec, s[42:43]
	s_add_i32 s48, s48, 1
	s_add_i32 s49, s49, 4
	v_cmp_eq_u32_e64 s[12:13], s48, v0
	s_or_b64 s[40:41], s[12:13], s[40:41]
	s_andn2_b64 exec, exec, s[40:41]
	s_cbranch_execz .LBB15_376
.LBB15_352:                             ;   Parent Loop BB15_4 Depth=1
                                        ;     Parent Loop BB15_289 Depth=2
                                        ; =>    This Inner Loop Header: Depth=3
	s_add_i32 s50, s49, 0xffffff80
	scratch_load_dword v3, off, s50
	s_waitcnt vmcnt(0)
	v_add_u32_e32 v3, -1, v3
	v_cmp_eq_u32_e64 s[12:13], 0, v3
	scratch_store_dword off, v3, s50
	s_and_saveexec_b64 s[42:43], s[12:13]
	s_cbranch_execz .LBB15_351
; %bb.353:                              ;   in Loop: Header=BB15_352 Depth=3
	s_lshl_b32 s51, 1, s48
	v_xor_b32_e32 v3, s51, v1
	v_mov_b32_e32 v6, s51
	scratch_store_dword off, v3, s32 offset:84
	scratch_store_dword off, v6, s50
	v_and_b32_e32 v6, s51, v1
	v_cmp_ne_u32_e64 s[12:13], 0, v6
	s_and_saveexec_b64 s[44:45], s[12:13]
	s_cbranch_execz .LBB15_350
; %bb.354:                              ;   in Loop: Header=BB15_352 Depth=3
	scratch_load_dword v6, off, s49
	s_waitcnt vmcnt(0)
	v_ffbl_b32_e32 v7, v6
	v_cmp_eq_u32_e64 s[12:13], 0, v6
	s_nop 1
	v_cndmask_b32_e64 v7, v7, v0, s[12:13]
	v_add3_u32 v7, s51, -1, v7
	v_cmp_eq_u32_e64 s[12:13], 0, v7
	scratch_store_dword off, v7, s50
	s_and_saveexec_b64 s[46:47], s[12:13]
	s_cbranch_execz .LBB15_349
; %bb.355:                              ;   in Loop: Header=BB15_352 Depth=3
	v_mov_b32_e32 v3, s51
	scratch_store_dword off, v1, s32 offset:84
	scratch_store_dword off, v3, s50
	v_mov_b32_e32 v3, v1
	s_branch .LBB15_349
.LBB15_356:                             ;   in Loop: Header=BB15_289 Depth=2
	s_or_b64 exec, exec, s[20:21]
	s_and_saveexec_b64 s[20:21], s[12:13]
	s_cbranch_execz .LBB15_383
.LBB15_357:                             ;   in Loop: Header=BB15_289 Depth=2
	scratch_load_dword v0, off, s32 offset:24
	scratch_load_dwordx2 v[6:7], off, s32 offset:8
                                        ; implicit-def: $sgpr24_sgpr25
	s_waitcnt vmcnt(1)
	v_ashrrev_i32_e32 v1, 31, v0
	v_lshl_add_u64 v[4:5], v[4:5], 0, v[0:1]
	s_waitcnt vmcnt(0)
	v_cmp_le_u64_e32 vcc, v[6:7], v[4:5]
	scratch_store_dwordx2 off, v[4:5], s32
	s_and_saveexec_b64 s[12:13], vcc
	s_xor_b64 s[12:13], exec, s[12:13]
	s_cbranch_execz .LBB15_359
; %bb.358:                              ;   in Loop: Header=BB15_289 Depth=2
	v_accvgpr_read_b32 v1, a28              ;  Reload Reuse
	v_accvgpr_read_b32 v0, a29              ;  Reload Reuse
	s_mov_b64 s[24:25], -1
	ds_write_b32 v0, v0 offset:32
                                        ; implicit-def: $vgpr6_vgpr7
                                        ; implicit-def: $vgpr4_vgpr5
                                        ; implicit-def: $vgpr0_vgpr1
.LBB15_359:                             ;   in Loop: Header=BB15_289 Depth=2
	s_andn2_saveexec_b64 s[40:41], s[12:13]
	s_cbranch_execz .LBB15_382
; %bb.360:                              ;   in Loop: Header=BB15_289 Depth=2
	scratch_load_dword v3, off, s32 offset:56
	scratch_load_dword v2, off, s32 offset:80
	v_sub_co_u32_e32 v4, vcc, v6, v4
	scratch_store_dword off, v16, s32 offset:84
	s_nop 0
	v_subb_co_u32_e32 v5, vcc, v7, v5, vcc
	v_cmp_lt_i64_e32 vcc, v[0:1], v[4:5]
	s_waitcnt vmcnt(2)
	v_add_u32_e32 v1, -2, v3
	v_cndmask_b32_e32 v0, v4, v0, vcc
	scratch_store_dword off, v0, s32 offset:28
	v_lshrrev_b32_e32 v0, 31, v3
	v_add_u32_e32 v0, v3, v0
	v_cmp_gt_u32_e32 vcc, -3, v1
	s_waitcnt vmcnt(2)
	v_cmp_lt_i32_e64 s[12:13], 0, v2
	v_ashrrev_i32_e32 v0, 1, v0
	v_cndmask_b32_e64 v1, 1, 2, vcc
	v_mov_b32_e32 v4, 0
	scratch_store_dwordx2 off, v[0:1], s32 offset:72
	s_and_saveexec_b64 s[42:43], s[12:13]
	s_cbranch_execz .LBB15_379
; %bb.361:                              ;   in Loop: Header=BB15_289 Depth=2
	v_cmp_ne_u32_e64 s[12:13], 1, v2
	s_mov_b64 s[46:47], -1
	v_mov_b32_e32 v4, 0
	s_and_saveexec_b64 s[44:45], s[12:13]
	s_cbranch_execz .LBB15_365
; %bb.362:                              ;   in Loop: Header=BB15_289 Depth=2
	v_and_b32_e32 v4, 0x7ffffffe, v2
	v_mov_b32_e32 v1, v2
	s_mov_b32 s48, 1
	s_mov_b32 s49, 0
	s_mov_b64 s[46:47], 0
	v_mov_b32_e32 v5, v4
	s_mov_b32 s50, s66
.LBB15_363:                             ;   Parent Loop BB15_4 Depth=1
                                        ;     Parent Loop BB15_289 Depth=2
                                        ; =>    This Inner Loop Header: Depth=3
	v_mov_b32_e32 v21, v20
	v_add_u32_e32 v5, -2, v5
	v_subrev_u32_e32 v7, s48, v1
	v_subrev_u32_e32 v6, s49, v2
	s_add_i32 s51, s50, 0xffffff80
	s_add_i32 s49, s49, 2
	;; [unrolled: 1-line block ×3, first 2 shown]
	scratch_store_dwordx2 off, v[20:21], s50
	s_add_i32 s50, s50, 8
	v_cmp_eq_u32_e64 s[12:13], 0, v5
	s_or_b64 s[46:47], s[12:13], s[46:47]
	scratch_store_dwordx2 off, v[6:7], s51
	s_andn2_b64 exec, exec, s[46:47]
	s_cbranch_execnz .LBB15_363
; %bb.364:                              ;   in Loop: Header=BB15_289 Depth=2
	s_or_b64 exec, exec, s[46:47]
	v_cmp_ne_u32_e64 s[12:13], v2, v4
	s_orn2_b64 s[46:47], s[12:13], exec
.LBB15_365:                             ;   in Loop: Header=BB15_289 Depth=2
	s_or_b64 exec, exec, s[44:45]
	s_and_saveexec_b64 s[44:45], s[46:47]
	s_cbranch_execz .LBB15_368
; %bb.366:                              ;   in Loop: Header=BB15_289 Depth=2
	v_lshl_add_u32 v1, v4, 2, s66
	v_sub_u32_e32 v4, v2, v4
	s_mov_b64 s[46:47], 0
.LBB15_367:                             ;   Parent Loop BB15_4 Depth=1
                                        ;     Parent Loop BB15_289 Depth=2
                                        ; =>    This Inner Loop Header: Depth=3
	v_add_u32_e32 v5, 0xffffff80, v1
	scratch_store_dword v1, v20, off
	scratch_store_dword v5, v4, off
	v_add_u32_e32 v4, -1, v4
	v_cmp_eq_u32_e64 s[12:13], 0, v4
	s_or_b64 s[46:47], s[12:13], s[46:47]
	v_add_u32_e32 v1, 4, v1
	s_andn2_b64 exec, exec, s[46:47]
	s_cbranch_execnz .LBB15_367
.LBB15_368:                             ;   in Loop: Header=BB15_289 Depth=2
	s_or_b64 exec, exec, s[44:45]
	s_mov_b32 s53, 0
	s_mov_b64 s[44:45], 0
	v_mov_b32_e32 v4, 0
	s_mov_b32 s54, s66
	s_branch .LBB15_372
.LBB15_369:                             ;   in Loop: Header=BB15_372 Depth=3
	s_or_b64 exec, exec, s[50:51]
	v_add_u32_e32 v4, 1, v5
	scratch_store_dword off, v4, s54
.LBB15_370:                             ;   in Loop: Header=BB15_372 Depth=3
	s_or_b64 exec, exec, s[48:49]
	v_mov_b32_e32 v4, v1
.LBB15_371:                             ;   in Loop: Header=BB15_372 Depth=3
	s_or_b64 exec, exec, s[46:47]
	s_add_i32 s53, s53, 1
	s_add_i32 s54, s54, 4
	v_cmp_eq_u32_e64 s[12:13], s53, v2
	s_or_b64 s[44:45], s[12:13], s[44:45]
	s_andn2_b64 exec, exec, s[44:45]
	s_cbranch_execz .LBB15_378
.LBB15_372:                             ;   Parent Loop BB15_4 Depth=1
                                        ;     Parent Loop BB15_289 Depth=2
                                        ; =>    This Inner Loop Header: Depth=3
	s_add_i32 s55, s54, 0xffffff80
	scratch_load_dword v1, off, s55
	s_waitcnt vmcnt(0)
	v_add_u32_e32 v1, -1, v1
	v_cmp_eq_u32_e64 s[12:13], 0, v1
	scratch_store_dword off, v1, s55
	s_and_saveexec_b64 s[46:47], s[12:13]
	s_cbranch_execz .LBB15_371
; %bb.373:                              ;   in Loop: Header=BB15_372 Depth=3
	s_lshl_b32 s56, 1, s53
	v_xor_b32_e32 v1, s56, v4
	v_mov_b32_e32 v5, s56
	scratch_store_dword off, v1, s32 offset:84
	scratch_store_dword off, v5, s55
	v_and_b32_e32 v5, s56, v4
	v_cmp_ne_u32_e64 s[12:13], 0, v5
	s_and_saveexec_b64 s[48:49], s[12:13]
	s_cbranch_execz .LBB15_370
; %bb.374:                              ;   in Loop: Header=BB15_372 Depth=3
	scratch_load_dword v5, off, s54
	s_waitcnt vmcnt(0)
	v_ffbl_b32_e32 v6, v5
	v_cmp_eq_u32_e64 s[12:13], 0, v5
	s_nop 1
	v_cndmask_b32_e64 v6, v6, v2, s[12:13]
	v_add3_u32 v6, s56, -1, v6
	v_cmp_eq_u32_e64 s[12:13], 0, v6
	scratch_store_dword off, v6, s55
	s_and_saveexec_b64 s[50:51], s[12:13]
	s_cbranch_execz .LBB15_369
; %bb.375:                              ;   in Loop: Header=BB15_372 Depth=3
	v_mov_b32_e32 v1, s56
	scratch_store_dword off, v4, s32 offset:84
	scratch_store_dword off, v1, s55
	v_mov_b32_e32 v1, v4
	s_branch .LBB15_369
.LBB15_376:                             ;   in Loop: Header=BB15_289 Depth=2
	s_or_b64 exec, exec, s[40:41]
.LBB15_377:                             ;   in Loop: Header=BB15_289 Depth=2
	s_or_b64 exec, exec, s[24:25]
	scratch_store_dword off, v1, s32 offset:60
	s_or_b64 exec, exec, s[18:19]
	s_mov_b64 s[12:13], 0
	s_and_saveexec_b64 s[18:19], vcc
	s_cbranch_execz .LBB15_342
	s_branch .LBB15_341
.LBB15_378:                             ;   in Loop: Header=BB15_289 Depth=2
	s_or_b64 exec, exec, s[44:45]
.LBB15_379:                             ;   in Loop: Header=BB15_289 Depth=2
	s_or_b64 exec, exec, s[42:43]
	v_mov_b32_e32 v5, v16
	scratch_store_dwordx2 off, v[4:5], s32 offset:60
	s_and_saveexec_b64 s[12:13], vcc
	s_cbranch_execz .LBB15_381
; %bb.380:                              ;   in Loop: Header=BB15_289 Depth=2
	v_ashrrev_i32_e32 v1, 31, v0
	v_lshl_add_u32 v0, v0, 1, v1
	v_xor_b32_e32 v0, v0, v1
	v_cvt_f32_u32_e32 v2, v0
	v_ashrrev_i32_e32 v4, 31, v3
	v_xor_b32_e32 v1, v4, v1
	v_sub_u32_e32 v4, 0, v0
	v_rcp_iflag_f32_e32 v2, v2
	v_sub_u32_e32 v5, 0, v3
	v_max_i32_e32 v3, v3, v5
	v_mul_f32_e32 v2, 0x4f7ffffe, v2
	v_cvt_u32_f32_e32 v2, v2
	v_mul_lo_u32 v4, v4, v2
	v_mul_hi_u32 v4, v2, v4
	v_add_u32_e32 v2, v2, v4
	v_mul_hi_u32 v2, v3, v2
	v_mul_lo_u32 v4, v2, v0
	v_sub_u32_e32 v3, v3, v4
	v_add_u32_e32 v5, 1, v2
	v_cmp_ge_u32_e32 vcc, v3, v0
	v_sub_u32_e32 v4, v3, v0
	s_nop 0
	v_cndmask_b32_e32 v2, v2, v5, vcc
	v_cndmask_b32_e32 v3, v3, v4, vcc
	v_add_u32_e32 v4, 1, v2
	v_cmp_ge_u32_e32 vcc, v3, v0
	s_nop 1
	v_cndmask_b32_e32 v0, v2, v4, vcc
	v_xor_b32_e32 v0, v0, v1
	v_sub_u32_e32 v3, v0, v1
.LBB15_381:                             ;   in Loop: Header=BB15_289 Depth=2
	s_or_b64 exec, exec, s[12:13]
	s_andn2_b64 s[24:25], s[24:25], exec
	scratch_store_dword off, v3, s32 offset:48
.LBB15_382:                             ;   in Loop: Header=BB15_289 Depth=2
	s_or_b64 exec, exec, s[40:41]
	s_andn2_b64 s[12:13], s[18:19], exec
	s_and_b64 s[18:19], s[24:25], exec
	s_or_b64 s[18:19], s[12:13], s[18:19]
.LBB15_383:                             ;   in Loop: Header=BB15_289 Depth=2
	s_or_b64 exec, exec, s[20:21]
	s_and_b64 s[18:19], s[18:19], exec
                                        ; implicit-def: $vgpr10
                                        ; implicit-def: $vgpr4_vgpr5
                                        ; implicit-def: $vgpr12
                                        ; implicit-def: $vgpr0
                                        ; implicit-def: $vgpr11
.LBB15_384:                             ;   in Loop: Header=BB15_289 Depth=2
	s_andn2_saveexec_b64 s[16:17], s[16:17]
	s_cbranch_execz .LBB15_288
; %bb.385:                              ;   in Loop: Header=BB15_289 Depth=2
	scratch_load_dword v1, off, s32 offset:60
	v_cmp_eq_u32_e32 vcc, 0, v10
	s_waitcnt vmcnt(0)
	v_cmp_eq_u32_e64 s[12:13], 1, v1
	s_and_b64 s[20:21], vcc, s[12:13]
	s_and_saveexec_b64 s[12:13], s[20:21]
	s_cbranch_execz .LBB15_287
; %bb.386:                              ;   in Loop: Header=BB15_289 Depth=2
	scratch_load_dword v2, off, s32 offset:24
	scratch_load_dwordx2 v[6:7], off, s32 offset:8
	s_waitcnt vmcnt(1)
	v_ashrrev_i32_e32 v3, 31, v2
	v_lshl_add_u64 v[2:3], v[4:5], 0, v[2:3]
	s_waitcnt vmcnt(0)
	v_cmp_ge_u64_e32 vcc, v[2:3], v[6:7]
	s_and_b64 exec, exec, vcc
	s_cbranch_execz .LBB15_287
; %bb.387:                              ;   in Loop: Header=BB15_289 Depth=2
	v_sub_u32_e32 v1, 0, v0
	v_max_i32_e32 v0, v0, v1
	v_cvt_f32_u32_e32 v1, v0
	v_sub_u32_e32 v5, 0, v0
	v_add_u32_e32 v2, -1, v12
	v_sub_u32_e32 v3, 1, v12
	v_rcp_iflag_f32_e32 v1, v1
	v_max_i32_e32 v3, v2, v3
	v_ashrrev_i32_e32 v4, 31, v2
	v_mul_f32_e32 v1, 0x4f7ffffe, v1
	v_cvt_u32_f32_e32 v1, v1
	v_mul_lo_u32 v5, v5, v1
	v_mul_hi_u32 v5, v1, v5
	v_add_u32_e32 v1, v1, v5
	v_mul_hi_u32 v1, v3, v1
	v_mul_lo_u32 v1, v1, v0
	v_sub_u32_e32 v1, v3, v1
	v_sub_u32_e32 v3, v1, v0
	v_cmp_ge_u32_e32 vcc, v1, v0
	s_nop 1
	v_cndmask_b32_e32 v1, v1, v3, vcc
	v_sub_u32_e32 v3, v1, v0
	v_cmp_ge_u32_e32 vcc, v1, v0
	s_nop 1
	v_cndmask_b32_e32 v0, v1, v3, vcc
	v_xor_b32_e32 v0, v0, v4
	v_sub_u32_e32 v0, v4, v0
	v_add_u32_e32 v0, v2, v0
	v_cmp_ge_i32_e32 vcc, v11, v0
	s_and_b64 exec, exec, vcc
	s_cbranch_execz .LBB15_287
; %bb.388:                              ;   in Loop: Header=BB15_289 Depth=2
	ds_write_b32 v0, v20 offset:32
	s_branch .LBB15_287
.LBB15_389:
	v_readlane_b32 s30, v63, 37
	v_readlane_b32 s31, v63, 38
	;; [unrolled: 1-line block ×39, first 2 shown]
	v_accvgpr_read_b32 v62, a27             ;  Reload Reuse
	v_accvgpr_read_b32 v61, a26             ;  Reload Reuse
	;; [unrolled: 1-line block ×14, first 2 shown]
	v_accvgpr_read_b32 v40, a9              ;  Reload Reuse
	s_or_saveexec_b64 s[0:1], -1
	scratch_load_dword v63, off, s32 offset:344 ; 4-byte Folded Reload
	s_mov_b64 exec, s[0:1]
	s_waitcnt vmcnt(0)
	s_setpc_b64 s[30:31]
.Lfunc_end15:
	.size	_Z45ncclDevFunc_AllGather_PAT_SIMPLE_Sum_i8_0_0_2v, .Lfunc_end15-_Z45ncclDevFunc_AllGather_PAT_SIMPLE_Sum_i8_0_0_2v
                                        ; -- End function
	.section	.AMDGPU.csdata,"",@progbits
; Function info:
; codeLenInByte = 15448
; NumSgprs: 77
; NumVgprs: 64
; NumAgprs: 30
; TotalNumVgprs: 94
; ScratchSize: 352
; MemoryBound: 0
	.text
	.p2align	2                               ; -- Begin function _ZN12_GLOBAL__N_17runRingIa7FuncSumIaE7ProtoLLLi0ELi4ELi0ELb0EEEviiP15ncclDevWorkColl
	.type	_ZN12_GLOBAL__N_17runRingIa7FuncSumIaE7ProtoLLLi0ELi4ELi0ELb0EEEviiP15ncclDevWorkColl,@function
_ZN12_GLOBAL__N_17runRingIa7FuncSumIaE7ProtoLLLi0ELi4ELi0ELb0EEEviiP15ncclDevWorkColl: ; @_ZN12_GLOBAL__N_17runRingIa7FuncSumIaE7ProtoLLLi0ELi4ELi0ELb0EEEviiP15ncclDevWorkColl
; %bb.0:
	s_waitcnt vmcnt(0) expcnt(0) lgkmcnt(0)
	s_or_saveexec_b64 s[0:1], -1
	scratch_store_dword off, v63, s32 offset:88 ; 4-byte Folded Spill
	s_mov_b64 exec, s[0:1]
	scratch_store_dword off, v40, s32 offset:84 ; 4-byte Folded Spill
	scratch_store_dword off, v41, s32 offset:80 ; 4-byte Folded Spill
	;; [unrolled: 1-line block ×21, first 2 shown]
	scratch_store_dword off, a38, s32       ; 4-byte Folded Spill
	v_writelane_b32 v63, s34, 0
	v_writelane_b32 v63, s35, 1
	;; [unrolled: 1-line block ×22, first 2 shown]
	s_nop 1
	v_writelane_b32 v63, s31, 22
	s_trap 2
	flat_load_dword v9, v[2:3]
	flat_load_dwordx4 v[22:25], v[2:3] offset:72
	flat_load_dwordx2 v[4:5], v[2:3] offset:88
	v_mov_b32_e32 v16, v1
	ds_read_b32 v1, v0
	ds_read_b64 v[18:19], v0
                                        ; implicit-def: $vgpr12_vgpr13
                                        ; implicit-def: $agpr4_agpr5
	s_waitcnt lgkmcnt(0)
	v_readfirstlane_b32 s50, v1
	s_waitcnt vmcnt(0)
	v_not_b32_sdwa v8, v9 dst_sel:DWORD dst_unused:UNUSED_PAD src0_sel:BYTE_0
	v_add_u32_sdwa v6, v9, v8 dst_sel:DWORD dst_unused:UNUSED_PAD src0_sel:BYTE_1 src1_sel:DWORD
	v_ashrrev_i32_e32 v10, 31, v6
	v_mul_lo_u32 v11, v25, v6
	v_mad_u64_u32 v[6:7], s[0:1], v24, v6, 0
	v_mul_lo_u32 v10, v24, v10
	v_add3_u32 v7, v7, v10, v11
	v_cmp_ne_u32_sdwa s[0:1], v9, v1 src0_sel:BYTE_0 src1_sel:DWORD
	s_and_saveexec_b64 s[2:3], s[0:1]
	s_xor_b64 s[0:1], exec, s[2:3]
	s_cbranch_execz .LBB16_6
; %bb.1:
	v_cmp_ne_u32_sdwa s[2:3], v9, v1 src0_sel:BYTE_1 src1_sel:DWORD
                                        ; implicit-def: $vgpr12_vgpr13
                                        ; implicit-def: $agpr4_agpr5
	s_and_saveexec_b64 s[4:5], s[2:3]
	s_xor_b64 s[2:3], exec, s[4:5]
	s_cbranch_execz .LBB16_3
; %bb.2:
	flat_load_dwordx2 v[10:11], v[2:3] offset:96
	v_add_u32_e32 v1, v1, v8
	v_ashrrev_i32_e32 v8, 31, v1
	v_mul_lo_u32 v8, v24, v8
	v_mul_lo_u32 v9, v25, v1
	v_mad_u64_u32 v[12:13], s[4:5], v24, v1, v[22:23]
	v_add3_u32 v13, v9, v13, v8
	v_accvgpr_write_b32 a4, v12
	v_accvgpr_write_b32 a5, v13
	s_waitcnt vmcnt(0) lgkmcnt(0)
	v_lshrrev_b64 v[12:13], 21, v[10:11]
.LBB16_3:
	s_andn2_saveexec_b64 s[2:3], s[2:3]
	s_cbranch_execz .LBB16_5
; %bb.4:
	flat_load_dword v1, v[2:3] offset:100
	v_lshl_add_u64 v[8:9], v[6:7], 0, v[22:23]
	v_accvgpr_write_b32 a4, v8
	v_accvgpr_write_b32 a5, v9
	v_mov_b64_e32 v[24:25], v[4:5]
	s_waitcnt vmcnt(0) lgkmcnt(0)
	v_lshrrev_b32_e32 v12, 10, v1
.LBB16_5:
	s_or_b64 exec, exec, s[2:3]
.LBB16_6:
	s_andn2_saveexec_b64 s[0:1], s[0:1]
	s_cbranch_execz .LBB16_8
; %bb.7:
	flat_load_dwordx2 v[12:13], v[2:3] offset:96
	v_mov_b64_e32 v[8:9], 0
	v_accvgpr_write_b32 a4, v8
	v_accvgpr_write_b32 a5, v9
	v_mov_b64_e32 v[24:25], v[22:23]
.LBB16_8:
	s_or_b64 exec, exec, s[0:1]
	flat_load_dwordx4 v[26:29], v[2:3] offset:16
	v_lshl_add_u64 v[4:5], v[4:5], 0, v[22:23]
	v_lshl_add_u64 v[22:23], v[4:5], 0, v[6:7]
	v_cmp_ge_i32_e32 vcc, v0, v16
	s_and_saveexec_b64 s[0:1], vcc
	s_xor_b64 s[0:1], exec, s[0:1]
	s_cbranch_execz .LBB16_41
; %bb.9:
	flat_load_dword v1, v[18:19]
	s_waitcnt vmcnt(0) lgkmcnt(0)
	v_ashrrev_i32_e32 v3, 31, v1
	v_mul_lo_u32 v2, v23, v1
	v_mul_lo_u32 v3, v22, v3
	v_mad_u64_u32 v[4:5], s[2:3], v22, v1, v[26:27]
	v_add3_u32 v5, v2, v5, v3
	v_cmp_ne_u64_e32 vcc, v[28:29], v[4:5]
	s_and_saveexec_b64 s[2:3], vcc
	s_cbranch_execz .LBB16_40
; %bb.10:
	v_mad_u64_u32 v[4:5], s[4:5], v22, v1, 0
	v_sub_u32_e32 v1, v0, v16
	v_accvgpr_read_b32 v7, a5
	v_ashrrev_i32_e32 v0, 31, v1
	v_accvgpr_read_b32 v6, a4
	v_lshrrev_b32_e32 v0, 26, v0
	v_add3_u32 v5, v5, v3, v2
	v_lshl_add_u64 v[2:3], v[28:29], 0, v[6:7]
	v_lshl_add_u64 v[6:7], v[26:27], 0, v[6:7]
	v_add_u32_e32 v0, v1, v0
	v_lshl_add_u64 v[4:5], v[6:7], 0, v[4:5]
	v_and_b32_e32 v6, 0xffffffc0, v0
	v_sub_u32_e32 v18, v1, v6
	v_cmp_gt_i32_e32 vcc, 1, v18
	v_mov_b32_e32 v1, 0
	s_and_saveexec_b64 s[4:5], vcc
; %bb.11:
	v_or_b32_e32 v1, v2, v4
	v_and_b32_e32 v1, 15, v1
	v_cmp_ne_u32_e32 vcc, 0, v1
	s_nop 1
	v_cndmask_b32_e64 v1, 0, 1, vcc
; %bb.12:
	s_or_b64 exec, exec, s[4:5]
	v_ashrrev_i32_e32 v19, 6, v0
	;;#ASMSTART
	;;#ASMEND
	s_nop 0
	v_cmp_ne_u32_e32 vcc, 0, v1
	s_cbranch_vccz .LBB16_14
; %bb.13:
	s_mov_b64 s[14:15], -1
	s_mov_b64 s[6:7], 0
	v_mov_b64_e32 v[6:7], 0
	s_mov_b64 s[4:5], 0
                                        ; implicit-def: $vgpr8_vgpr9
                                        ; implicit-def: $vgpr0_vgpr1
	v_mov_b32_e32 v15, v18
	v_mov_b32_e32 v17, v19
	s_and_saveexec_b64 s[10:11], s[14:15]
	s_cbranch_execnz .LBB16_25
	s_branch .LBB16_34
.LBB16_14:
	v_ashrrev_i32_e32 v0, 31, v25
	v_lshrrev_b32_e32 v0, 19, v0
	v_mov_b32_e32 v1, 0
	v_lshl_add_u64 v[0:1], v[24:25], 0, v[0:1]
	v_ashrrev_i64 v[10:11], 13, v[0:1]
	v_ashrrev_i32_e32 v0, 31, v19
	v_sub_co_u32_e32 v14, vcc, v10, v19
	s_mov_b64 s[14:15], 0
	s_nop 0
	v_subb_co_u32_e32 v15, vcc, v11, v0, vcc
	v_cmp_gt_i64_e32 vcc, 1, v[14:15]
	s_mov_b64 s[4:5], -1
	v_mov_b64_e32 v[6:7], 0
	s_mov_b64 s[6:7], 0
                                        ; implicit-def: $vgpr8_vgpr9
                                        ; implicit-def: $vgpr0_vgpr1
                                        ; implicit-def: $vgpr15
                                        ; implicit-def: $vgpr17
	s_and_saveexec_b64 s[10:11], vcc
	s_cbranch_execz .LBB16_24
; %bb.15:
	v_lshlrev_b64 v[0:1], 13, v[10:11]
	v_cmp_ne_u64_e32 vcc, v[24:25], v[0:1]
	v_mov_b64_e32 v[6:7], 0
                                        ; implicit-def: $vgpr8_vgpr9
                                        ; implicit-def: $vgpr15
                                        ; implicit-def: $vgpr17
	s_and_saveexec_b64 s[4:5], vcc
	s_cbranch_execz .LBB16_23
; %bb.16:
	v_sub_co_u32_e32 v6, vcc, v24, v0
	v_mov_b32_e32 v9, 0
	s_nop 0
	v_subb_co_u32_e32 v7, vcc, v25, v1, vcc
	v_ashrrev_i32_e32 v8, 31, v7
	v_lshrrev_b32_e32 v8, 22, v8
	v_lshl_add_u64 v[10:11], v[6:7], 0, v[8:9]
	v_ashrrev_i64 v[16:17], 10, v[10:11]
	v_and_b32_e32 v10, 0xfffffc00, v10
	v_lshl_add_u64 v[12:13], v[10:11], 0, v[0:1]
	v_sub_co_u32_e32 v10, vcc, v6, v10
	s_nop 1
	v_subb_co_u32_e32 v11, vcc, v7, v11, vcc
	v_cmp_lt_i64_e32 vcc, 15, v[10:11]
	s_and_saveexec_b64 s[6:7], vcc
; %bb.17:
	v_and_b32_e32 v8, 15, v24
	v_sub_co_u32_e32 v10, vcc, v10, v8
	v_lshl_add_u64 v[16:17], v[16:17], 0, 1
	s_nop 0
	v_subbrev_co_u32_e32 v11, vcc, 0, v11, vcc
	v_lshl_add_u64 v[12:13], v[10:11], 0, v[12:13]
	v_mov_b64_e32 v[10:11], v[8:9]
; %bb.18:
	s_or_b64 exec, exec, s[6:7]
	v_lshlrev_b32_e32 v8, 6, v14
	v_sub_u32_e32 v8, v18, v8
	v_ashrrev_i32_e32 v9, 31, v8
	v_lshrrev_b32_e32 v9, 26, v9
	v_add_u32_e32 v9, v8, v9
	v_ashrrev_i32_e32 v14, 6, v9
	v_and_b32_e32 v9, 0xffffffc0, v9
	v_sub_u32_e32 v20, v8, v9
	v_lshlrev_b32_e32 v8, 4, v20
	v_lshl_add_u32 v8, v14, 10, v8
	v_ashrrev_i32_e32 v9, 31, v8
	v_sub_co_u32_e32 v6, vcc, v6, v8
	s_mov_b64 s[16:17], -1
	s_nop 0
	v_subb_co_u32_e32 v7, vcc, v7, v9, vcc
	v_cmp_gt_i64_e32 vcc, 16, v[6:7]
	v_mov_b64_e32 v[6:7], 0
                                        ; implicit-def: $vgpr24_vgpr25
                                        ; implicit-def: $vgpr15
                                        ; implicit-def: $vgpr17
	s_and_saveexec_b64 s[6:7], vcc
	s_cbranch_execz .LBB16_22
; %bb.19:
	v_cmp_ne_u64_e32 vcc, 0, v[10:11]
	v_mov_b64_e32 v[6:7], 0
                                        ; implicit-def: $vgpr15
                                        ; implicit-def: $vgpr17
	s_and_saveexec_b64 s[16:17], vcc
; %bb.20:
	v_sub_u32_e32 v6, v14, v16
	v_lshl_add_u32 v6, v6, 6, v20
	v_ashrrev_i32_e32 v7, 31, v6
	v_lshrrev_b32_e32 v7, 26, v7
	v_add_u32_e32 v7, v6, v7
	v_and_b32_e32 v14, 0xffffffc0, v7
	s_mov_b64 s[14:15], exec
	v_sub_u32_e32 v15, v6, v14
	v_ashrrev_i32_e32 v17, 6, v7
	v_mov_b64_e32 v[6:7], v[12:13]
; %bb.21:
	s_or_b64 exec, exec, s[16:17]
	s_xor_b64 s[16:17], exec, -1
	s_and_b64 s[14:15], s[14:15], exec
	v_mov_b64_e32 v[24:25], v[10:11]
.LBB16_22:
	s_or_b64 exec, exec, s[6:7]
	s_and_b64 s[6:7], s[16:17], exec
	s_and_b64 s[14:15], s[14:15], exec
.LBB16_23:
	s_or_b64 exec, exec, s[4:5]
	s_xor_b64 s[4:5], exec, -1
	s_and_b64 s[6:7], s[6:7], exec
	s_and_b64 s[14:15], s[14:15], exec
.LBB16_24:
	s_or_b64 exec, exec, s[10:11]
	s_and_saveexec_b64 s[10:11], s[14:15]
	s_cbranch_execz .LBB16_34
.LBB16_25:
	v_ashrrev_i32_e32 v10, 31, v25
	v_lshrrev_b32_e32 v10, 21, v10
	v_mov_b32_e32 v11, 0
	v_lshl_add_u64 v[10:11], v[24:25], 0, v[10:11]
	v_ashrrev_i64 v[12:13], 11, v[10:11]
	v_ashrrev_i32_e32 v11, 31, v17
	v_sub_co_u32_e32 v10, vcc, v12, v17
	s_nop 1
	v_subb_co_u32_e32 v11, vcc, v13, v11, vcc
	v_cmp_gt_i64_e32 vcc, 1, v[10:11]
	s_and_saveexec_b64 s[14:15], vcc
	s_xor_b64 s[14:15], exec, s[14:15]
	s_cbranch_execz .LBB16_31
; %bb.26:
	v_lshlrev_b64 v[12:13], 11, v[12:13]
	v_cmp_ne_u64_e32 vcc, v[24:25], v[12:13]
	s_and_saveexec_b64 s[16:17], vcc
	s_cbranch_execz .LBB16_30
; %bb.27:
	v_lshlrev_b32_e32 v10, 6, v10
	v_sub_co_u32_e32 v16, vcc, v24, v12
	v_sub_u32_e32 v10, v15, v10
	s_nop 0
	v_subb_co_u32_e32 v17, vcc, v25, v13, vcc
	v_ashrrev_i32_e32 v11, 31, v10
	v_cmp_gt_i64_e32 vcc, v[16:17], v[10:11]
	s_and_b64 exec, exec, vcc
	s_cbranch_execz .LBB16_30
; %bb.28:
	v_lshl_add_u64 v[6:7], v[12:13], 0, v[6:7]
	v_lshl_add_u64 v[6:7], v[6:7], 0, v[10:11]
	;; [unrolled: 1-line block ×3, first 2 shown]
	flat_load_ubyte v10, v[10:11]
	v_lshl_add_u64 v[6:7], v[6:7], 0, v[4:5]
	s_and_b64 vcc, exec, -1
	s_waitcnt vmcnt(0) lgkmcnt(0)
	flat_store_byte v[6:7], v10 nt
.LBB16_29:                              ; =>This Inner Loop Header: Depth=1
	s_mov_b64 vcc, vcc
	s_cbranch_vccnz .LBB16_29
.LBB16_30:
	s_or_b64 exec, exec, s[16:17]
                                        ; implicit-def: $vgpr17
                                        ; implicit-def: $vgpr15
                                        ; implicit-def: $vgpr6_vgpr7
.LBB16_31:
	s_andn2_saveexec_b64 s[14:15], s[14:15]
	s_cbranch_execz .LBB16_34
; %bb.32:
	v_lshl_add_u32 v10, v17, 11, v15
	v_ashrrev_i32_e32 v11, 31, v10
	v_lshl_add_u64 v[10:11], v[6:7], 0, v[10:11]
	v_lshl_add_u64 v[6:7], v[10:11], 0, v[4:5]
	;; [unrolled: 1-line block ×3, first 2 shown]
	s_and_b64 vcc, exec, 0
.LBB16_33:                              ; =>This Inner Loop Header: Depth=1
	flat_load_ubyte v12, v[10:11] nt
	flat_load_ubyte v13, v[10:11] offset:64 nt
	flat_load_ubyte v14, v[10:11] offset:128 nt
	;; [unrolled: 1-line block ×31, first 2 shown]
	s_waitcnt vmcnt(0) lgkmcnt(0)
	flat_store_byte v[6:7], v12 nt
	flat_store_byte v[6:7], v13 offset:64 nt
	flat_store_byte v[6:7], v14 offset:128 nt
	flat_store_byte v[6:7], v15 offset:192 nt
	flat_store_byte v[6:7], v16 offset:256 nt
	flat_store_byte v[6:7], v17 offset:320 nt
	flat_store_byte v[6:7], v20 offset:384 nt
	flat_store_byte v[6:7], v21 offset:448 nt
	flat_store_byte v[6:7], v22 offset:512 nt
	flat_store_byte v[6:7], v23 offset:576 nt
	flat_store_byte v[6:7], v24 offset:640 nt
	flat_store_byte v[6:7], v25 offset:704 nt
	flat_store_byte v[6:7], v26 offset:768 nt
	flat_store_byte v[6:7], v27 offset:832 nt
	flat_store_byte v[6:7], v28 offset:896 nt
	flat_store_byte v[6:7], v29 offset:960 nt
	flat_store_byte v[6:7], v30 offset:1024 nt
	flat_store_byte v[6:7], v31 offset:1088 nt
	flat_store_byte v[6:7], v32 offset:1152 nt
	flat_store_byte v[6:7], v33 offset:1216 nt
	flat_store_byte v[6:7], v34 offset:1280 nt
	flat_store_byte v[6:7], v35 offset:1344 nt
	flat_store_byte v[6:7], v36 offset:1408 nt
	flat_store_byte v[6:7], v37 offset:1472 nt
	flat_store_byte v[6:7], v38 offset:1536 nt
	flat_store_byte v[6:7], v39 offset:1600 nt
	flat_store_byte v[6:7], v48 offset:1664 nt
	flat_store_byte v[6:7], v49 offset:1728 nt
	flat_store_byte v[6:7], v50 offset:1792 nt
	flat_store_byte v[6:7], v51 offset:1856 nt
	flat_store_byte v[6:7], v52 offset:1920 nt
	flat_store_byte v[6:7], v53 offset:1984 nt
	s_mov_b64 vcc, vcc
	s_cbranch_vccz .LBB16_33
.LBB16_34:
	s_or_b64 exec, exec, s[10:11]
	s_and_saveexec_b64 s[10:11], s[6:7]
	s_cbranch_execz .LBB16_37
; %bb.35:
	v_lshl_add_u64 v[6:7], v[0:1], 0, v[8:9]
	v_lshl_add_u64 v[0:1], v[6:7], 0, v[4:5]
	;; [unrolled: 1-line block ×3, first 2 shown]
	s_and_b64 vcc, exec, 0
.LBB16_36:                              ; =>This Inner Loop Header: Depth=1
	global_load_dwordx4 v[8:11], v[6:7], off nt
	s_waitcnt vmcnt(0)
	global_store_dwordx4 v[0:1], v[8:11], off nt
	s_mov_b64 vcc, vcc
	s_cbranch_vccz .LBB16_36
.LBB16_37:
	s_or_b64 exec, exec, s[10:11]
	s_and_saveexec_b64 s[6:7], s[4:5]
	s_xor_b64 s[6:7], exec, s[6:7]
	s_cbranch_execz .LBB16_40
; %bb.38:
	v_lshlrev_b32_e32 v0, 4, v18
	v_lshl_add_u32 v6, v19, 13, v0
	v_ashrrev_i32_e32 v7, 31, v6
	v_lshl_add_u64 v[0:1], v[4:5], 0, v[6:7]
	v_lshl_add_u64 v[2:3], v[2:3], 0, v[6:7]
	s_mov_b64 s[4:5], 0x1000
	s_mov_b64 s[6:7], 0x1400
	;; [unrolled: 1-line block ×4, first 2 shown]
	v_lshl_add_u64 v[4:5], v[2:3], 0, s[4:5]
	v_lshl_add_u64 v[6:7], v[2:3], 0, s[6:7]
	;; [unrolled: 1-line block ×8, first 2 shown]
	s_and_b64 vcc, exec, 0
.LBB16_39:                              ; =>This Inner Loop Header: Depth=1
	global_load_dwordx4 v[20:23], v[2:3], off nt
	global_load_dwordx4 v[24:27], v[2:3], off offset:1024 nt
	global_load_dwordx4 v[28:31], v[2:3], off offset:2048 nt
	;; [unrolled: 1-line block ×3, first 2 shown]
	global_load_dwordx4 v[36:39], v[4:5], off nt
	global_load_dwordx4 v[48:51], v[6:7], off nt
	;; [unrolled: 1-line block ×4, first 2 shown]
	s_waitcnt vmcnt(0)
	global_store_dwordx4 v[0:1], v[20:23], off nt
	global_store_dwordx4 v[0:1], v[24:27], off offset:1024 nt
	global_store_dwordx4 v[0:1], v[28:31], off offset:2048 nt
	;; [unrolled: 1-line block ×3, first 2 shown]
	global_store_dwordx4 v[12:13], v[36:39], off nt
	global_store_dwordx4 v[14:15], v[48:51], off nt
	;; [unrolled: 1-line block ×4, first 2 shown]
	s_mov_b64 vcc, vcc
	s_cbranch_vccz .LBB16_39
.LBB16_40:
	s_or_b64 exec, exec, s[2:3]
                                        ; implicit-def: $vgpr24_vgpr25
                                        ; implicit-def: $agpr4_agpr5
                                        ; implicit-def: $vgpr12_vgpr13
                                        ; implicit-def: $vgpr22_vgpr23
                                        ; implicit-def: $vgpr0
                                        ; implicit-def: $vgpr16
                                        ; implicit-def: $vgpr18_vgpr19
                                        ; implicit-def: $vgpr31
                                        ; implicit-def: $vgpr28_vgpr29
                                        ; implicit-def: $vgpr2_vgpr3
.LBB16_41:
	s_andn2_saveexec_b64 s[16:17], s[0:1]
	s_cbranch_execz .LBB16_349
; %bb.42:
	flat_load_ushort v5, v[2:3] offset:8
	flat_load_dword v4, v[2:3] offset:4
	s_load_dword s0, s[8:9], 0x0
	v_mov_b32_e32 v7, 0
	v_ashrrev_i32_e32 v1, 31, v0
	v_lshrrev_b32_e32 v8, 26, v1
	s_mov_b32 s2, 0
	s_waitcnt lgkmcnt(0)
	s_cmp_lt_u32 s12, s0
	s_cselect_b32 s0, 12, 18
	s_add_u32 s0, s8, s0
	s_addc_u32 s1, s9, 0
	global_load_ushort v10, v7, s[0:1]
	s_trap 2
	ds_read_b32 v6, v0
	v_mov_b64_e32 v[14:15], 0
	s_waitcnt lgkmcnt(0)
	v_cmp_gt_i32_e32 vcc, 0, v6
	s_and_b64 vcc, exec, vcc
	s_waitcnt vmcnt(0)
	v_lshrrev_b64 v[2:3], 31, v[4:5]
	v_and_b32_e32 v5, 3, v2
	v_add_u32_e32 v2, v0, v8
	v_and_b32_e32 v2, 0xffffffc0, v2
	v_sub_u32_e32 v4, v0, v2
	v_cmp_eq_u32_e64 s[0:1], 0, v4
	s_cbranch_vccnz .LBB16_44
; %bb.43:
	s_trap 2
	ds_read_b64 v[2:3], v0
	v_lshlrev_b64 v[8:9], 3, v[6:7]
	v_and_b32_e32 v7, 0xffff, v5
	s_movk_i32 s2, 0xa8
	s_waitcnt lgkmcnt(0)
	v_lshl_add_u64 v[2:3], v[2:3], 0, v[8:9]
	flat_load_dwordx2 v[2:3], v[2:3]
	s_waitcnt vmcnt(0) lgkmcnt(0)
	v_mad_u64_u32 v[2:3], s[2:3], v7, s2, v[2:3]
	flat_load_dwordx2 a[14:15], v[2:3] offset:504
	flat_load_dwordx2 v[32:33], v[2:3] offset:608
	s_mov_b64 s[2:3], 0x1f8
	v_lshl_add_u64 v[2:3], v[2:3], 0, s[2:3]
	v_cndmask_b32_e64 v21, 0, v3, s[0:1]
	v_cndmask_b32_e64 v20, 0, v2, s[0:1]
	s_mov_b32 s2, 1
	s_branch .LBB16_45
.LBB16_44:
	v_mov_b64_e32 v[20:21], v[14:15]
                                        ; implicit-def: $vgpr32_vgpr33
                                        ; implicit-def: $agpr14_agpr15
.LBB16_45:
	s_trap 2
	ds_read_b32 v2, v0
	s_waitcnt lgkmcnt(0)
	v_cmp_gt_i32_e32 vcc, 0, v2
	s_cbranch_vccnz .LBB16_47
; %bb.46:
	s_trap 2
	ds_read_b64 v[8:9], v0
	v_mov_b32_e32 v3, 0
	v_lshlrev_b64 v[2:3], 3, v[2:3]
	v_and_b32_e32 v5, 0xffff, v5
	s_movk_i32 s0, 0xa8
	s_waitcnt lgkmcnt(0)
	v_lshl_add_u64 v[2:3], v[8:9], 0, v[2:3]
	flat_load_dwordx2 v[2:3], v[2:3]
	v_cmp_eq_u32_e32 vcc, 0, v4
	s_waitcnt vmcnt(0) lgkmcnt(0)
	v_mad_u64_u32 v[2:3], s[0:1], v5, s0, v[2:3]
	flat_load_dwordx2 v[34:35], v[2:3]
	flat_load_dwordx2 v[58:59], v[2:3] offset:104
	v_cndmask_b32_e32 v15, 0, v3, vcc
	v_cndmask_b32_e32 v14, 0, v2, vcc
	s_branch .LBB16_48
.LBB16_47:
                                        ; implicit-def: $vgpr58_vgpr59
                                        ; implicit-def: $vgpr34_vgpr35
.LBB16_48:
	v_subrev_u32_e32 v2, 64, v16
	v_cmp_le_i32_e32 vcc, v2, v0
	v_cmp_gt_i32_e64 s[0:1], s2, v4
	v_mov_b64_e32 v[2:3], 0
	s_and_b64 s[18:19], vcc, s[0:1]
	v_mov_b64_e32 v[38:39], v[2:3]
                                        ; implicit-def: $vgpr36_vgpr37
	s_and_saveexec_b64 s[0:1], s[18:19]
	s_cbranch_execz .LBB16_50
; %bb.49:
	flat_load_dwordx2 v[38:39], v[20:21] offset:56
	flat_load_dwordx2 v[36:37], v[20:21] offset:104
.LBB16_50:
	s_or_b64 exec, exec, s[0:1]
	v_cmp_gt_i32_e64 s[0:1], s2, v0
	v_mov_b64_e32 v[48:49], v[2:3]
                                        ; implicit-def: $vgpr52_vgpr53
	s_and_saveexec_b64 s[2:3], s[0:1]
	s_cbranch_execz .LBB16_52
; %bb.51:
	flat_load_dwordx2 v[48:49], v[14:15] offset:56
	s_waitcnt vmcnt(0) lgkmcnt(0)
	flat_load_dwordx2 v[52:53], v[48:49] sc0 sc1
	s_waitcnt vmcnt(0)
	flat_load_dwordx4 v[2:5], v[14:15] offset:96
.LBB16_52:
	s_or_b64 exec, exec, s[2:3]
	v_cmp_ne_u64_e32 vcc, 0, v[24:25]
	v_mov_b64_e32 v[50:51], 0
	s_and_saveexec_b64 s[20:21], vcc
	s_cbranch_execz .LBB16_325
; %bb.53:
	v_ashrrev_i32_e32 v7, 31, v6
	v_lshrrev_b32_e32 v7, 29, v7
	v_add_u32_e32 v6, v6, v7
	v_mov_b32_e32 v41, 0
	v_ashrrev_i32_e32 v62, 7, v6
	v_lshlrev_b32_e32 v6, 4, v12
	v_mov_b32_e32 v9, v41
	v_and_b32_e32 v8, 0x1fffff0, v6
	v_cvt_f64_u32_e32 v[6:7], 0
	v_accvgpr_write_b32 a17, v9
	v_ldexp_f64 v[6:7], v[6:7], 32
	v_accvgpr_write_b32 a16, v8
	v_cvt_f64_u32_e32 v[8:9], v8
	v_add_f64 v[6:7], v[6:7], v[8:9]
	v_accvgpr_write_b32 a19, v7
	v_accvgpr_write_b32 a18, v6
	v_and_b32_e32 v6, 63, v31
	v_ashrrev_i32_e32 v17, 31, v16
	v_cmp_eq_u32_e64 s[8:9], 0, v6
	v_lshrrev_b32_e32 v6, 26, v17
	v_add_u32_e32 v6, v16, v6
	v_accvgpr_write_b32 a12, v20
	v_ashrrev_i32_e32 v6, 6, v6
	v_accvgpr_write_b32 a13, v21
	v_ashrrev_i32_e32 v7, 31, v6
	v_lshlrev_b32_e32 v20, 3, v0
	v_accvgpr_write_b32 a21, v7
	v_ashrrev_i32_e32 v21, 31, v20
	v_accvgpr_write_b32 a20, v6
	v_lshl_add_u64 v[6:7], v[26:27], 0, v[20:21]
	v_accvgpr_write_b32 a25, v7
	v_accvgpr_write_b32 a24, v6
	v_lshl_add_u64 v[6:7], v[28:29], 0, v[20:21]
	v_accvgpr_read_b32 v9, a5
	v_accvgpr_read_b32 v8, a4
	v_accvgpr_write_b32 a27, v7
	v_accvgpr_write_b32 a26, v6
	v_lshl_add_u64 v[6:7], v[6:7], 0, v[8:9]
	v_accvgpr_write_b32 a29, v7
	v_accvgpr_write_b32 a28, v6
	v_lshlrev_b32_e32 v6, 3, v6
	v_accvgpr_write_b32 a1, v10
	v_cmp_ne_u32_sdwa s[24:25], v10, v16 src0_sel:WORD_0 src1_sel:DWORD
	v_accvgpr_write_b32 a30, v6
	v_and_b32_e32 v6, 0x1fffff, v12
	s_waitcnt vmcnt(0) lgkmcnt(0)
	v_lshl_add_u64 v[10:11], v[0:1], 4, v[34:35]
	v_accvgpr_write_b32 a10, v14
	s_mov_b32 s26, 0
	v_lshlrev_b32_e32 v56, 3, v16
	s_cmp_lt_i32 s50, 3
	v_accvgpr_write_b32 a6, v26
	v_lshlrev_b32_e32 v6, 7, v6
	v_accvgpr_write_b32 a33, v11
	v_mov_b64_e32 v[42:43], 0
	v_accvgpr_mov_b32 a35, a5
	v_accvgpr_write_b32 a23, v21
	v_accvgpr_write_b32 a11, v15
	s_mov_b64 s[22:23], 0
	v_cmp_ne_u64_e64 s[2:3], 0, v[48:49]
	v_cmp_ne_u64_e64 s[4:5], 0, v[2:3]
	v_cmp_ne_u32_e64 s[6:7], 64, v16
	v_accvgpr_write_b32 a0, v31
	s_mov_b32 s27, 1
	v_ashrrev_i32_e32 v57, 31, v56
	s_cselect_b64 s[28:29], -1, 0
	v_cmp_ne_u64_e64 s[10:11], 0, v[38:39]
	s_add_i32 s51, s50, -2
	v_accvgpr_write_b32 a7, v27
	v_accvgpr_write_b32 a8, v28
	;; [unrolled: 1-line block ×4, first 2 shown]
	v_mov_b64_e32 v[6:7], v[24:25]
	v_lshlrev_b32_e32 v27, 6, v16
	v_accvgpr_write_b32 a32, v10
	v_lshlrev_b64 v[24:25], 4, v[16:17]
	s_movk_i32 s52, 0x2710
	s_mov_b64 s[30:31], 0x7ffffff8
	v_accvgpr_mov_b32 a34, a4
	v_mov_b32_e32 v17, 0
	v_mov_b64_e32 v[50:51], v[42:43]
	v_accvgpr_write_b32 a22, v20
	s_branch .LBB16_55
.LBB16_54:                              ;   in Loop: Header=BB16_55 Depth=1
	s_or_b64 exec, exec, s[12:13]
	v_accvgpr_read_b32 v8, a16
	v_accvgpr_read_b32 v6, a34
	;; [unrolled: 1-line block ×4, first 2 shown]
	v_lshl_add_u64 v[6:7], v[6:7], 0, v[8:9]
	v_accvgpr_write_b32 a35, v7
	v_accvgpr_write_b32 a34, v6
	v_accvgpr_read_b32 v1, a30
	v_accvgpr_read_b32 v6, a31
	;; [unrolled: 1-line block ×3, first 2 shown]
	v_add_u32_e32 v1, v1, v6
	v_accvgpr_read_b32 v7, a3
	v_accvgpr_read_b32 v11, a29
	v_lshl_add_u64 v[42:43], v[42:43], 0, v[8:9]
	v_accvgpr_read_b32 v6, a2
	v_lshl_add_u64 v[10:11], v[10:11], 0, v[8:9]
	v_cmp_ge_u64_e32 vcc, v[42:43], v[6:7]
	v_accvgpr_write_b32 a29, v11
	v_lshl_add_u64 v[32:33], v[32:33], 0, 1
	v_accvgpr_write_b32 a30, v1
	s_or_b64 s[22:23], vcc, s[22:23]
	v_accvgpr_write_b32 a28, v10
	s_andn2_b64 exec, exec, s[22:23]
	s_cbranch_execz .LBB16_324
.LBB16_55:                              ; =>This Loop Header: Depth=1
                                        ;     Child Loop BB16_63 Depth 2
                                        ;     Child Loop BB16_80 Depth 2
	;; [unrolled: 1-line block ×9, first 2 shown]
                                        ;       Child Loop BB16_190 Depth 3
                                        ;       Child Loop BB16_206 Depth 3
	;; [unrolled: 1-line block ×3, first 2 shown]
                                        ;         Child Loop BB16_223 Depth 4
                                        ;       Child Loop BB16_257 Depth 3
                                        ;       Child Loop BB16_181 Depth 3
                                        ;     Child Loop BB16_274 Depth 2
                                        ;       Child Loop BB16_278 Depth 3
                                        ;     Child Loop BB16_312 Depth 2
	flat_load_dword v8, v[18:19]
	v_sub_co_u32_e32 v1, vcc, v6, v42
	v_accvgpr_read_b32 v11, a5
	v_accvgpr_write_b32 a2, v6
	v_subb_co_u32_e32 v9, vcc, v7, v43, vcc
	v_accvgpr_read_b32 v10, a4
	v_accvgpr_write_b32 a3, v7
	v_accvgpr_read_b32 v6, a18
	v_lshl_add_u64 v[54:55], v[42:43], 0, v[10:11]
	v_cvt_f64_u32_e32 v[10:11], v9
	v_accvgpr_read_b32 v7, a19
	v_cvt_f64_u32_e32 v[12:13], v1
	v_ldexp_f64 v[10:11], v[10:11], 32
	v_max_f64 v[6:7], v[6:7], v[6:7]
	v_add_f64 v[10:11], v[10:11], v[12:13]
	v_min_f64 v[6:7], v[6:7], v[10:11]
	v_cvt_i32_f64_e32 v1, v[6:7]
	v_max_i32_e32 v1, 0, v1
	v_add_u32_e32 v6, 7, v1
	v_ashrrev_i32_e32 v7, 31, v6
	v_lshrrev_b32_e32 v7, 29, v7
	v_accvgpr_read_b32 v31, a9
	v_add_u32_e32 v9, v6, v7
	v_accvgpr_read_b32 v30, a8
	v_accvgpr_read_b32 v29, a7
	;; [unrolled: 1-line block ×3, first 2 shown]
	v_lshl_add_u64 v[14:15], v[30:31], 0, v[54:55]
	v_accvgpr_write_b32 a36, v54
	v_accvgpr_write_b32 a37, v55
	s_waitcnt vmcnt(0) lgkmcnt(0)
	v_ashrrev_i32_e32 v11, 31, v8
	v_mul_lo_u32 v10, v23, v8
	v_mad_u64_u32 v[6:7], s[12:13], v22, v8, v[54:55]
	v_mul_lo_u32 v11, v22, v11
	v_add3_u32 v7, v10, v7, v11
	v_lshl_add_u64 v[6:7], v[28:29], 0, v[6:7]
	v_cmp_ne_u64_e32 vcc, v[14:15], v[6:7]
	v_ashrrev_i32_e32 v6, 3, v9
	v_accvgpr_write_b32 a38, v6
	s_and_saveexec_b64 s[12:13], vcc
	s_xor_b64 s[14:15], exec, s[12:13]
	s_cbranch_execz .LBB16_121
; %bb.56:                               ;   in Loop: Header=BB16_55 Depth=1
	s_and_saveexec_b64 s[12:13], s[2:3]
	s_cbranch_execz .LBB16_72
; %bb.57:                               ;   in Loop: Header=BB16_55 Depth=1
	v_lshl_add_u64 v[6:7], v[4:5], 0, 1
	v_lshl_add_u64 v[12:13], v[52:53], 0, 8
	v_cmp_lt_u64_e32 vcc, v[12:13], v[6:7]
	s_and_saveexec_b64 s[34:35], vcc
	s_cbranch_execz .LBB16_69
; %bb.58:                               ;   in Loop: Header=BB16_55 Depth=1
	s_sleep 1
	flat_load_dwordx2 v[52:53], v[48:49] sc1
	v_cmp_eq_u32_e32 vcc, 0, v17
	s_and_saveexec_b64 s[36:37], vcc
	s_cbranch_execz .LBB16_68
; %bb.59:                               ;   in Loop: Header=BB16_55 Depth=1
	v_cndmask_b32_e64 v5, 0, 1, vcc
	s_mov_b64 s[38:39], 0
                                        ; implicit-def: $sgpr40_sgpr41
	s_branch .LBB16_63
.LBB16_60:                              ;   in Loop: Header=BB16_63 Depth=2
	s_or_b64 exec, exec, s[48:49]
	s_orn2_b64 s[46:47], s[46:47], exec
.LBB16_61:                              ;   in Loop: Header=BB16_63 Depth=2
	s_or_b64 exec, exec, s[44:45]
	s_xor_b64 vcc, s[46:47], -1
	s_andn2_b64 s[40:41], s[40:41], exec
	s_and_b64 vcc, vcc, exec
	s_or_b64 s[40:41], s[40:41], vcc
.LBB16_62:                              ;   in Loop: Header=BB16_63 Depth=2
	s_or_b64 exec, exec, s[42:43]
	s_and_b64 vcc, exec, s[40:41]
	s_or_b64 s[38:39], vcc, s[38:39]
	s_andn2_b64 exec, exec, s[38:39]
	s_cbranch_execz .LBB16_67
.LBB16_63:                              ;   Parent Loop BB16_55 Depth=1
                                        ; =>  This Inner Loop Header: Depth=2
	s_waitcnt vmcnt(0) lgkmcnt(0)
	v_lshl_add_u64 v[12:13], v[52:53], 0, 8
	v_cmp_lt_u64_e32 vcc, v[12:13], v[6:7]
	v_mov_b32_e32 v17, 0
	s_or_b64 s[40:41], s[40:41], exec
	s_and_saveexec_b64 s[42:43], vcc
	s_cbranch_execz .LBB16_62
; %bb.64:                               ;   in Loop: Header=BB16_63 Depth=2
	s_sleep 1
	flat_load_dwordx2 v[52:53], v[48:49] sc1
	v_add_u32_e32 v5, 1, v5
	v_cmp_eq_u32_e32 vcc, s52, v5
	s_mov_b64 s[46:47], -1
	v_mov_b32_e32 v17, 0
	s_and_saveexec_b64 s[44:45], vcc
	s_cbranch_execz .LBB16_61
; %bb.65:                               ;   in Loop: Header=BB16_63 Depth=2
	s_trap 2
	ds_read_b64 v[12:13], v0
	v_mov_b32_e32 v5, 0
	v_mov_b32_e32 v17, 0
	s_waitcnt vmcnt(0) lgkmcnt(0)
	flat_load_dword v9, v[12:13] sc0 sc1
	s_waitcnt vmcnt(0) lgkmcnt(0)
	buffer_inv sc0 sc1
	v_cmp_ne_u32_e32 vcc, 0, v9
	s_and_saveexec_b64 s[48:49], vcc
	s_cbranch_execz .LBB16_60
; %bb.66:                               ;   in Loop: Header=BB16_63 Depth=2
	v_mov_b32_e32 v17, 1
	s_xor_b64 s[46:47], exec, -1
	ds_write_b32 v0, v9
	s_trap 2
	s_branch .LBB16_60
.LBB16_67:                              ;   in Loop: Header=BB16_55 Depth=1
	s_or_b64 exec, exec, s[38:39]
.LBB16_68:                              ;   in Loop: Header=BB16_55 Depth=1
	s_or_b64 exec, exec, s[36:37]
.LBB16_69:                              ;   in Loop: Header=BB16_55 Depth=1
	s_or_b64 exec, exec, s[34:35]
	s_and_saveexec_b64 s[34:35], s[4:5]
	s_cbranch_execz .LBB16_71
; %bb.70:                               ;   in Loop: Header=BB16_55 Depth=1
	v_and_b32_e32 v40, 0x7ffffff8, v4
	v_cmp_eq_u64_e32 vcc, s[30:31], v[40:41]
	v_accvgpr_read_b32 v5, a38
	v_and_b32_e32 v4, 7, v4
	v_cndmask_b32_e32 v5, v5, v62, vcc
	v_lshlrev_b32_e32 v12, 4, v5
	v_ashrrev_i32_e32 v13, 31, v12
	v_mad_u64_u32 v[4:5], vcc, v4, 24, v[2:3]
	flat_store_dwordx2 v[4:5], v[12:13] offset:8 sc0 sc1
	s_waitcnt vmcnt(0)
.LBB16_71:                              ;   in Loop: Header=BB16_55 Depth=1
	s_or_b64 exec, exec, s[34:35]
	v_mov_b64_e32 v[4:5], v[6:7]
.LBB16_72:                              ;   in Loop: Header=BB16_55 Depth=1
	s_or_b64 exec, exec, s[12:13]
	v_mad_u64_u32 v[8:9], s[12:13], v22, v8, 0
	v_add3_u32 v9, v9, v11, v10
	s_and_saveexec_b64 s[12:13], s[6:7]
	s_cbranch_execz .LBB16_91
; %bb.73:                               ;   in Loop: Header=BB16_55 Depth=1
	s_and_saveexec_b64 vcc, s[24:25]
	s_xor_b64 s[34:35], exec, vcc
	s_cbranch_execz .LBB16_88
; %bb.74:                               ;   in Loop: Header=BB16_55 Depth=1
	s_and_saveexec_b64 s[36:37], s[8:9]
	s_cbranch_execz .LBB16_87
; %bb.75:                               ;   in Loop: Header=BB16_55 Depth=1
	s_mov_b64 s[40:41], exec
	v_mbcnt_lo_u32_b32 v6, s40, 0
	v_mbcnt_hi_u32_b32 v6, s41, v6
	v_cmp_eq_u32_e32 vcc, 0, v6
	s_waitcnt lgkmcnt(0)
	s_and_saveexec_b64 s[38:39], vcc
	s_cbranch_execz .LBB16_77
; %bb.76:                               ;   in Loop: Header=BB16_55 Depth=1
	s_bcnt1_i32_b64 vcc_lo, s[40:41]
	v_mov_b32_e32 v40, vcc_lo
	ds_add_u64 v0, v[40:41]
	s_trap 2
.LBB16_77:                              ;   in Loop: Header=BB16_55 Depth=1
	s_or_b64 exec, exec, s[38:39]
	s_trap 2
	ds_read_b64 v[6:7], v0
	v_accvgpr_read_b32 v10, a20
	v_accvgpr_read_b32 v11, a21
	v_lshl_add_u64 v[50:51], v[50:51], 0, v[10:11]
	s_waitcnt lgkmcnt(0)
	v_cmp_lt_u64_e32 vcc, v[6:7], v[50:51]
	s_and_saveexec_b64 s[38:39], vcc
	s_cbranch_execz .LBB16_86
; %bb.78:                               ;   in Loop: Header=BB16_55 Depth=1
	s_mov_b32 s53, 0
	s_mov_b64 s[40:41], 0
                                        ; implicit-def: $sgpr42_sgpr43
                                        ; implicit-def: $sgpr44_sgpr45
	s_branch .LBB16_80
.LBB16_79:                              ;   in Loop: Header=BB16_80 Depth=2
	s_or_b64 exec, exec, s[48:49]
	s_and_b64 vcc, exec, vcc
	s_or_b64 s[40:41], vcc, s[40:41]
	s_andn2_b64 vcc, s[42:43], exec
	s_and_b64 s[42:43], s[44:45], exec
	s_or_b64 s[42:43], vcc, s[42:43]
	s_andn2_b64 exec, exec, s[40:41]
	s_cbranch_execz .LBB16_84
.LBB16_80:                              ;   Parent Loop BB16_55 Depth=1
                                        ; =>  This Inner Loop Header: Depth=2
	s_add_i32 s53, s53, 1
	s_cmpk_lg_i32 s53, 0x2710
	s_cselect_b64 s[46:47], -1, 0
	s_and_b64 vcc, exec, s[46:47]
                                        ; implicit-def: $sgpr48_sgpr49
	s_cbranch_vccnz .LBB16_82
; %bb.81:                               ;   in Loop: Header=BB16_80 Depth=2
	s_trap 2
	ds_read_b64 v[6:7], v0
	s_andn2_b64 s[46:47], s[46:47], exec
	s_mov_b32 s53, 0
	s_mov_b64 s[48:49], -1
	s_waitcnt vmcnt(0) lgkmcnt(0)
	flat_load_dword v6, v[6:7] sc0 sc1
	s_waitcnt vmcnt(0) lgkmcnt(0)
	buffer_inv sc0 sc1
	v_cmp_eq_u32_e32 vcc, 0, v6
	s_and_b64 vcc, vcc, exec
	s_or_b64 s[46:47], s[46:47], vcc
.LBB16_82:                              ;   in Loop: Header=BB16_80 Depth=2
	s_andn2_b64 s[44:45], s[44:45], exec
	s_and_b64 s[48:49], s[48:49], exec
	s_mov_b64 vcc, -1
	s_or_b64 s[44:45], s[44:45], s[48:49]
	s_and_saveexec_b64 s[48:49], s[46:47]
	s_cbranch_execz .LBB16_79
; %bb.83:                               ;   in Loop: Header=BB16_80 Depth=2
	s_sleep 1
	s_trap 2
	ds_read_b64 v[6:7], v0
	s_andn2_b64 s[44:45], s[44:45], exec
	s_waitcnt lgkmcnt(0)
	v_cmp_ge_u64_e32 vcc, v[6:7], v[50:51]
	s_orn2_b64 vcc, vcc, exec
	s_branch .LBB16_79
.LBB16_84:                              ;   in Loop: Header=BB16_55 Depth=1
	s_or_b64 exec, exec, s[40:41]
	s_and_saveexec_b64 vcc, s[42:43]
	s_xor_b64 vcc, exec, vcc
	s_cbranch_execz .LBB16_86
; %bb.85:                               ;   in Loop: Header=BB16_55 Depth=1
	v_mov_b32_e32 v6, 1
	ds_write_b32 v0, v6
	s_trap 2
.LBB16_86:                              ;   in Loop: Header=BB16_55 Depth=1
	s_or_b64 exec, exec, s[38:39]
	;;#ASMSTART
	s_wakeup
	;;#ASMEND
.LBB16_87:                              ;   in Loop: Header=BB16_55 Depth=1
	s_or_b64 exec, exec, s[36:37]
.LBB16_88:                              ;   in Loop: Header=BB16_55 Depth=1
	s_andn2_saveexec_b64 vcc, s[34:35]
	s_cbranch_execz .LBB16_90
; %bb.89:                               ;   in Loop: Header=BB16_55 Depth=1
	s_waitcnt lgkmcnt(0)
	s_barrier
.LBB16_90:                              ;   in Loop: Header=BB16_55 Depth=1
	s_or_b64 exec, exec, vcc
.LBB16_91:                              ;   in Loop: Header=BB16_55 Depth=1
	s_or_b64 exec, exec, s[12:13]
	v_sub_u32_e32 v7, v1, v20
	v_cmp_lt_i32_e32 vcc, 0, v7
	v_mov_b32_e32 v6, v0
	s_and_saveexec_b64 s[34:35], vcc
	s_cbranch_execz .LBB16_117
; %bb.92:                               ;   in Loop: Header=BB16_55 Depth=1
	v_accvgpr_read_b32 v14, a24
	v_and_b32_e32 v6, 7, v58
	v_accvgpr_read_b32 v15, a25
	v_mul_lo_u32 v12, v6, v62
	v_lshl_add_u64 v[8:9], v[14:15], 0, v[8:9]
	v_accvgpr_read_b32 v14, a32
	v_ashrrev_i32_e32 v13, 31, v12
	v_accvgpr_read_b32 v15, a33
	v_mov_b32_e32 v10, v41
	v_mov_b32_e32 v11, v58
	v_lshl_add_u64 v[12:13], v[12:13], 4, v[14:15]
	v_accvgpr_read_b32 v14, a34
	v_lshl_add_u64 v[10:11], v[10:11], 0, s[26:27]
	s_mov_b64 s[36:37], 0
	v_accvgpr_read_b32 v20, a30
	v_accvgpr_read_b32 v15, a35
	v_mov_b32_e32 v6, v0
	s_branch .LBB16_94
.LBB16_93:                              ;   in Loop: Header=BB16_94 Depth=2
	v_sub_u32_e32 v7, v7, v56
	v_cmp_gt_i32_e32 vcc, 1, v7
	v_add_u32_e32 v6, v6, v16
	v_lshl_add_u64 v[14:15], v[14:15], 0, v[56:57]
	v_add_u32_e32 v20, v20, v27
	s_or_b64 s[36:37], vcc, s[36:37]
	v_lshl_add_u64 v[12:13], v[12:13], 0, v[24:25]
	s_andn2_b64 exec, exec, s[36:37]
	s_cbranch_execz .LBB16_116
.LBB16_94:                              ;   Parent Loop BB16_55 Depth=1
                                        ; =>  This Inner Loop Header: Depth=2
	v_accvgpr_read_b32 v29, a27
	v_accvgpr_read_b32 v28, a26
	v_lshl_add_u64 v[54:55], v[28:29], 0, v[14:15]
	v_and_b32_e32 v30, -4, v54
	v_mov_b32_e32 v31, v55
	global_load_dword v21, v[30:31], off nt
	v_min_u32_e32 v40, 8, v7
	v_and_b32_e32 v54, 3, v54
	v_mov_b32_e32 v55, 0
	v_lshl_add_u64 v[44:45], v[54:55], 0, v[40:41]
	v_cmp_lt_u64_e32 vcc, 4, v[44:45]
	v_mov_b32_e32 v26, 0
	s_and_saveexec_b64 s[12:13], vcc
	s_cbranch_execz .LBB16_96
; %bb.95:                               ;   in Loop: Header=BB16_94 Depth=2
	global_load_dword v26, v[30:31], off offset:4 nt
.LBB16_96:                              ;   in Loop: Header=BB16_94 Depth=2
	s_or_b64 exec, exec, s[12:13]
	v_cmp_lt_u64_e32 vcc, 8, v[44:45]
	s_and_saveexec_b64 s[12:13], vcc
	s_cbranch_execz .LBB16_98
; %bb.97:                               ;   in Loop: Header=BB16_94 Depth=2
	global_load_dword v55, v[30:31], off offset:8 nt
.LBB16_98:                              ;   in Loop: Header=BB16_94 Depth=2
	s_or_b64 exec, exec, s[12:13]
	s_waitcnt vmcnt(0)
	v_alignbit_b32 v54, v26, v21, v20
	v_alignbit_b32 v55, v55, v26, v20
	v_cmp_lt_u32_e32 vcc, 7, v7
	v_or_b32_e32 v44, v10, v54
	v_or_b32_e32 v46, v10, v55
	v_mov_b32_e32 v45, v11
	v_mov_b32_e32 v47, v11
	v_cndmask_b32_e64 v21, 0, 1, vcc
	global_store_dwordx4 v[12:13], v[44:47], off
	;;#ASMSTART
	;;#ASMEND
	v_lshl_add_u64 v[30:31], v[8:9], 0, v[14:15]
	v_cmp_ne_u32_e64 s[12:13], 0, v21
	s_cmp_lg_u64 s[12:13], exec
	s_mov_b64 s[12:13], -1
	s_cbranch_scc0 .LBB16_108
; %bb.99:                               ;   in Loop: Header=BB16_94 Depth=2
	v_cmp_ne_u32_e64 s[12:13], 1, v7
	flat_store_byte v[30:31], v54
	s_and_saveexec_b64 s[38:39], s[12:13]
	s_cbranch_execnz .LBB16_110
; %bb.100:                              ;   in Loop: Header=BB16_94 Depth=2
	s_or_b64 exec, exec, s[38:39]
	v_cmp_lt_u32_e64 s[12:13], 2, v7
	s_and_saveexec_b64 s[38:39], s[12:13]
	s_cbranch_execnz .LBB16_111
.LBB16_101:                             ;   in Loop: Header=BB16_94 Depth=2
	s_or_b64 exec, exec, s[38:39]
	v_cmp_lt_u32_e64 s[12:13], 3, v7
	s_and_saveexec_b64 s[38:39], s[12:13]
	s_cbranch_execnz .LBB16_112
.LBB16_102:                             ;   in Loop: Header=BB16_94 Depth=2
	s_or_b64 exec, exec, s[38:39]
	v_cmp_lt_u32_e64 s[12:13], 4, v7
	s_and_saveexec_b64 s[38:39], s[12:13]
	s_cbranch_execnz .LBB16_113
.LBB16_103:                             ;   in Loop: Header=BB16_94 Depth=2
	s_or_b64 exec, exec, s[38:39]
	v_cmp_lt_u32_e64 s[12:13], 5, v7
	s_and_saveexec_b64 s[38:39], s[12:13]
	s_cbranch_execnz .LBB16_114
.LBB16_104:                             ;   in Loop: Header=BB16_94 Depth=2
	s_or_b64 exec, exec, s[38:39]
	v_cmp_lt_u32_e64 s[12:13], 6, v7
	s_and_saveexec_b64 s[38:39], s[12:13]
	s_cbranch_execnz .LBB16_115
.LBB16_105:                             ;   in Loop: Header=BB16_94 Depth=2
	s_or_b64 exec, exec, s[38:39]
	s_and_saveexec_b64 s[12:13], vcc
	s_cbranch_execz .LBB16_107
.LBB16_106:                             ;   in Loop: Header=BB16_94 Depth=2
	v_lshrrev_b32_e32 v21, 24, v55
	flat_store_byte v[30:31], v21 offset:7
.LBB16_107:                             ;   in Loop: Header=BB16_94 Depth=2
	s_or_b64 exec, exec, s[12:13]
	s_mov_b64 s[12:13], 0
.LBB16_108:                             ;   in Loop: Header=BB16_94 Depth=2
	s_and_b64 vcc, exec, s[12:13]
	s_cbranch_vccz .LBB16_93
; %bb.109:                              ;   in Loop: Header=BB16_94 Depth=2
	global_store_dwordx2 v[30:31], v[54:55], off
	s_branch .LBB16_93
.LBB16_110:                             ;   in Loop: Header=BB16_94 Depth=2
	v_lshrrev_b32_e32 v21, 8, v54
	flat_store_byte v[30:31], v21 offset:1
	s_or_b64 exec, exec, s[38:39]
	v_cmp_lt_u32_e64 s[12:13], 2, v7
	s_and_saveexec_b64 s[38:39], s[12:13]
	s_cbranch_execz .LBB16_101
.LBB16_111:                             ;   in Loop: Header=BB16_94 Depth=2
	flat_store_byte_d16_hi v[30:31], v54 offset:2
	s_or_b64 exec, exec, s[38:39]
	v_cmp_lt_u32_e64 s[12:13], 3, v7
	s_and_saveexec_b64 s[38:39], s[12:13]
	s_cbranch_execz .LBB16_102
.LBB16_112:                             ;   in Loop: Header=BB16_94 Depth=2
	v_lshrrev_b32_e32 v21, 24, v54
	flat_store_byte v[30:31], v21 offset:3
	s_or_b64 exec, exec, s[38:39]
	v_cmp_lt_u32_e64 s[12:13], 4, v7
	s_and_saveexec_b64 s[38:39], s[12:13]
	s_cbranch_execz .LBB16_103
.LBB16_113:                             ;   in Loop: Header=BB16_94 Depth=2
	flat_store_byte v[30:31], v55 offset:4
	s_or_b64 exec, exec, s[38:39]
	v_cmp_lt_u32_e64 s[12:13], 5, v7
	s_and_saveexec_b64 s[38:39], s[12:13]
	s_cbranch_execz .LBB16_104
.LBB16_114:                             ;   in Loop: Header=BB16_94 Depth=2
	v_lshrrev_b32_e32 v21, 8, v55
	flat_store_byte v[30:31], v21 offset:5
	s_or_b64 exec, exec, s[38:39]
	v_cmp_lt_u32_e64 s[12:13], 6, v7
	s_and_saveexec_b64 s[38:39], s[12:13]
	s_cbranch_execz .LBB16_105
.LBB16_115:                             ;   in Loop: Header=BB16_94 Depth=2
	flat_store_byte_d16_hi v[30:31], v55 offset:6
	s_or_b64 exec, exec, s[38:39]
	s_and_saveexec_b64 s[12:13], vcc
	s_cbranch_execnz .LBB16_106
	s_branch .LBB16_107
.LBB16_116:                             ;   in Loop: Header=BB16_55 Depth=1
	s_or_b64 exec, exec, s[36:37]
	v_accvgpr_read_b32 v20, a22
	v_accvgpr_read_b32 v21, a23
.LBB16_117:                             ;   in Loop: Header=BB16_55 Depth=1
	s_or_b64 exec, exec, s[34:35]
	v_and_b32_e32 v40, 0x7ffffff8, v58
	v_cmp_eq_u64_e32 vcc, s[30:31], v[40:41]
	v_cmp_gt_i32_e64 s[12:13], v62, v6
	s_and_b64 vcc, vcc, s[12:13]
	s_and_saveexec_b64 s[12:13], vcc
	s_cbranch_execz .LBB16_120
; %bb.118:                              ;   in Loop: Header=BB16_55 Depth=1
	v_and_b32_e32 v7, 7, v58
	v_mul_lo_u32 v8, v7, v62
	v_ashrrev_i32_e32 v9, 31, v8
	v_ashrrev_i32_e32 v7, 31, v6
	v_lshlrev_b64 v[8:9], 4, v[8:9]
	v_mov_b32_e32 v10, v41
	v_mov_b32_e32 v11, v58
	v_lshl_add_u64 v[8:9], v[6:7], 4, v[8:9]
	v_lshl_add_u64 v[12:13], v[10:11], 0, s[26:27]
	;; [unrolled: 1-line block ×3, first 2 shown]
	s_mov_b64 s[34:35], 0
.LBB16_119:                             ;   Parent Loop BB16_55 Depth=1
                                        ; =>  This Inner Loop Header: Depth=2
	v_add_u32_e32 v6, v6, v16
	v_mov_b32_e32 v14, v12
	v_mov_b32_e32 v15, v13
	v_cmp_ge_i32_e32 vcc, v6, v62
	global_store_dwordx4 v[8:9], v[12:15], off
	s_or_b64 s[34:35], vcc, s[34:35]
	v_lshl_add_u64 v[8:9], v[8:9], 0, v[24:25]
	s_andn2_b64 exec, exec, s[34:35]
	s_cbranch_execnz .LBB16_119
.LBB16_120:                             ;   in Loop: Header=BB16_55 Depth=1
	s_or_b64 exec, exec, s[12:13]
.LBB16_121:                             ;   in Loop: Header=BB16_55 Depth=1
	s_andn2_saveexec_b64 s[14:15], s[14:15]
	s_cbranch_execz .LBB16_169
; %bb.122:                              ;   in Loop: Header=BB16_55 Depth=1
	s_and_saveexec_b64 s[12:13], s[2:3]
	s_cbranch_execz .LBB16_138
; %bb.123:                              ;   in Loop: Header=BB16_55 Depth=1
	v_lshl_add_u64 v[6:7], v[4:5], 0, 1
	s_waitcnt vmcnt(0) lgkmcnt(0)
	v_lshl_add_u64 v[8:9], v[52:53], 0, 8
	v_cmp_lt_u64_e32 vcc, v[8:9], v[6:7]
	s_and_saveexec_b64 s[34:35], vcc
	s_cbranch_execz .LBB16_135
; %bb.124:                              ;   in Loop: Header=BB16_55 Depth=1
	s_sleep 1
	flat_load_dwordx2 v[52:53], v[48:49] sc1
	v_cmp_eq_u32_e32 vcc, 0, v17
	s_and_saveexec_b64 s[36:37], vcc
	s_cbranch_execz .LBB16_134
; %bb.125:                              ;   in Loop: Header=BB16_55 Depth=1
	v_cndmask_b32_e64 v5, 0, 1, vcc
	s_mov_b64 s[38:39], 0
                                        ; implicit-def: $sgpr40_sgpr41
	s_branch .LBB16_129
.LBB16_126:                             ;   in Loop: Header=BB16_129 Depth=2
	s_or_b64 exec, exec, s[48:49]
	s_orn2_b64 s[46:47], s[46:47], exec
.LBB16_127:                             ;   in Loop: Header=BB16_129 Depth=2
	s_or_b64 exec, exec, s[44:45]
	s_xor_b64 vcc, s[46:47], -1
	s_andn2_b64 s[40:41], s[40:41], exec
	s_and_b64 vcc, vcc, exec
	s_or_b64 s[40:41], s[40:41], vcc
.LBB16_128:                             ;   in Loop: Header=BB16_129 Depth=2
	s_or_b64 exec, exec, s[42:43]
	s_and_b64 vcc, exec, s[40:41]
	s_or_b64 s[38:39], vcc, s[38:39]
	s_andn2_b64 exec, exec, s[38:39]
	s_cbranch_execz .LBB16_133
.LBB16_129:                             ;   Parent Loop BB16_55 Depth=1
                                        ; =>  This Inner Loop Header: Depth=2
	s_waitcnt vmcnt(0) lgkmcnt(0)
	v_lshl_add_u64 v[8:9], v[52:53], 0, 8
	v_cmp_lt_u64_e32 vcc, v[8:9], v[6:7]
	v_mov_b32_e32 v17, 0
	s_or_b64 s[40:41], s[40:41], exec
	s_and_saveexec_b64 s[42:43], vcc
	s_cbranch_execz .LBB16_128
; %bb.130:                              ;   in Loop: Header=BB16_129 Depth=2
	s_sleep 1
	flat_load_dwordx2 v[52:53], v[48:49] sc1
	v_add_u32_e32 v5, 1, v5
	v_cmp_eq_u32_e32 vcc, s52, v5
	s_mov_b64 s[46:47], -1
	v_mov_b32_e32 v17, 0
	s_and_saveexec_b64 s[44:45], vcc
	s_cbranch_execz .LBB16_127
; %bb.131:                              ;   in Loop: Header=BB16_129 Depth=2
	s_trap 2
	ds_read_b64 v[8:9], v0
	v_mov_b32_e32 v5, 0
	v_mov_b32_e32 v17, 0
	s_waitcnt vmcnt(0) lgkmcnt(0)
	flat_load_dword v8, v[8:9] sc0 sc1
	s_waitcnt vmcnt(0) lgkmcnt(0)
	buffer_inv sc0 sc1
	v_cmp_ne_u32_e32 vcc, 0, v8
	s_and_saveexec_b64 s[48:49], vcc
	s_cbranch_execz .LBB16_126
; %bb.132:                              ;   in Loop: Header=BB16_129 Depth=2
	v_mov_b32_e32 v17, 1
	s_xor_b64 s[46:47], exec, -1
	ds_write_b32 v0, v8
	s_trap 2
	s_branch .LBB16_126
.LBB16_133:                             ;   in Loop: Header=BB16_55 Depth=1
	s_or_b64 exec, exec, s[38:39]
.LBB16_134:                             ;   in Loop: Header=BB16_55 Depth=1
	s_or_b64 exec, exec, s[36:37]
.LBB16_135:                             ;   in Loop: Header=BB16_55 Depth=1
	s_or_b64 exec, exec, s[34:35]
	s_and_saveexec_b64 s[34:35], s[4:5]
	s_cbranch_execz .LBB16_137
; %bb.136:                              ;   in Loop: Header=BB16_55 Depth=1
	v_and_b32_e32 v40, 0x7ffffff8, v4
	v_cmp_eq_u64_e32 vcc, s[30:31], v[40:41]
	v_accvgpr_read_b32 v5, a38
	v_and_b32_e32 v4, 7, v4
	v_cndmask_b32_e32 v5, v5, v62, vcc
	v_lshlrev_b32_e32 v8, 4, v5
	v_ashrrev_i32_e32 v9, 31, v8
	v_mad_u64_u32 v[4:5], vcc, v4, 24, v[2:3]
	flat_store_dwordx2 v[4:5], v[8:9] offset:8 sc0 sc1
	s_waitcnt vmcnt(0)
.LBB16_137:                             ;   in Loop: Header=BB16_55 Depth=1
	s_or_b64 exec, exec, s[34:35]
	v_mov_b64_e32 v[4:5], v[6:7]
.LBB16_138:                             ;   in Loop: Header=BB16_55 Depth=1
	s_or_b64 exec, exec, s[12:13]
	s_and_saveexec_b64 s[12:13], s[6:7]
	s_cbranch_execz .LBB16_157
; %bb.139:                              ;   in Loop: Header=BB16_55 Depth=1
	s_and_saveexec_b64 vcc, s[24:25]
	s_xor_b64 s[34:35], exec, vcc
	s_cbranch_execz .LBB16_154
; %bb.140:                              ;   in Loop: Header=BB16_55 Depth=1
	s_and_saveexec_b64 s[36:37], s[8:9]
	s_cbranch_execz .LBB16_153
; %bb.141:                              ;   in Loop: Header=BB16_55 Depth=1
	s_mov_b64 s[40:41], exec
	v_mbcnt_lo_u32_b32 v6, s40, 0
	v_mbcnt_hi_u32_b32 v6, s41, v6
	v_cmp_eq_u32_e32 vcc, 0, v6
	s_waitcnt lgkmcnt(0)
	s_and_saveexec_b64 s[38:39], vcc
	s_cbranch_execz .LBB16_143
; %bb.142:                              ;   in Loop: Header=BB16_55 Depth=1
	s_bcnt1_i32_b64 vcc_lo, s[40:41]
	v_mov_b32_e32 v40, vcc_lo
	ds_add_u64 v0, v[40:41]
	s_trap 2
.LBB16_143:                             ;   in Loop: Header=BB16_55 Depth=1
	s_or_b64 exec, exec, s[38:39]
	s_trap 2
	ds_read_b64 v[6:7], v0
	v_accvgpr_read_b32 v8, a20
	v_accvgpr_read_b32 v9, a21
	v_lshl_add_u64 v[50:51], v[50:51], 0, v[8:9]
	s_waitcnt lgkmcnt(0)
	v_cmp_lt_u64_e32 vcc, v[6:7], v[50:51]
	s_and_saveexec_b64 s[38:39], vcc
	s_cbranch_execz .LBB16_152
; %bb.144:                              ;   in Loop: Header=BB16_55 Depth=1
	s_mov_b32 s53, 0
	s_mov_b64 s[40:41], 0
                                        ; implicit-def: $sgpr42_sgpr43
                                        ; implicit-def: $sgpr44_sgpr45
	s_branch .LBB16_146
.LBB16_145:                             ;   in Loop: Header=BB16_146 Depth=2
	s_or_b64 exec, exec, s[48:49]
	s_and_b64 vcc, exec, vcc
	s_or_b64 s[40:41], vcc, s[40:41]
	s_andn2_b64 vcc, s[42:43], exec
	s_and_b64 s[42:43], s[44:45], exec
	s_or_b64 s[42:43], vcc, s[42:43]
	s_andn2_b64 exec, exec, s[40:41]
	s_cbranch_execz .LBB16_150
.LBB16_146:                             ;   Parent Loop BB16_55 Depth=1
                                        ; =>  This Inner Loop Header: Depth=2
	s_add_i32 s53, s53, 1
	s_cmpk_lg_i32 s53, 0x2710
	s_cselect_b64 s[46:47], -1, 0
	s_and_b64 vcc, exec, s[46:47]
                                        ; implicit-def: $sgpr48_sgpr49
	s_cbranch_vccnz .LBB16_148
; %bb.147:                              ;   in Loop: Header=BB16_146 Depth=2
	s_trap 2
	ds_read_b64 v[6:7], v0
	s_andn2_b64 s[46:47], s[46:47], exec
	s_mov_b32 s53, 0
	s_mov_b64 s[48:49], -1
	s_waitcnt vmcnt(0) lgkmcnt(0)
	flat_load_dword v6, v[6:7] sc0 sc1
	s_waitcnt vmcnt(0) lgkmcnt(0)
	buffer_inv sc0 sc1
	v_cmp_eq_u32_e32 vcc, 0, v6
	s_and_b64 vcc, vcc, exec
	s_or_b64 s[46:47], s[46:47], vcc
.LBB16_148:                             ;   in Loop: Header=BB16_146 Depth=2
	s_andn2_b64 s[44:45], s[44:45], exec
	s_and_b64 s[48:49], s[48:49], exec
	s_mov_b64 vcc, -1
	s_or_b64 s[44:45], s[44:45], s[48:49]
	s_and_saveexec_b64 s[48:49], s[46:47]
	s_cbranch_execz .LBB16_145
; %bb.149:                              ;   in Loop: Header=BB16_146 Depth=2
	s_sleep 1
	s_trap 2
	ds_read_b64 v[6:7], v0
	s_andn2_b64 s[44:45], s[44:45], exec
	s_waitcnt lgkmcnt(0)
	v_cmp_ge_u64_e32 vcc, v[6:7], v[50:51]
	s_orn2_b64 vcc, vcc, exec
	s_branch .LBB16_145
.LBB16_150:                             ;   in Loop: Header=BB16_55 Depth=1
	s_or_b64 exec, exec, s[40:41]
	s_and_saveexec_b64 vcc, s[42:43]
	s_xor_b64 vcc, exec, vcc
	s_cbranch_execz .LBB16_152
; %bb.151:                              ;   in Loop: Header=BB16_55 Depth=1
	v_mov_b32_e32 v6, 1
	ds_write_b32 v0, v6
	s_trap 2
.LBB16_152:                             ;   in Loop: Header=BB16_55 Depth=1
	s_or_b64 exec, exec, s[38:39]
	;;#ASMSTART
	s_wakeup
	;;#ASMEND
.LBB16_153:                             ;   in Loop: Header=BB16_55 Depth=1
	s_or_b64 exec, exec, s[36:37]
.LBB16_154:                             ;   in Loop: Header=BB16_55 Depth=1
	s_andn2_saveexec_b64 vcc, s[34:35]
	s_cbranch_execz .LBB16_156
; %bb.155:                              ;   in Loop: Header=BB16_55 Depth=1
	s_waitcnt lgkmcnt(0)
	s_barrier
.LBB16_156:                             ;   in Loop: Header=BB16_55 Depth=1
	s_or_b64 exec, exec, vcc
.LBB16_157:                             ;   in Loop: Header=BB16_55 Depth=1
	s_or_b64 exec, exec, s[12:13]
	v_sub_u32_e32 v20, v1, v20
	v_cmp_lt_i32_e32 vcc, 0, v20
	v_and_b32_e32 v7, 7, v58
	v_mov_b32_e32 v6, v0
	s_and_saveexec_b64 s[12:13], vcc
	s_cbranch_execz .LBB16_165
; %bb.158:                              ;   in Loop: Header=BB16_55 Depth=1
	v_mul_lo_u32 v10, v7, v62
	v_accvgpr_read_b32 v12, a32
	v_ashrrev_i32_e32 v11, 31, v10
	v_accvgpr_read_b32 v13, a33
	v_mov_b32_e32 v8, v41
	v_mov_b32_e32 v9, v58
	v_lshl_add_u64 v[10:11], v[10:11], 4, v[12:13]
	v_accvgpr_read_b32 v12, a28
	v_lshl_add_u64 v[8:9], v[8:9], 0, s[26:27]
	s_mov_b64 s[34:35], 0
	v_accvgpr_read_b32 v21, a30
	v_accvgpr_read_b32 v13, a29
	v_mov_b32_e32 v6, v0
	s_branch .LBB16_160
.LBB16_159:                             ;   in Loop: Header=BB16_160 Depth=2
	s_or_b64 exec, exec, s[36:37]
	s_waitcnt vmcnt(0)
	v_alignbit_b32 v14, v30, v26, v21
	v_alignbit_b32 v15, v31, v30, v21
	v_sub_u32_e32 v20, v20, v56
	v_or_b32_e32 v44, v8, v14
	v_or_b32_e32 v46, v8, v15
	v_mov_b32_e32 v45, v9
	v_mov_b32_e32 v47, v9
	v_cmp_gt_i32_e32 vcc, 1, v20
	global_store_dwordx4 v[10:11], v[44:47], off
	v_add_u32_e32 v6, v6, v16
	v_lshl_add_u64 v[12:13], v[12:13], 0, v[56:57]
	v_add_u32_e32 v21, v21, v27
	s_or_b64 s[34:35], vcc, s[34:35]
	v_lshl_add_u64 v[10:11], v[10:11], 0, v[24:25]
	s_andn2_b64 exec, exec, s[34:35]
	s_cbranch_execz .LBB16_164
.LBB16_160:                             ;   Parent Loop BB16_55 Depth=1
                                        ; =>  This Inner Loop Header: Depth=2
	v_and_b32_e32 v14, -4, v12
	v_mov_b32_e32 v15, v13
	global_load_dword v26, v[14:15], off nt
	v_min_u32_e32 v40, 8, v20
	v_and_b32_e32 v30, 3, v12
	v_mov_b32_e32 v31, 0
	v_lshl_add_u64 v[54:55], v[30:31], 0, v[40:41]
	v_cmp_lt_u64_e32 vcc, 4, v[54:55]
	v_mov_b32_e32 v30, 0
	s_and_saveexec_b64 s[36:37], vcc
	s_cbranch_execz .LBB16_162
; %bb.161:                              ;   in Loop: Header=BB16_160 Depth=2
	global_load_dword v30, v[14:15], off offset:4 nt
.LBB16_162:                             ;   in Loop: Header=BB16_160 Depth=2
	s_or_b64 exec, exec, s[36:37]
	v_cmp_lt_u64_e32 vcc, 8, v[54:55]
	s_and_saveexec_b64 s[36:37], vcc
	s_cbranch_execz .LBB16_159
; %bb.163:                              ;   in Loop: Header=BB16_160 Depth=2
	global_load_dword v31, v[14:15], off offset:8 nt
	s_branch .LBB16_159
.LBB16_164:                             ;   in Loop: Header=BB16_55 Depth=1
	s_or_b64 exec, exec, s[34:35]
.LBB16_165:                             ;   in Loop: Header=BB16_55 Depth=1
	s_or_b64 exec, exec, s[12:13]
	v_and_b32_e32 v40, 0x7ffffff8, v58
	v_cmp_eq_u64_e32 vcc, s[30:31], v[40:41]
	v_cmp_gt_i32_e64 s[12:13], v62, v6
	s_and_b64 vcc, vcc, s[12:13]
	s_mov_b64 s[12:13], exec
	v_accvgpr_read_b32 v20, a22
	s_and_b64 vcc, s[12:13], vcc
	v_accvgpr_read_b32 v21, a23
	s_mov_b64 exec, vcc
	s_cbranch_execz .LBB16_168
; %bb.166:                              ;   in Loop: Header=BB16_55 Depth=1
	v_mul_lo_u32 v8, v7, v62
	v_ashrrev_i32_e32 v9, 31, v8
	v_ashrrev_i32_e32 v7, 31, v6
	v_lshlrev_b64 v[8:9], 4, v[8:9]
	v_mov_b32_e32 v10, v41
	v_mov_b32_e32 v11, v58
	v_lshl_add_u64 v[8:9], v[6:7], 4, v[8:9]
	v_lshl_add_u64 v[12:13], v[10:11], 0, s[26:27]
	;; [unrolled: 1-line block ×3, first 2 shown]
	s_mov_b64 s[34:35], 0
.LBB16_167:                             ;   Parent Loop BB16_55 Depth=1
                                        ; =>  This Inner Loop Header: Depth=2
	v_add_u32_e32 v6, v6, v16
	v_mov_b32_e32 v14, v12
	v_mov_b32_e32 v15, v13
	v_cmp_ge_i32_e32 vcc, v6, v62
	global_store_dwordx4 v[8:9], v[12:15], off
	s_or_b64 s[34:35], vcc, s[34:35]
	v_lshl_add_u64 v[8:9], v[8:9], 0, v[24:25]
	s_andn2_b64 exec, exec, s[34:35]
	s_cbranch_execnz .LBB16_167
.LBB16_168:                             ;   in Loop: Header=BB16_55 Depth=1
	s_or_b64 exec, exec, s[12:13]
.LBB16_169:                             ;   in Loop: Header=BB16_55 Depth=1
	s_or_b64 exec, exec, s[14:15]
	v_lshl_add_u64 v[30:31], v[58:59], 0, 1
	s_andn2_b64 vcc, exec, s[28:29]
	v_sub_u32_e32 v26, v1, v20
	s_cbranch_vccnz .LBB16_171
; %bb.170:                              ;   in Loop: Header=BB16_55 Depth=1
	v_sub_u32_e32 v1, v1, v20
	s_cbranch_execz .LBB16_172
	s_branch .LBB16_269
.LBB16_171:                             ;   in Loop: Header=BB16_55 Depth=1
                                        ; implicit-def: $vgpr1
.LBB16_172:                             ;   in Loop: Header=BB16_55 Depth=1
	v_accvgpr_read_b32 v6, a24
	v_accvgpr_read_b32 v8, a36
	v_accvgpr_read_b32 v7, a25
	v_accvgpr_read_b32 v9, a37
	v_cmp_lt_i32_e64 s[12:13], 0, v26
	v_lshl_add_u64 v[44:45], v[6:7], 0, v[8:9]
	v_add_u16_e32 v21, 1, v58
	s_mov_b32 s53, 1
.LBB16_173:                             ;   Parent Loop BB16_55 Depth=1
                                        ; =>  This Loop Header: Depth=2
                                        ;       Child Loop BB16_190 Depth 3
                                        ;       Child Loop BB16_206 Depth 3
	;; [unrolled: 1-line block ×3, first 2 shown]
                                        ;         Child Loop BB16_223 Depth 4
                                        ;       Child Loop BB16_257 Depth 3
                                        ;       Child Loop BB16_181 Depth 3
	s_sub_i32 s14, s50, s53
	s_ashr_i32 s15, s14, 31
	s_lshl_b64 s[14:15], s[14:15], 2
	v_lshl_add_u64 v[6:7], v[18:19], 0, s[14:15]
	s_waitcnt vmcnt(0) lgkmcnt(0)
	flat_load_dword v1, v[6:7]
	s_and_saveexec_b64 s[14:15], s[2:3]
	s_cbranch_execnz .LBB16_184
; %bb.174:                              ;   in Loop: Header=BB16_173 Depth=2
	s_or_b64 exec, exec, s[14:15]
	s_and_saveexec_b64 s[14:15], s[6:7]
	s_cbranch_execnz .LBB16_199
.LBB16_175:                             ;   in Loop: Header=BB16_173 Depth=2
	s_or_b64 exec, exec, s[14:15]
	v_mov_b32_e32 v46, v0
	s_and_saveexec_b64 s[34:35], s[12:13]
	s_cbranch_execnz .LBB16_217
.LBB16_176:                             ;   in Loop: Header=BB16_173 Depth=2
	s_or_b64 exec, exec, s[34:35]
	s_and_saveexec_b64 s[14:15], s[6:7]
	s_cbranch_execnz .LBB16_250
.LBB16_177:                             ;   in Loop: Header=BB16_173 Depth=2
	s_or_b64 exec, exec, s[14:15]
	s_and_saveexec_b64 s[14:15], s[10:11]
	s_cbranch_execz .LBB16_179
.LBB16_178:                             ;   in Loop: Header=BB16_173 Depth=2
	v_lshl_add_u64 v[36:37], v[36:37], 0, 1
	flat_store_dwordx2 v[38:39], v[36:37] sc0 sc1
.LBB16_179:                             ;   in Loop: Header=BB16_173 Depth=2
	s_or_b64 exec, exec, s[14:15]
	v_and_b32_e32 v40, 0x7ffffff8, v30
	v_cmp_eq_u64_e32 vcc, s[30:31], v[40:41]
	v_cmp_gt_i32_e64 s[14:15], v62, v46
	s_and_b64 vcc, vcc, s[14:15]
	s_and_saveexec_b64 s[14:15], vcc
	s_cbranch_execz .LBB16_182
; %bb.180:                              ;   in Loop: Header=BB16_173 Depth=2
	s_waitcnt vmcnt(0) lgkmcnt(0)
	v_and_b32_e32 v1, 7, v21
	v_mul_lo_u32 v6, v62, v1
	v_ashrrev_i32_e32 v7, 31, v6
	v_lshlrev_b64 v[6:7], 4, v[6:7]
	v_ashrrev_i32_e32 v47, 31, v46
	v_mov_b32_e32 v8, v41
	v_mov_b32_e32 v9, v30
	v_lshl_add_u64 v[6:7], v[46:47], 4, v[6:7]
	v_lshl_add_u64 v[12:13], v[8:9], 0, s[26:27]
	;; [unrolled: 1-line block ×3, first 2 shown]
	s_mov_b64 s[34:35], 0
.LBB16_181:                             ;   Parent Loop BB16_55 Depth=1
                                        ;     Parent Loop BB16_173 Depth=2
                                        ; =>    This Inner Loop Header: Depth=3
	v_add_u32_e32 v46, v46, v16
	v_mov_b32_e32 v14, v12
	v_mov_b32_e32 v15, v13
	v_cmp_ge_i32_e32 vcc, v46, v62
	global_store_dwordx4 v[6:7], v[12:15], off
	s_or_b64 s[34:35], vcc, s[34:35]
	v_lshl_add_u64 v[6:7], v[6:7], 0, v[24:25]
	s_andn2_b64 exec, exec, s[34:35]
	s_cbranch_execnz .LBB16_181
.LBB16_182:                             ;   in Loop: Header=BB16_173 Depth=2
	s_or_b64 exec, exec, s[14:15]
	s_add_i32 s14, s53, 1
	v_lshl_add_u64 v[32:33], v[32:33], 0, 1
	v_lshl_add_u64 v[30:31], v[30:31], 0, 1
	s_cmp_eq_u32 s53, s51
	v_add_u16_e32 v21, 1, v21
	s_cbranch_scc1 .LBB16_268
; %bb.183:                              ;   in Loop: Header=BB16_173 Depth=2
	s_mov_b32 s53, s14
	s_branch .LBB16_173
.LBB16_184:                             ;   in Loop: Header=BB16_173 Depth=2
	v_lshl_add_u64 v[6:7], v[4:5], 0, 1
	s_waitcnt vmcnt(0) lgkmcnt(0)
	v_lshl_add_u64 v[8:9], v[52:53], 0, 8
	v_cmp_lt_u64_e32 vcc, v[8:9], v[6:7]
	s_and_saveexec_b64 s[34:35], vcc
	s_cbranch_execz .LBB16_196
; %bb.185:                              ;   in Loop: Header=BB16_173 Depth=2
	s_sleep 1
	flat_load_dwordx2 v[52:53], v[48:49] sc1
	v_cmp_eq_u32_e32 vcc, 0, v17
	s_and_saveexec_b64 s[36:37], vcc
	s_cbranch_execz .LBB16_195
; %bb.186:                              ;   in Loop: Header=BB16_173 Depth=2
	v_cndmask_b32_e64 v5, 0, 1, vcc
	s_mov_b64 s[38:39], 0
                                        ; implicit-def: $sgpr40_sgpr41
	s_branch .LBB16_190
.LBB16_187:                             ;   in Loop: Header=BB16_190 Depth=3
	s_or_b64 exec, exec, s[48:49]
	s_orn2_b64 s[46:47], s[46:47], exec
.LBB16_188:                             ;   in Loop: Header=BB16_190 Depth=3
	s_or_b64 exec, exec, s[44:45]
	s_xor_b64 vcc, s[46:47], -1
	s_andn2_b64 s[40:41], s[40:41], exec
	s_and_b64 vcc, vcc, exec
	s_or_b64 s[40:41], s[40:41], vcc
.LBB16_189:                             ;   in Loop: Header=BB16_190 Depth=3
	s_or_b64 exec, exec, s[42:43]
	s_and_b64 vcc, exec, s[40:41]
	s_or_b64 s[38:39], vcc, s[38:39]
	s_andn2_b64 exec, exec, s[38:39]
	s_cbranch_execz .LBB16_194
.LBB16_190:                             ;   Parent Loop BB16_55 Depth=1
                                        ;     Parent Loop BB16_173 Depth=2
                                        ; =>    This Inner Loop Header: Depth=3
	s_waitcnt vmcnt(0) lgkmcnt(0)
	v_lshl_add_u64 v[8:9], v[52:53], 0, 8
	v_cmp_lt_u64_e32 vcc, v[8:9], v[6:7]
	v_mov_b32_e32 v17, 0
	s_or_b64 s[40:41], s[40:41], exec
	s_and_saveexec_b64 s[42:43], vcc
	s_cbranch_execz .LBB16_189
; %bb.191:                              ;   in Loop: Header=BB16_190 Depth=3
	s_sleep 1
	flat_load_dwordx2 v[52:53], v[48:49] sc1
	v_add_u32_e32 v5, 1, v5
	v_cmp_eq_u32_e32 vcc, s52, v5
	s_mov_b64 s[46:47], -1
	v_mov_b32_e32 v17, 0
	s_and_saveexec_b64 s[44:45], vcc
	s_cbranch_execz .LBB16_188
; %bb.192:                              ;   in Loop: Header=BB16_190 Depth=3
	s_trap 2
	ds_read_b64 v[8:9], v0
	v_mov_b32_e32 v5, 0
	v_mov_b32_e32 v17, 0
	s_waitcnt vmcnt(0) lgkmcnt(0)
	flat_load_dword v8, v[8:9] sc0 sc1
	s_waitcnt vmcnt(0) lgkmcnt(0)
	buffer_inv sc0 sc1
	v_cmp_ne_u32_e32 vcc, 0, v8
	s_and_saveexec_b64 s[48:49], vcc
	s_cbranch_execz .LBB16_187
; %bb.193:                              ;   in Loop: Header=BB16_190 Depth=3
	v_mov_b32_e32 v17, 1
	s_xor_b64 s[46:47], exec, -1
	ds_write_b32 v0, v8
	s_trap 2
	s_branch .LBB16_187
.LBB16_194:                             ;   in Loop: Header=BB16_173 Depth=2
	s_or_b64 exec, exec, s[38:39]
.LBB16_195:                             ;   in Loop: Header=BB16_173 Depth=2
	s_or_b64 exec, exec, s[36:37]
.LBB16_196:                             ;   in Loop: Header=BB16_173 Depth=2
	s_or_b64 exec, exec, s[34:35]
	s_and_saveexec_b64 s[34:35], s[4:5]
	s_cbranch_execz .LBB16_198
; %bb.197:                              ;   in Loop: Header=BB16_173 Depth=2
	v_and_b32_e32 v40, 0x7ffffff8, v4
	v_cmp_eq_u64_e32 vcc, s[30:31], v[40:41]
	v_accvgpr_read_b32 v5, a38
	v_and_b32_e32 v4, 7, v4
	v_cndmask_b32_e32 v5, v5, v62, vcc
	v_lshlrev_b32_e32 v8, 4, v5
	v_ashrrev_i32_e32 v9, 31, v8
	v_mad_u64_u32 v[4:5], vcc, v4, 24, v[2:3]
	flat_store_dwordx2 v[4:5], v[8:9] offset:8 sc0 sc1
	s_waitcnt vmcnt(0)
.LBB16_198:                             ;   in Loop: Header=BB16_173 Depth=2
	s_or_b64 exec, exec, s[34:35]
	v_mov_b64_e32 v[4:5], v[6:7]
	s_or_b64 exec, exec, s[14:15]
	s_and_saveexec_b64 s[14:15], s[6:7]
	s_cbranch_execz .LBB16_175
.LBB16_199:                             ;   in Loop: Header=BB16_173 Depth=2
	s_and_saveexec_b64 vcc, s[24:25]
	s_xor_b64 s[34:35], exec, vcc
	s_cbranch_execz .LBB16_214
; %bb.200:                              ;   in Loop: Header=BB16_173 Depth=2
	s_and_saveexec_b64 s[36:37], s[8:9]
	s_cbranch_execz .LBB16_213
; %bb.201:                              ;   in Loop: Header=BB16_173 Depth=2
	s_mov_b64 s[40:41], exec
	v_mbcnt_lo_u32_b32 v6, s40, 0
	v_mbcnt_hi_u32_b32 v6, s41, v6
	v_cmp_eq_u32_e32 vcc, 0, v6
	s_waitcnt lgkmcnt(0)
	s_and_saveexec_b64 s[38:39], vcc
	s_cbranch_execz .LBB16_203
; %bb.202:                              ;   in Loop: Header=BB16_173 Depth=2
	s_bcnt1_i32_b64 vcc_lo, s[40:41]
	v_mov_b32_e32 v40, vcc_lo
	ds_add_u64 v0, v[40:41]
	s_trap 2
.LBB16_203:                             ;   in Loop: Header=BB16_173 Depth=2
	s_or_b64 exec, exec, s[38:39]
	s_trap 2
	ds_read_b64 v[6:7], v0
	v_accvgpr_read_b32 v8, a20
	v_accvgpr_read_b32 v9, a21
	v_lshl_add_u64 v[50:51], v[50:51], 0, v[8:9]
	s_waitcnt lgkmcnt(0)
	v_cmp_lt_u64_e32 vcc, v[6:7], v[50:51]
	s_and_saveexec_b64 s[38:39], vcc
	s_cbranch_execz .LBB16_212
; %bb.204:                              ;   in Loop: Header=BB16_173 Depth=2
	s_mov_b32 s54, 0
	s_mov_b64 s[40:41], 0
                                        ; implicit-def: $sgpr42_sgpr43
                                        ; implicit-def: $sgpr44_sgpr45
	s_branch .LBB16_206
.LBB16_205:                             ;   in Loop: Header=BB16_206 Depth=3
	s_or_b64 exec, exec, s[48:49]
	s_and_b64 vcc, exec, vcc
	s_or_b64 s[40:41], vcc, s[40:41]
	s_andn2_b64 vcc, s[42:43], exec
	s_and_b64 s[42:43], s[44:45], exec
	s_or_b64 s[42:43], vcc, s[42:43]
	s_andn2_b64 exec, exec, s[40:41]
	s_cbranch_execz .LBB16_210
.LBB16_206:                             ;   Parent Loop BB16_55 Depth=1
                                        ;     Parent Loop BB16_173 Depth=2
                                        ; =>    This Inner Loop Header: Depth=3
	s_add_i32 s54, s54, 1
	s_cmpk_lg_i32 s54, 0x2710
	s_cselect_b64 s[46:47], -1, 0
	s_and_b64 vcc, exec, s[46:47]
                                        ; implicit-def: $sgpr48_sgpr49
	s_cbranch_vccnz .LBB16_208
; %bb.207:                              ;   in Loop: Header=BB16_206 Depth=3
	s_trap 2
	ds_read_b64 v[6:7], v0
	s_andn2_b64 s[46:47], s[46:47], exec
	s_mov_b32 s54, 0
	s_mov_b64 s[48:49], -1
	s_waitcnt vmcnt(0) lgkmcnt(0)
	flat_load_dword v6, v[6:7] sc0 sc1
	s_waitcnt vmcnt(0) lgkmcnt(0)
	buffer_inv sc0 sc1
	v_cmp_eq_u32_e32 vcc, 0, v6
	s_and_b64 vcc, vcc, exec
	s_or_b64 s[46:47], s[46:47], vcc
.LBB16_208:                             ;   in Loop: Header=BB16_206 Depth=3
	s_andn2_b64 s[44:45], s[44:45], exec
	s_and_b64 s[48:49], s[48:49], exec
	s_mov_b64 vcc, -1
	s_or_b64 s[44:45], s[44:45], s[48:49]
	s_and_saveexec_b64 s[48:49], s[46:47]
	s_cbranch_execz .LBB16_205
; %bb.209:                              ;   in Loop: Header=BB16_206 Depth=3
	s_sleep 1
	s_trap 2
	ds_read_b64 v[6:7], v0
	s_andn2_b64 s[44:45], s[44:45], exec
	s_waitcnt lgkmcnt(0)
	v_cmp_ge_u64_e32 vcc, v[6:7], v[50:51]
	s_orn2_b64 vcc, vcc, exec
	s_branch .LBB16_205
.LBB16_210:                             ;   in Loop: Header=BB16_173 Depth=2
	s_or_b64 exec, exec, s[40:41]
	s_and_saveexec_b64 vcc, s[42:43]
	s_xor_b64 vcc, exec, vcc
	s_cbranch_execz .LBB16_212
; %bb.211:                              ;   in Loop: Header=BB16_173 Depth=2
	v_mov_b32_e32 v6, 1
	ds_write_b32 v0, v6
	s_trap 2
.LBB16_212:                             ;   in Loop: Header=BB16_173 Depth=2
	s_or_b64 exec, exec, s[38:39]
	;;#ASMSTART
	s_wakeup
	;;#ASMEND
.LBB16_213:                             ;   in Loop: Header=BB16_173 Depth=2
	s_or_b64 exec, exec, s[36:37]
.LBB16_214:                             ;   in Loop: Header=BB16_173 Depth=2
	s_andn2_saveexec_b64 vcc, s[34:35]
	s_cbranch_execz .LBB16_216
; %bb.215:                              ;   in Loop: Header=BB16_173 Depth=2
	s_waitcnt lgkmcnt(0)
	s_barrier
.LBB16_216:                             ;   in Loop: Header=BB16_173 Depth=2
	s_or_b64 exec, exec, vcc
	s_or_b64 exec, exec, s[14:15]
	v_mov_b32_e32 v46, v0
	s_and_saveexec_b64 s[34:35], s[12:13]
	s_cbranch_execz .LBB16_176
.LBB16_217:                             ;   in Loop: Header=BB16_173 Depth=2
	s_waitcnt vmcnt(0) lgkmcnt(0)
	v_ashrrev_i32_e32 v6, 31, v1
	v_mad_u64_u32 v[8:9], s[14:15], v22, v1, v[44:45]
	v_mul_lo_u32 v1, v23, v1
	v_mul_lo_u32 v6, v22, v6
	v_add3_u32 v9, v1, v9, v6
	v_and_b32_e32 v1, 7, v32
	v_mul_lo_u32 v6, v1, v62
	v_accvgpr_read_b32 v10, a14
	v_ashrrev_i32_e32 v7, 31, v6
	v_accvgpr_read_b32 v11, a15
	v_and_b32_e32 v1, 7, v30
	v_lshl_add_u64 v[10:11], v[6:7], 4, v[10:11]
	v_mul_lo_u32 v6, v1, v62
	v_ashrrev_i32_e32 v7, 31, v6
	v_lshl_add_u64 v[54:55], v[6:7], 4, v[34:35]
	v_mov_b32_e32 v6, v41
	v_mov_b32_e32 v7, v30
	v_add_u32_e32 v40, 1, v32
	v_lshl_add_u64 v[6:7], v[6:7], 0, s[26:27]
	s_mov_b64 s[36:37], 0
	v_mov_b32_e32 v20, v26
	v_mov_b32_e32 v46, v0
	s_branch .LBB16_219
.LBB16_218:                             ;   in Loop: Header=BB16_219 Depth=3
	v_sub_u32_e32 v20, v20, v56
	v_cmp_gt_i32_e32 vcc, 1, v20
	v_lshl_add_u64 v[8:9], v[8:9], 0, v[56:57]
	s_or_b64 s[36:37], vcc, s[36:37]
	v_add_u32_e32 v46, v46, v16
	s_andn2_b64 exec, exec, s[36:37]
	s_cbranch_execz .LBB16_249
.LBB16_219:                             ;   Parent Loop BB16_55 Depth=1
                                        ;     Parent Loop BB16_173 Depth=2
                                        ; =>    This Loop Header: Depth=3
                                        ;         Child Loop BB16_223 Depth 4
	v_ashrrev_i32_e32 v47, 31, v46
	v_lshl_add_u64 v[58:59], v[46:47], 4, v[10:11]
	global_load_dwordx4 v[12:15], v[58:59], off nt
	v_cmp_eq_u32_e32 vcc, 0, v17
	s_and_saveexec_b64 s[38:39], vcc
	s_cbranch_execz .LBB16_231
; %bb.220:                              ;   in Loop: Header=BB16_219 Depth=3
	s_waitcnt vmcnt(0)
	v_cmp_ne_u32_e32 vcc, v40, v13
	v_cmp_ne_u32_e64 s[14:15], v40, v15
	s_or_b64 s[14:15], vcc, s[14:15]
	v_mov_b32_e32 v17, 0
	s_and_saveexec_b64 s[40:41], s[14:15]
	s_cbranch_execz .LBB16_230
; %bb.221:                              ;   in Loop: Header=BB16_219 Depth=3
	s_mov_b32 s46, 1
	s_mov_b64 s[42:43], 0
	v_mov_b32_e32 v17, 0
	s_branch .LBB16_223
.LBB16_222:                             ;   in Loop: Header=BB16_223 Depth=4
	s_or_b64 exec, exec, s[44:45]
	s_and_b64 s[14:15], exec, s[14:15]
	s_or_b64 s[42:43], s[14:15], s[42:43]
	s_andn2_b64 exec, exec, s[42:43]
	s_cbranch_execz .LBB16_229
.LBB16_223:                             ;   Parent Loop BB16_55 Depth=1
                                        ;     Parent Loop BB16_173 Depth=2
                                        ;       Parent Loop BB16_219 Depth=3
                                        ; =>      This Inner Loop Header: Depth=4
	global_load_dwordx4 v[12:15], v[58:59], off nt
	s_add_i32 s46, s46, 1
	s_cmpk_lg_i32 s46, 0x2710
	s_cbranch_scc1 .LBB16_227
; %bb.224:                              ;   in Loop: Header=BB16_223 Depth=4
	s_trap 2
	ds_read_b64 v[60:61], v0
	s_waitcnt vmcnt(0) lgkmcnt(0)
	flat_load_dword v1, v[60:61] sc0 sc1
	s_waitcnt vmcnt(0) lgkmcnt(0)
	buffer_inv sc0 sc1
	v_cmp_ne_u32_e32 vcc, 0, v1
	s_and_saveexec_b64 s[14:15], vcc
	s_cbranch_execz .LBB16_226
; %bb.225:                              ;   in Loop: Header=BB16_223 Depth=4
	v_mov_b32_e32 v17, 1
	ds_write_b32 v0, v1
	s_trap 2
.LBB16_226:                             ;   in Loop: Header=BB16_223 Depth=4
	s_or_b64 exec, exec, s[14:15]
	s_mov_b32 s46, 0
	v_mov_b32_e32 v1, v17
	v_cmp_eq_u32_e32 vcc, 0, v1
	s_mov_b64 s[14:15], -1
	s_and_saveexec_b64 s[44:45], vcc
	s_cbranch_execz .LBB16_222
	s_branch .LBB16_228
.LBB16_227:                             ;   in Loop: Header=BB16_223 Depth=4
	v_mov_b32_e32 v1, 0
	v_cmp_eq_u32_e32 vcc, 0, v1
	s_mov_b64 s[14:15], -1
	s_and_saveexec_b64 s[44:45], vcc
	s_cbranch_execz .LBB16_222
.LBB16_228:                             ;   in Loop: Header=BB16_223 Depth=4
	s_waitcnt vmcnt(0)
	v_cmp_eq_u32_e32 vcc, v40, v13
	v_cmp_eq_u32_e64 s[14:15], v40, v15
	s_and_b64 s[14:15], vcc, s[14:15]
	s_orn2_b64 s[14:15], s[14:15], exec
	s_branch .LBB16_222
.LBB16_229:                             ;   in Loop: Header=BB16_219 Depth=3
	s_or_b64 exec, exec, s[42:43]
.LBB16_230:                             ;   in Loop: Header=BB16_219 Depth=3
	s_or_b64 exec, exec, s[40:41]
.LBB16_231:                             ;   in Loop: Header=BB16_219 Depth=3
	s_or_b64 exec, exec, s[38:39]
	v_cmp_lt_u32_e32 vcc, 7, v20
	v_lshl_add_u64 v[28:29], v[46:47], 4, v[54:55]
	s_waitcnt vmcnt(0)
	v_or_b32_e32 v58, v12, v6
	v_or_b32_e32 v60, v14, v6
	v_mov_b32_e32 v59, v7
	v_mov_b32_e32 v61, v7
	v_cndmask_b32_e64 v13, 0, 1, vcc
	global_store_dwordx4 v[28:29], v[58:61], off
	;;#ASMSTART
	;;#ASMEND
	v_mov_b32_e32 v1, v14
	v_cmp_ne_u32_e64 s[14:15], 0, v13
	s_cmp_lg_u64 s[14:15], exec
	s_mov_b64 s[14:15], -1
	s_cbranch_scc0 .LBB16_241
; %bb.232:                              ;   in Loop: Header=BB16_219 Depth=3
	v_cmp_ne_u32_e64 s[14:15], 1, v20
	flat_store_byte v[8:9], v12
	s_and_saveexec_b64 s[38:39], s[14:15]
	s_cbranch_execnz .LBB16_243
; %bb.233:                              ;   in Loop: Header=BB16_219 Depth=3
	s_or_b64 exec, exec, s[38:39]
	v_cmp_lt_u32_e64 s[14:15], 2, v20
	s_and_saveexec_b64 s[38:39], s[14:15]
	s_cbranch_execnz .LBB16_244
.LBB16_234:                             ;   in Loop: Header=BB16_219 Depth=3
	s_or_b64 exec, exec, s[38:39]
	v_cmp_lt_u32_e64 s[14:15], 3, v20
	s_and_saveexec_b64 s[38:39], s[14:15]
	s_cbranch_execnz .LBB16_245
.LBB16_235:                             ;   in Loop: Header=BB16_219 Depth=3
	s_or_b64 exec, exec, s[38:39]
	v_cmp_lt_u32_e64 s[14:15], 4, v20
	s_and_saveexec_b64 s[38:39], s[14:15]
	s_cbranch_execnz .LBB16_246
.LBB16_236:                             ;   in Loop: Header=BB16_219 Depth=3
	s_or_b64 exec, exec, s[38:39]
	v_cmp_lt_u32_e64 s[14:15], 5, v20
	s_and_saveexec_b64 s[38:39], s[14:15]
	s_cbranch_execnz .LBB16_247
.LBB16_237:                             ;   in Loop: Header=BB16_219 Depth=3
	s_or_b64 exec, exec, s[38:39]
	v_cmp_lt_u32_e64 s[14:15], 6, v20
	s_and_saveexec_b64 s[38:39], s[14:15]
	s_cbranch_execnz .LBB16_248
.LBB16_238:                             ;   in Loop: Header=BB16_219 Depth=3
	s_or_b64 exec, exec, s[38:39]
	s_and_saveexec_b64 s[14:15], vcc
	s_cbranch_execz .LBB16_240
.LBB16_239:                             ;   in Loop: Header=BB16_219 Depth=3
	v_lshrrev_b32_e32 v13, 24, v1
	flat_store_byte v[8:9], v13 offset:7
.LBB16_240:                             ;   in Loop: Header=BB16_219 Depth=3
	s_or_b64 exec, exec, s[14:15]
	s_mov_b64 s[14:15], 0
.LBB16_241:                             ;   in Loop: Header=BB16_219 Depth=3
	s_and_b64 vcc, exec, s[14:15]
	s_cbranch_vccz .LBB16_218
; %bb.242:                              ;   in Loop: Header=BB16_219 Depth=3
	v_or_b32_e32 v13, 0, v1
	global_store_dwordx2 v[8:9], v[12:13], off
	s_branch .LBB16_218
.LBB16_243:                             ;   in Loop: Header=BB16_219 Depth=3
	v_lshrrev_b32_e32 v13, 8, v12
	flat_store_byte v[8:9], v13 offset:1
	s_or_b64 exec, exec, s[38:39]
	v_cmp_lt_u32_e64 s[14:15], 2, v20
	s_and_saveexec_b64 s[38:39], s[14:15]
	s_cbranch_execz .LBB16_234
.LBB16_244:                             ;   in Loop: Header=BB16_219 Depth=3
	flat_store_byte_d16_hi v[8:9], v12 offset:2
	s_or_b64 exec, exec, s[38:39]
	v_cmp_lt_u32_e64 s[14:15], 3, v20
	s_and_saveexec_b64 s[38:39], s[14:15]
	s_cbranch_execz .LBB16_235
.LBB16_245:                             ;   in Loop: Header=BB16_219 Depth=3
	v_lshrrev_b32_e32 v13, 24, v12
	flat_store_byte v[8:9], v13 offset:3
	s_or_b64 exec, exec, s[38:39]
	v_cmp_lt_u32_e64 s[14:15], 4, v20
	s_and_saveexec_b64 s[38:39], s[14:15]
	s_cbranch_execz .LBB16_236
.LBB16_246:                             ;   in Loop: Header=BB16_219 Depth=3
	flat_store_byte v[8:9], v14 offset:4
	s_or_b64 exec, exec, s[38:39]
	v_cmp_lt_u32_e64 s[14:15], 5, v20
	s_and_saveexec_b64 s[38:39], s[14:15]
	s_cbranch_execz .LBB16_237
.LBB16_247:                             ;   in Loop: Header=BB16_219 Depth=3
	v_lshrrev_b32_e32 v13, 8, v1
	flat_store_byte v[8:9], v13 offset:5
	s_or_b64 exec, exec, s[38:39]
	v_cmp_lt_u32_e64 s[14:15], 6, v20
	s_and_saveexec_b64 s[38:39], s[14:15]
	s_cbranch_execz .LBB16_238
.LBB16_248:                             ;   in Loop: Header=BB16_219 Depth=3
	flat_store_byte_d16_hi v[8:9], v1 offset:6
	s_or_b64 exec, exec, s[38:39]
	s_and_saveexec_b64 s[14:15], vcc
	s_cbranch_execnz .LBB16_239
	s_branch .LBB16_240
.LBB16_249:                             ;   in Loop: Header=BB16_173 Depth=2
	s_or_b64 exec, exec, s[36:37]
	s_or_b64 exec, exec, s[34:35]
	s_and_saveexec_b64 s[14:15], s[6:7]
	s_cbranch_execz .LBB16_177
.LBB16_250:                             ;   in Loop: Header=BB16_173 Depth=2
	s_and_saveexec_b64 vcc, s[24:25]
	s_xor_b64 s[34:35], exec, vcc
	s_cbranch_execz .LBB16_265
; %bb.251:                              ;   in Loop: Header=BB16_173 Depth=2
	s_and_saveexec_b64 s[36:37], s[8:9]
	s_cbranch_execz .LBB16_264
; %bb.252:                              ;   in Loop: Header=BB16_173 Depth=2
	s_mov_b64 s[40:41], exec
	s_waitcnt vmcnt(0) lgkmcnt(0)
	v_mbcnt_lo_u32_b32 v1, s40, 0
	v_mbcnt_hi_u32_b32 v1, s41, v1
	v_cmp_eq_u32_e32 vcc, 0, v1
	s_and_saveexec_b64 s[38:39], vcc
	s_cbranch_execz .LBB16_254
; %bb.253:                              ;   in Loop: Header=BB16_173 Depth=2
	s_bcnt1_i32_b64 vcc_lo, s[40:41]
	v_mov_b32_e32 v40, vcc_lo
	ds_add_u64 v0, v[40:41]
	s_trap 2
.LBB16_254:                             ;   in Loop: Header=BB16_173 Depth=2
	s_or_b64 exec, exec, s[38:39]
	s_trap 2
	ds_read_b64 v[6:7], v0
	v_accvgpr_read_b32 v8, a20
	v_accvgpr_read_b32 v9, a21
	v_lshl_add_u64 v[50:51], v[50:51], 0, v[8:9]
	s_waitcnt lgkmcnt(0)
	v_cmp_lt_u64_e32 vcc, v[6:7], v[50:51]
	s_and_saveexec_b64 s[38:39], vcc
	s_cbranch_execz .LBB16_263
; %bb.255:                              ;   in Loop: Header=BB16_173 Depth=2
	s_mov_b32 s54, 0
	s_mov_b64 s[40:41], 0
                                        ; implicit-def: $sgpr42_sgpr43
                                        ; implicit-def: $sgpr44_sgpr45
	s_branch .LBB16_257
.LBB16_256:                             ;   in Loop: Header=BB16_257 Depth=3
	s_or_b64 exec, exec, s[48:49]
	s_and_b64 vcc, exec, vcc
	s_or_b64 s[40:41], vcc, s[40:41]
	s_andn2_b64 vcc, s[42:43], exec
	s_and_b64 s[42:43], s[44:45], exec
	s_or_b64 s[42:43], vcc, s[42:43]
	s_andn2_b64 exec, exec, s[40:41]
	s_cbranch_execz .LBB16_261
.LBB16_257:                             ;   Parent Loop BB16_55 Depth=1
                                        ;     Parent Loop BB16_173 Depth=2
                                        ; =>    This Inner Loop Header: Depth=3
	s_add_i32 s54, s54, 1
	s_cmpk_lg_i32 s54, 0x2710
	s_cselect_b64 s[46:47], -1, 0
	s_and_b64 vcc, exec, s[46:47]
                                        ; implicit-def: $sgpr48_sgpr49
	s_cbranch_vccnz .LBB16_259
; %bb.258:                              ;   in Loop: Header=BB16_257 Depth=3
	s_trap 2
	ds_read_b64 v[6:7], v0
	s_andn2_b64 s[46:47], s[46:47], exec
	s_mov_b32 s54, 0
	s_mov_b64 s[48:49], -1
	s_waitcnt lgkmcnt(0)
	flat_load_dword v1, v[6:7] sc0 sc1
	s_waitcnt vmcnt(0) lgkmcnt(0)
	buffer_inv sc0 sc1
	v_cmp_eq_u32_e32 vcc, 0, v1
	s_and_b64 vcc, vcc, exec
	s_or_b64 s[46:47], s[46:47], vcc
.LBB16_259:                             ;   in Loop: Header=BB16_257 Depth=3
	s_andn2_b64 s[44:45], s[44:45], exec
	s_and_b64 s[48:49], s[48:49], exec
	s_mov_b64 vcc, -1
	s_or_b64 s[44:45], s[44:45], s[48:49]
	s_and_saveexec_b64 s[48:49], s[46:47]
	s_cbranch_execz .LBB16_256
; %bb.260:                              ;   in Loop: Header=BB16_257 Depth=3
	s_sleep 1
	s_trap 2
	ds_read_b64 v[6:7], v0
	s_andn2_b64 s[44:45], s[44:45], exec
	s_waitcnt lgkmcnt(0)
	v_cmp_ge_u64_e32 vcc, v[6:7], v[50:51]
	s_orn2_b64 vcc, vcc, exec
	s_branch .LBB16_256
.LBB16_261:                             ;   in Loop: Header=BB16_173 Depth=2
	s_or_b64 exec, exec, s[40:41]
	s_and_saveexec_b64 vcc, s[42:43]
	s_xor_b64 vcc, exec, vcc
	s_cbranch_execz .LBB16_263
; %bb.262:                              ;   in Loop: Header=BB16_173 Depth=2
	v_mov_b32_e32 v1, 1
	ds_write_b32 v0, v1
	s_trap 2
.LBB16_263:                             ;   in Loop: Header=BB16_173 Depth=2
	s_or_b64 exec, exec, s[38:39]
	;;#ASMSTART
	s_wakeup
	;;#ASMEND
.LBB16_264:                             ;   in Loop: Header=BB16_173 Depth=2
	s_or_b64 exec, exec, s[36:37]
.LBB16_265:                             ;   in Loop: Header=BB16_173 Depth=2
	s_andn2_saveexec_b64 vcc, s[34:35]
	s_cbranch_execz .LBB16_267
; %bb.266:                              ;   in Loop: Header=BB16_173 Depth=2
	s_waitcnt lgkmcnt(0)
	s_barrier
.LBB16_267:                             ;   in Loop: Header=BB16_173 Depth=2
	s_or_b64 exec, exec, vcc
	s_or_b64 exec, exec, s[14:15]
	s_and_saveexec_b64 s[14:15], s[10:11]
	s_cbranch_execnz .LBB16_178
	s_branch .LBB16_179
.LBB16_268:                             ;   in Loop: Header=BB16_55 Depth=1
	v_accvgpr_read_b32 v20, a22
	s_waitcnt vmcnt(0) lgkmcnt(0)
	v_mov_b32_e32 v1, v26
	v_accvgpr_read_b32 v21, a23
.LBB16_269:                             ;   in Loop: Header=BB16_55 Depth=1
	v_mov_b64_e32 v[58:59], v[30:31]
	v_cmp_lt_i32_e32 vcc, 0, v1
	s_and_saveexec_b64 s[14:15], vcc
	s_cbranch_execnz .LBB16_272
; %bb.270:                              ;   in Loop: Header=BB16_55 Depth=1
	s_or_b64 exec, exec, s[14:15]
	s_and_saveexec_b64 s[12:13], s[6:7]
	s_cbranch_execnz .LBB16_305
.LBB16_271:                             ;   in Loop: Header=BB16_55 Depth=1
	s_or_b64 exec, exec, s[12:13]
	s_and_saveexec_b64 s[12:13], s[10:11]
	s_cbranch_execz .LBB16_54
	s_branch .LBB16_323
.LBB16_272:                             ;   in Loop: Header=BB16_55 Depth=1
	flat_load_dword v10, v[18:19] offset:4
	v_accvgpr_read_b32 v6, a6
	v_accvgpr_read_b32 v8, a8
	v_accvgpr_read_b32 v9, a9
	v_accvgpr_read_b32 v8, a36
	v_accvgpr_read_b32 v7, a7
	v_accvgpr_read_b32 v9, a37
	v_lshl_add_u64 v[8:9], v[6:7], 0, v[8:9]
	v_and_b32_e32 v6, 7, v32
	v_mul_lo_u32 v6, v6, v62
	v_accvgpr_read_b32 v12, a14
	v_ashrrev_i32_e32 v7, 31, v6
	v_accvgpr_read_b32 v13, a15
	v_lshl_add_u64 v[6:7], v[6:7], 4, v[12:13]
	v_mov_b64_e32 v[14:15], v[20:21]
	v_add_u32_e32 v20, 1, v32
	s_mov_b64 s[34:35], 0
	s_waitcnt vmcnt(0) lgkmcnt(0)
	v_ashrrev_i32_e32 v11, 31, v10
	v_mul_lo_u32 v12, v23, v10
	v_mad_u64_u32 v[8:9], s[12:13], v22, v10, v[8:9]
	v_mul_lo_u32 v10, v22, v11
	v_add3_u32 v9, v12, v9, v10
	v_lshl_add_u64 v[8:9], v[8:9], 0, v[14:15]
	v_mov_b32_e32 v10, v0
	s_branch .LBB16_274
.LBB16_273:                             ;   in Loop: Header=BB16_274 Depth=2
	v_sub_u32_e32 v1, v1, v56
	v_cmp_gt_i32_e32 vcc, 1, v1
	v_lshl_add_u64 v[8:9], v[8:9], 0, v[56:57]
	s_or_b64 s[34:35], vcc, s[34:35]
	v_add_u32_e32 v10, v10, v16
	s_andn2_b64 exec, exec, s[34:35]
	s_cbranch_execz .LBB16_304
.LBB16_274:                             ;   Parent Loop BB16_55 Depth=1
                                        ; =>  This Loop Header: Depth=2
                                        ;       Child Loop BB16_278 Depth 3
	v_ashrrev_i32_e32 v11, 31, v10
	v_lshl_add_u64 v[30:31], v[10:11], 4, v[6:7]
	global_load_dwordx4 v[12:15], v[30:31], off nt
	v_cmp_eq_u32_e32 vcc, 0, v17
	s_and_saveexec_b64 s[36:37], vcc
	s_cbranch_execz .LBB16_286
; %bb.275:                              ;   in Loop: Header=BB16_274 Depth=2
	s_waitcnt vmcnt(0)
	v_cmp_ne_u32_e32 vcc, v20, v13
	v_cmp_ne_u32_e64 s[12:13], v20, v15
	s_or_b64 s[12:13], vcc, s[12:13]
	v_mov_b32_e32 v17, 0
	s_and_saveexec_b64 s[38:39], s[12:13]
	s_cbranch_execz .LBB16_285
; %bb.276:                              ;   in Loop: Header=BB16_274 Depth=2
	s_mov_b32 s44, 1
	s_mov_b64 s[40:41], 0
	v_mov_b32_e32 v17, 0
	s_branch .LBB16_278
.LBB16_277:                             ;   in Loop: Header=BB16_278 Depth=3
	s_or_b64 exec, exec, s[42:43]
	s_and_b64 s[12:13], exec, s[12:13]
	s_or_b64 s[40:41], s[12:13], s[40:41]
	s_andn2_b64 exec, exec, s[40:41]
	s_cbranch_execz .LBB16_284
.LBB16_278:                             ;   Parent Loop BB16_55 Depth=1
                                        ;     Parent Loop BB16_274 Depth=2
                                        ; =>    This Inner Loop Header: Depth=3
	global_load_dwordx4 v[12:15], v[30:31], off nt
	s_add_i32 s44, s44, 1
	s_cmpk_lg_i32 s44, 0x2710
	s_cbranch_scc1 .LBB16_282
; %bb.279:                              ;   in Loop: Header=BB16_278 Depth=3
	s_trap 2
	ds_read_b64 v[54:55], v0
	s_waitcnt vmcnt(0) lgkmcnt(0)
	flat_load_dword v11, v[54:55] sc0 sc1
	s_waitcnt vmcnt(0) lgkmcnt(0)
	buffer_inv sc0 sc1
	v_cmp_ne_u32_e32 vcc, 0, v11
	s_and_saveexec_b64 s[12:13], vcc
	s_cbranch_execz .LBB16_281
; %bb.280:                              ;   in Loop: Header=BB16_278 Depth=3
	v_mov_b32_e32 v17, 1
	ds_write_b32 v0, v11
	s_trap 2
.LBB16_281:                             ;   in Loop: Header=BB16_278 Depth=3
	s_or_b64 exec, exec, s[12:13]
	s_mov_b32 s44, 0
	v_mov_b32_e32 v11, v17
	v_cmp_eq_u32_e32 vcc, 0, v11
	s_mov_b64 s[12:13], -1
	s_and_saveexec_b64 s[42:43], vcc
	s_cbranch_execz .LBB16_277
	s_branch .LBB16_283
.LBB16_282:                             ;   in Loop: Header=BB16_278 Depth=3
	v_mov_b32_e32 v11, 0
	v_cmp_eq_u32_e32 vcc, 0, v11
	s_mov_b64 s[12:13], -1
	s_and_saveexec_b64 s[42:43], vcc
	s_cbranch_execz .LBB16_277
.LBB16_283:                             ;   in Loop: Header=BB16_278 Depth=3
	s_waitcnt vmcnt(0)
	v_cmp_eq_u32_e32 vcc, v20, v13
	v_cmp_eq_u32_e64 s[12:13], v20, v15
	s_and_b64 s[12:13], vcc, s[12:13]
	s_orn2_b64 s[12:13], s[12:13], exec
	s_branch .LBB16_277
.LBB16_284:                             ;   in Loop: Header=BB16_274 Depth=2
	s_or_b64 exec, exec, s[40:41]
.LBB16_285:                             ;   in Loop: Header=BB16_274 Depth=2
	s_or_b64 exec, exec, s[38:39]
.LBB16_286:                             ;   in Loop: Header=BB16_274 Depth=2
	s_or_b64 exec, exec, s[36:37]
	v_cmp_lt_u32_e32 vcc, 7, v1
	s_waitcnt vmcnt(0)
	v_mov_b32_e32 v13, v14
	v_cndmask_b32_e64 v11, 0, 1, vcc
	;;#ASMSTART
	;;#ASMEND
	s_nop 0
	v_cmp_ne_u32_e64 s[12:13], 0, v11
	s_cmp_lg_u64 s[12:13], exec
	s_mov_b64 s[12:13], -1
	s_cbranch_scc0 .LBB16_296
; %bb.287:                              ;   in Loop: Header=BB16_274 Depth=2
	v_cmp_ne_u32_e64 s[12:13], 1, v1
	flat_store_byte v[8:9], v12
	s_and_saveexec_b64 s[36:37], s[12:13]
	s_cbranch_execnz .LBB16_298
; %bb.288:                              ;   in Loop: Header=BB16_274 Depth=2
	s_or_b64 exec, exec, s[36:37]
	v_cmp_lt_u32_e64 s[12:13], 2, v1
	s_and_saveexec_b64 s[36:37], s[12:13]
	s_cbranch_execnz .LBB16_299
.LBB16_289:                             ;   in Loop: Header=BB16_274 Depth=2
	s_or_b64 exec, exec, s[36:37]
	v_cmp_lt_u32_e64 s[12:13], 3, v1
	s_and_saveexec_b64 s[36:37], s[12:13]
	s_cbranch_execnz .LBB16_300
.LBB16_290:                             ;   in Loop: Header=BB16_274 Depth=2
	s_or_b64 exec, exec, s[36:37]
	v_cmp_lt_u32_e64 s[12:13], 4, v1
	s_and_saveexec_b64 s[36:37], s[12:13]
	s_cbranch_execnz .LBB16_301
.LBB16_291:                             ;   in Loop: Header=BB16_274 Depth=2
	s_or_b64 exec, exec, s[36:37]
	v_cmp_lt_u32_e64 s[12:13], 5, v1
	s_and_saveexec_b64 s[36:37], s[12:13]
	s_cbranch_execnz .LBB16_302
.LBB16_292:                             ;   in Loop: Header=BB16_274 Depth=2
	s_or_b64 exec, exec, s[36:37]
	v_cmp_lt_u32_e64 s[12:13], 6, v1
	s_and_saveexec_b64 s[36:37], s[12:13]
	s_cbranch_execnz .LBB16_303
.LBB16_293:                             ;   in Loop: Header=BB16_274 Depth=2
	s_or_b64 exec, exec, s[36:37]
	s_and_saveexec_b64 s[12:13], vcc
	s_cbranch_execz .LBB16_295
.LBB16_294:                             ;   in Loop: Header=BB16_274 Depth=2
	v_lshrrev_b32_e32 v11, 24, v13
	flat_store_byte v[8:9], v11 offset:7
.LBB16_295:                             ;   in Loop: Header=BB16_274 Depth=2
	s_or_b64 exec, exec, s[12:13]
	s_mov_b64 s[12:13], 0
.LBB16_296:                             ;   in Loop: Header=BB16_274 Depth=2
	s_and_b64 vcc, exec, s[12:13]
	s_cbranch_vccz .LBB16_273
; %bb.297:                              ;   in Loop: Header=BB16_274 Depth=2
	global_store_dwordx2 v[8:9], v[12:13], off
	s_branch .LBB16_273
.LBB16_298:                             ;   in Loop: Header=BB16_274 Depth=2
	v_lshrrev_b32_e32 v11, 8, v12
	flat_store_byte v[8:9], v11 offset:1
	s_or_b64 exec, exec, s[36:37]
	v_cmp_lt_u32_e64 s[12:13], 2, v1
	s_and_saveexec_b64 s[36:37], s[12:13]
	s_cbranch_execz .LBB16_289
.LBB16_299:                             ;   in Loop: Header=BB16_274 Depth=2
	flat_store_byte_d16_hi v[8:9], v12 offset:2
	s_or_b64 exec, exec, s[36:37]
	v_cmp_lt_u32_e64 s[12:13], 3, v1
	s_and_saveexec_b64 s[36:37], s[12:13]
	s_cbranch_execz .LBB16_290
.LBB16_300:                             ;   in Loop: Header=BB16_274 Depth=2
	v_lshrrev_b32_e32 v11, 24, v12
	flat_store_byte v[8:9], v11 offset:3
	s_or_b64 exec, exec, s[36:37]
	v_cmp_lt_u32_e64 s[12:13], 4, v1
	s_and_saveexec_b64 s[36:37], s[12:13]
	s_cbranch_execz .LBB16_291
.LBB16_301:                             ;   in Loop: Header=BB16_274 Depth=2
	flat_store_byte v[8:9], v14 offset:4
	s_or_b64 exec, exec, s[36:37]
	v_cmp_lt_u32_e64 s[12:13], 5, v1
	s_and_saveexec_b64 s[36:37], s[12:13]
	s_cbranch_execz .LBB16_292
.LBB16_302:                             ;   in Loop: Header=BB16_274 Depth=2
	v_lshrrev_b32_e32 v11, 8, v13
	flat_store_byte v[8:9], v11 offset:5
	s_or_b64 exec, exec, s[36:37]
	v_cmp_lt_u32_e64 s[12:13], 6, v1
	s_and_saveexec_b64 s[36:37], s[12:13]
	s_cbranch_execz .LBB16_293
.LBB16_303:                             ;   in Loop: Header=BB16_274 Depth=2
	flat_store_byte_d16_hi v[8:9], v13 offset:6
	s_or_b64 exec, exec, s[36:37]
	s_and_saveexec_b64 s[12:13], vcc
	s_cbranch_execnz .LBB16_294
	s_branch .LBB16_295
.LBB16_304:                             ;   in Loop: Header=BB16_55 Depth=1
	s_or_b64 exec, exec, s[34:35]
	v_accvgpr_read_b32 v20, a22
	v_accvgpr_read_b32 v21, a23
	s_or_b64 exec, exec, s[14:15]
	s_and_saveexec_b64 s[12:13], s[6:7]
	s_cbranch_execz .LBB16_271
.LBB16_305:                             ;   in Loop: Header=BB16_55 Depth=1
	s_and_saveexec_b64 s[14:15], s[24:25]
	s_xor_b64 s[14:15], exec, s[14:15]
	s_cbranch_execz .LBB16_320
; %bb.306:                              ;   in Loop: Header=BB16_55 Depth=1
	s_and_saveexec_b64 s[34:35], s[8:9]
	s_cbranch_execz .LBB16_319
; %bb.307:                              ;   in Loop: Header=BB16_55 Depth=1
	s_mov_b64 s[38:39], exec
	v_mbcnt_lo_u32_b32 v1, s38, 0
	v_mbcnt_hi_u32_b32 v1, s39, v1
	v_cmp_eq_u32_e32 vcc, 0, v1
	s_waitcnt lgkmcnt(0)
	s_and_saveexec_b64 s[36:37], vcc
	s_cbranch_execz .LBB16_309
; %bb.308:                              ;   in Loop: Header=BB16_55 Depth=1
	s_bcnt1_i32_b64 vcc_lo, s[38:39]
	v_mov_b32_e32 v40, vcc_lo
	ds_add_u64 v0, v[40:41]
	s_trap 2
.LBB16_309:                             ;   in Loop: Header=BB16_55 Depth=1
	s_or_b64 exec, exec, s[36:37]
	s_trap 2
	ds_read_b64 v[6:7], v0
	v_accvgpr_read_b32 v8, a20
	v_accvgpr_read_b32 v9, a21
	v_lshl_add_u64 v[50:51], v[50:51], 0, v[8:9]
	s_waitcnt lgkmcnt(0)
	v_cmp_lt_u64_e32 vcc, v[6:7], v[50:51]
	s_and_saveexec_b64 s[36:37], vcc
	s_cbranch_execz .LBB16_318
; %bb.310:                              ;   in Loop: Header=BB16_55 Depth=1
	s_mov_b32 s48, 0
	s_mov_b64 s[38:39], 0
                                        ; implicit-def: $sgpr40_sgpr41
                                        ; implicit-def: $sgpr42_sgpr43
	s_branch .LBB16_312
.LBB16_311:                             ;   in Loop: Header=BB16_312 Depth=2
	s_or_b64 exec, exec, s[46:47]
	s_and_b64 vcc, exec, vcc
	s_or_b64 s[38:39], vcc, s[38:39]
	s_andn2_b64 vcc, s[40:41], exec
	s_and_b64 s[40:41], s[42:43], exec
	s_or_b64 s[40:41], vcc, s[40:41]
	s_andn2_b64 exec, exec, s[38:39]
	s_cbranch_execz .LBB16_316
.LBB16_312:                             ;   Parent Loop BB16_55 Depth=1
                                        ; =>  This Inner Loop Header: Depth=2
	s_add_i32 s48, s48, 1
	s_cmpk_lg_i32 s48, 0x2710
	s_cselect_b64 s[44:45], -1, 0
	s_and_b64 vcc, exec, s[44:45]
                                        ; implicit-def: $sgpr46_sgpr47
	s_cbranch_vccnz .LBB16_314
; %bb.313:                              ;   in Loop: Header=BB16_312 Depth=2
	s_trap 2
	ds_read_b64 v[6:7], v0
	s_andn2_b64 s[44:45], s[44:45], exec
	s_mov_b32 s48, 0
	s_mov_b64 s[46:47], -1
	s_waitcnt vmcnt(0) lgkmcnt(0)
	flat_load_dword v1, v[6:7] sc0 sc1
	s_waitcnt vmcnt(0) lgkmcnt(0)
	buffer_inv sc0 sc1
	v_cmp_eq_u32_e32 vcc, 0, v1
	s_and_b64 vcc, vcc, exec
	s_or_b64 s[44:45], s[44:45], vcc
.LBB16_314:                             ;   in Loop: Header=BB16_312 Depth=2
	s_andn2_b64 s[42:43], s[42:43], exec
	s_and_b64 s[46:47], s[46:47], exec
	s_mov_b64 vcc, -1
	s_or_b64 s[42:43], s[42:43], s[46:47]
	s_and_saveexec_b64 s[46:47], s[44:45]
	s_cbranch_execz .LBB16_311
; %bb.315:                              ;   in Loop: Header=BB16_312 Depth=2
	s_sleep 1
	s_trap 2
	ds_read_b64 v[6:7], v0
	s_andn2_b64 s[42:43], s[42:43], exec
	s_waitcnt lgkmcnt(0)
	v_cmp_ge_u64_e32 vcc, v[6:7], v[50:51]
	s_orn2_b64 vcc, vcc, exec
	s_branch .LBB16_311
.LBB16_316:                             ;   in Loop: Header=BB16_55 Depth=1
	s_or_b64 exec, exec, s[38:39]
	s_and_saveexec_b64 vcc, s[40:41]
	s_xor_b64 vcc, exec, vcc
	s_cbranch_execz .LBB16_318
; %bb.317:                              ;   in Loop: Header=BB16_55 Depth=1
	v_mov_b32_e32 v1, 1
	ds_write_b32 v0, v1
	s_trap 2
.LBB16_318:                             ;   in Loop: Header=BB16_55 Depth=1
	s_or_b64 exec, exec, s[36:37]
	;;#ASMSTART
	s_wakeup
	;;#ASMEND
.LBB16_319:                             ;   in Loop: Header=BB16_55 Depth=1
	s_or_b64 exec, exec, s[34:35]
.LBB16_320:                             ;   in Loop: Header=BB16_55 Depth=1
	s_andn2_saveexec_b64 s[14:15], s[14:15]
	s_cbranch_execz .LBB16_322
; %bb.321:                              ;   in Loop: Header=BB16_55 Depth=1
	s_waitcnt lgkmcnt(0)
	s_barrier
.LBB16_322:                             ;   in Loop: Header=BB16_55 Depth=1
	s_or_b64 exec, exec, s[14:15]
	s_or_b64 exec, exec, s[12:13]
	s_and_saveexec_b64 s[12:13], s[10:11]
	s_cbranch_execz .LBB16_54
.LBB16_323:                             ;   in Loop: Header=BB16_55 Depth=1
	v_lshl_add_u64 v[36:37], v[36:37], 0, 1
	flat_store_dwordx2 v[38:39], v[36:37] sc0 sc1
	s_branch .LBB16_54
.LBB16_324:
	s_or_b64 exec, exec, s[22:23]
	v_accvgpr_read_b32 v15, a11
	v_accvgpr_read_b32 v21, a13
	;; [unrolled: 1-line block ×6, first 2 shown]
.LBB16_325:
	s_or_b64 exec, exec, s[20:21]
; %bb.326:
	s_and_saveexec_b64 s[2:3], s[18:19]
	s_cbranch_execnz .LBB16_329
; %bb.327:
	s_or_b64 exec, exec, s[2:3]
	s_and_saveexec_b64 s[2:3], s[0:1]
	s_cbranch_execnz .LBB16_330
.LBB16_328:
	s_or_b64 exec, exec, s[2:3]
	v_cmp_ne_u32_e32 vcc, 64, v16
	s_and_saveexec_b64 s[0:1], vcc
	s_cbranch_execnz .LBB16_331
	s_branch .LBB16_348
.LBB16_329:
	s_waitcnt vmcnt(0) lgkmcnt(0)
	flat_store_dwordx2 v[20:21], v[36:37] offset:104
	s_or_b64 exec, exec, s[2:3]
	s_and_saveexec_b64 s[2:3], s[0:1]
	s_cbranch_execz .LBB16_328
.LBB16_330:
	s_waitcnt vmcnt(0) lgkmcnt(0)
	flat_store_dwordx2 v[14:15], v[4:5] offset:104
	s_or_b64 exec, exec, s[2:3]
	v_cmp_ne_u32_e32 vcc, 64, v16
	s_and_saveexec_b64 s[0:1], vcc
	s_cbranch_execz .LBB16_348
.LBB16_331:
	v_cmp_ne_u32_sdwa s[2:3], v10, v16 src0_sel:WORD_0 src1_sel:DWORD
	s_and_saveexec_b64 s[4:5], s[2:3]
	s_xor_b64 s[2:3], exec, s[4:5]
	s_cbranch_execz .LBB16_346
; %bb.332:
	v_and_b32_e32 v0, 63, v31
	v_cmp_eq_u32_e32 vcc, 0, v0
	s_and_saveexec_b64 s[4:5], vcc
	s_cbranch_execz .LBB16_345
; %bb.333:
	s_mov_b64 s[8:9], exec
	v_mbcnt_lo_u32_b32 v0, s8, 0
	v_mbcnt_hi_u32_b32 v0, s9, v0
	v_cmp_eq_u32_e32 vcc, 0, v0
	s_waitcnt lgkmcnt(0)
	s_and_saveexec_b64 s[6:7], vcc
	s_cbranch_execz .LBB16_335
; %bb.334:
	s_bcnt1_i32_b64 s8, s[8:9]
	v_mov_b32_e32 v0, s8
	v_mov_b32_e32 v1, 0
	ds_add_u64 v0, v[0:1]
	s_trap 2
.LBB16_335:
	s_or_b64 exec, exec, s[6:7]
	v_ashrrev_i32_e32 v0, 31, v16
	v_lshrrev_b32_e32 v0, 26, v0
	s_trap 2
	s_waitcnt vmcnt(0)
	ds_read_b64 v[2:3], v0
	v_add_u32_e32 v0, v16, v0
	v_ashrrev_i32_e32 v0, 6, v0
	v_ashrrev_i32_e32 v1, 31, v0
	v_lshl_add_u64 v[0:1], v[50:51], 0, v[0:1]
	s_waitcnt lgkmcnt(0)
	v_cmp_lt_u64_e32 vcc, v[2:3], v[0:1]
	s_and_saveexec_b64 s[6:7], vcc
	s_cbranch_execz .LBB16_344
; %bb.336:
	s_mov_b32 s22, 0
	s_mov_b64 s[8:9], 0
                                        ; implicit-def: $sgpr10_sgpr11
                                        ; implicit-def: $sgpr12_sgpr13
	s_branch .LBB16_338
.LBB16_337:                             ;   in Loop: Header=BB16_338 Depth=1
	s_or_b64 exec, exec, s[20:21]
	s_and_b64 s[14:15], exec, s[18:19]
	s_or_b64 s[8:9], s[14:15], s[8:9]
	s_andn2_b64 s[10:11], s[10:11], exec
	s_and_b64 s[14:15], s[12:13], exec
	s_or_b64 s[10:11], s[10:11], s[14:15]
	s_andn2_b64 exec, exec, s[8:9]
	s_cbranch_execz .LBB16_342
.LBB16_338:                             ; =>This Inner Loop Header: Depth=1
	s_add_i32 s22, s22, 1
	s_cmpk_lg_i32 s22, 0x2710
	s_cselect_b64 s[14:15], -1, 0
	s_and_b64 vcc, exec, s[14:15]
                                        ; implicit-def: $sgpr20_sgpr21
	s_cbranch_vccnz .LBB16_340
; %bb.339:                              ;   in Loop: Header=BB16_338 Depth=1
	s_trap 2
	ds_read_b64 v[2:3], v0
	s_andn2_b64 s[14:15], s[14:15], exec
	s_mov_b32 s22, 0
	s_mov_b64 s[20:21], -1
	s_waitcnt lgkmcnt(0)
	flat_load_dword v2, v[2:3] sc0 sc1
	s_waitcnt vmcnt(0) lgkmcnt(0)
	buffer_inv sc0 sc1
	v_cmp_eq_u32_e32 vcc, 0, v2
	s_and_b64 s[18:19], vcc, exec
	s_or_b64 s[14:15], s[14:15], s[18:19]
.LBB16_340:                             ;   in Loop: Header=BB16_338 Depth=1
	s_andn2_b64 s[12:13], s[12:13], exec
	s_and_b64 s[20:21], s[20:21], exec
	s_mov_b64 s[18:19], -1
	s_or_b64 s[12:13], s[12:13], s[20:21]
	s_and_saveexec_b64 s[20:21], s[14:15]
	s_cbranch_execz .LBB16_337
; %bb.341:                              ;   in Loop: Header=BB16_338 Depth=1
	s_sleep 1
	s_trap 2
	ds_read_b64 v[2:3], v0
	s_andn2_b64 s[12:13], s[12:13], exec
	s_waitcnt lgkmcnt(0)
	v_cmp_ge_u64_e32 vcc, v[2:3], v[0:1]
	s_orn2_b64 s[18:19], vcc, exec
	s_branch .LBB16_337
.LBB16_342:
	s_or_b64 exec, exec, s[8:9]
	s_and_saveexec_b64 s[8:9], s[10:11]
	s_xor_b64 s[8:9], exec, s[8:9]
	s_cbranch_execz .LBB16_344
; %bb.343:
	v_mov_b32_e32 v0, 1
	ds_write_b32 v0, v0
	s_trap 2
.LBB16_344:
	s_or_b64 exec, exec, s[6:7]
	;;#ASMSTART
	s_wakeup
	;;#ASMEND
.LBB16_345:
	s_or_b64 exec, exec, s[4:5]
.LBB16_346:
	s_andn2_saveexec_b64 s[2:3], s[2:3]
	s_cbranch_execz .LBB16_348
; %bb.347:
	s_waitcnt lgkmcnt(0)
	s_barrier
.LBB16_348:
	s_or_b64 exec, exec, s[0:1]
.LBB16_349:
	s_or_b64 exec, exec, s[16:17]
	scratch_load_dword a38, off, s32        ; 4-byte Folded Reload
	scratch_load_dword a37, off, s32 offset:4 ; 4-byte Folded Reload
	scratch_load_dword a36, off, s32 offset:8 ; 4-byte Folded Reload
	;; [unrolled: 1-line block ×9, first 2 shown]
	s_waitcnt lgkmcnt(0)
	scratch_load_dword v59, off, s32 offset:40 ; 4-byte Folded Reload
	scratch_load_dword v58, off, s32 offset:44 ; 4-byte Folded Reload
	;; [unrolled: 1-line block ×12, first 2 shown]
	v_readlane_b32 s30, v63, 21
	v_readlane_b32 s31, v63, 22
	;; [unrolled: 1-line block ×23, first 2 shown]
	s_or_saveexec_b64 s[0:1], -1
	scratch_load_dword v63, off, s32 offset:88 ; 4-byte Folded Reload
	s_mov_b64 exec, s[0:1]
	s_waitcnt vmcnt(0)
	s_setpc_b64 s[30:31]
.Lfunc_end16:
	.size	_ZN12_GLOBAL__N_17runRingIa7FuncSumIaE7ProtoLLLi0ELi4ELi0ELb0EEEviiP15ncclDevWorkColl, .Lfunc_end16-_ZN12_GLOBAL__N_17runRingIa7FuncSumIaE7ProtoLLLi0ELi4ELi0ELb0EEEviiP15ncclDevWorkColl
                                        ; -- End function
	.section	.AMDGPU.csdata,"",@progbits
; Function info:
; codeLenInByte = 11692
; NumSgprs: 61
; NumVgprs: 64
; NumAgprs: 39
; TotalNumVgprs: 103
; ScratchSize: 96
; MemoryBound: 0
	.text
	.p2align	2                               ; -- Begin function _Z42ncclDevFunc_AllGather_RING_LL_Sum_i8_0_0_4v
	.type	_Z42ncclDevFunc_AllGather_RING_LL_Sum_i8_0_0_4v,@function
_Z42ncclDevFunc_AllGather_RING_LL_Sum_i8_0_0_4v: ; @_Z42ncclDevFunc_AllGather_RING_LL_Sum_i8_0_0_4v
; %bb.0:
	s_waitcnt vmcnt(0) expcnt(0) lgkmcnt(0)
	s_mov_b32 s0, s33
	s_mov_b32 s33, s32
	s_or_saveexec_b64 s[2:3], -1
	scratch_store_dword off, v43, s33 offset:16 ; 4-byte Folded Spill
	s_mov_b64 exec, s[2:3]
	v_writelane_b32 v43, s0, 31
	s_add_i32 s32, s32, 32
	scratch_store_dword off, v40, s33 offset:12 ; 4-byte Folded Spill
	scratch_store_dword off, v41, s33 offset:8 ; 4-byte Folded Spill
	;; [unrolled: 1-line block ×3, first 2 shown]
	scratch_store_dword off, v63, s33       ; 4-byte Folded Spill
	v_writelane_b32 v43, s34, 0
	v_writelane_b32 v43, s35, 1
	v_writelane_b32 v43, s36, 2
	v_writelane_b32 v43, s37, 3
	v_writelane_b32 v43, s38, 4
	v_writelane_b32 v43, s39, 5
	v_writelane_b32 v43, s40, 6
	v_writelane_b32 v43, s41, 7
	v_writelane_b32 v43, s42, 8
	v_writelane_b32 v43, s43, 9
	v_writelane_b32 v43, s44, 10
	v_writelane_b32 v43, s45, 11
	v_writelane_b32 v43, s46, 12
	v_writelane_b32 v43, s47, 13
	v_writelane_b32 v43, s48, 14
	v_writelane_b32 v43, s49, 15
	v_writelane_b32 v43, s50, 16
	v_writelane_b32 v43, s51, 17
	v_writelane_b32 v43, s52, 18
	v_writelane_b32 v43, s53, 19
	v_writelane_b32 v43, s54, 20
	v_writelane_b32 v43, s55, 21
	v_writelane_b32 v43, s56, 22
	v_writelane_b32 v43, s57, 23
	v_writelane_b32 v43, s58, 24
	v_writelane_b32 v43, s59, 25
	v_writelane_b32 v43, s60, 26
	v_writelane_b32 v43, s61, 27
	v_writelane_b32 v43, s62, 28
	v_writelane_b32 v43, s30, 29
	s_nop 1
	v_writelane_b32 v43, s31, 30
	s_trap 2
	ds_read_b32 v0, v0
	v_mov_b32_e32 v40, v31
	s_mov_b32 s55, s12
	s_mov_b64 s[56:57], s[8:9]
	s_waitcnt lgkmcnt(0)
	v_cmp_gt_i32_e32 vcc, 1, v0
	s_cbranch_vccnz .LBB17_8
; %bb.1:
	s_mov_b32 s62, 0
	v_and_b32_e32 v41, 0x3ff, v40
	s_mov_b64 s[58:59], src_shared_base
	v_mov_b32_e32 v42, 6
	s_branch .LBB17_3
.LBB17_2:                               ;   in Loop: Header=BB17_3 Depth=1
	s_or_b64 exec, exec, s[60:61]
	s_trap 2
	ds_read_b32 v0, v0
	s_add_i32 s62, s62, 1
	s_waitcnt lgkmcnt(0)
	v_cmp_lt_i32_e32 vcc, s62, v0
	s_cbranch_vccz .LBB17_8
.LBB17_3:                               ; =>This Inner Loop Header: Depth=1
	s_trap 2
	ds_read_b32 v0, v0
	s_cmp_eq_u32 s62, 0
	s_cbranch_scc1 .LBB17_6
; %bb.4:                                ;   in Loop: Header=BB17_3 Depth=1
	s_trap 2
	s_waitcnt lgkmcnt(0)
	ds_read_b32 v1, v0
	s_waitcnt lgkmcnt(0)
	v_xor_b32_e32 v1, v1, v0
	v_and_b32_e32 v1, 0xff0000, v1
	v_cmp_eq_u32_e32 vcc, 0, v1
	s_cbranch_vccnz .LBB17_6
; %bb.5:                                ;   in Loop: Header=BB17_3 Depth=1
	s_barrier
	ds_read_b32 v0, v0
.LBB17_6:                               ;   in Loop: Header=BB17_3 Depth=1
	s_waitcnt lgkmcnt(0)
	v_lshlrev_b32_sdwa v1, v42, v0 dst_sel:DWORD dst_unused:UNUSED_PAD src0_sel:DWORD src1_sel:BYTE_2
	v_cmp_lt_u32_e32 vcc, v41, v1
	s_and_saveexec_b64 s[60:61], vcc
	s_cbranch_execz .LBB17_2
; %bb.7:                                ;   in Loop: Header=BB17_3 Depth=1
	s_mov_b64 s[8:9], s[56:57]
	s_mov_b32 s12, s55
	v_mov_b32_e32 v31, v40
	v_mov_b32_e32 v0, v41
	;; [unrolled: 1-line block ×3, first 2 shown]
	s_getpc_b64 s[0:1]
	s_add_u32 s0, s0, _ZN12_GLOBAL__N_17runRingIa7FuncSumIaE7ProtoLLLi0ELi4ELi0ELb0EEEviiP15ncclDevWorkColl@rel32@lo+4
	s_addc_u32 s1, s1, _ZN12_GLOBAL__N_17runRingIa7FuncSumIaE7ProtoLLLi0ELi4ELi0ELb0EEEviiP15ncclDevWorkColl@rel32@hi+12
	s_swappc_b64 s[30:31], s[0:1]
	s_branch .LBB17_2
.LBB17_8:
	scratch_load_dword v63, off, s33        ; 4-byte Folded Reload
	scratch_load_dword v42, off, s33 offset:4 ; 4-byte Folded Reload
	scratch_load_dword v41, off, s33 offset:8 ; 4-byte Folded Reload
	;; [unrolled: 1-line block ×3, first 2 shown]
	v_readlane_b32 s30, v43, 29
	v_readlane_b32 s31, v43, 30
	;; [unrolled: 1-line block ×32, first 2 shown]
	s_or_saveexec_b64 s[2:3], -1
	scratch_load_dword v43, off, s33 offset:16 ; 4-byte Folded Reload
	s_mov_b64 exec, s[2:3]
	s_addk_i32 s32, 0xffe0
	s_mov_b32 s33, s0
	s_waitcnt vmcnt(0)
	s_setpc_b64 s[30:31]
.Lfunc_end17:
	.size	_Z42ncclDevFunc_AllGather_RING_LL_Sum_i8_0_0_4v, .Lfunc_end17-_Z42ncclDevFunc_AllGather_RING_LL_Sum_i8_0_0_4v
                                        ; -- End function
	.section	.AMDGPU.csdata,"",@progbits
; Function info:
; codeLenInByte = 880
; NumSgprs: 69
; NumVgprs: 64
; NumAgprs: 39
; TotalNumVgprs: 103
; ScratchSize: 128
; MemoryBound: 0
	.text
	.p2align	2                               ; -- Begin function _ZN12_GLOBAL__N_17runRingIa7FuncSumIaE11ProtoSimpleILi1ELi4ELi0ELi4ELi0ELi0EELi0ELi4ELi0ELb0EEEviiP15ncclDevWorkColl
	.type	_ZN12_GLOBAL__N_17runRingIa7FuncSumIaE11ProtoSimpleILi1ELi4ELi0ELi4ELi0ELi0EELi0ELi4ELi0ELb0EEEviiP15ncclDevWorkColl,@function
_ZN12_GLOBAL__N_17runRingIa7FuncSumIaE11ProtoSimpleILi1ELi4ELi0ELi4ELi0ELi0EELi0ELi4ELi0ELb0EEEviiP15ncclDevWorkColl: ; @_ZN12_GLOBAL__N_17runRingIa7FuncSumIaE11ProtoSimpleILi1ELi4ELi0ELi4ELi0ELi0EELi0ELi4ELi0ELb0EEEviiP15ncclDevWorkColl
; %bb.0:
	s_waitcnt vmcnt(0) expcnt(0) lgkmcnt(0)
	s_mov_b32 s0, s33
	s_mov_b32 s33, s32
	s_or_saveexec_b64 s[2:3], -1
	scratch_store_dword off, v63, s33 offset:176 ; 4-byte Folded Spill
	s_mov_b64 exec, s[2:3]
	v_writelane_b32 v63, s0, 50
	s_addk_i32 s32, 0xc0
	scratch_store_dword off, v40, s33 offset:164 ; 4-byte Folded Spill
	scratch_store_dword off, v41, s33 offset:160 ; 4-byte Folded Spill
	;; [unrolled: 1-line block ×41, first 2 shown]
	scratch_store_dword off, a58, s33       ; 4-byte Folded Spill
	v_writelane_b32 v63, s34, 0
	v_writelane_b32 v63, s35, 1
	;; [unrolled: 1-line block ×49, first 2 shown]
	s_nop 1
	v_writelane_b32 v63, s31, 49
	s_trap 2
	flat_load_dword v4, v[2:3]
	flat_load_dwordx4 v[32:35], v[2:3] offset:72
	flat_load_dwordx2 v[8:9], v[2:3] offset:88
	v_mov_b32_e32 v61, v0
	ds_read_b32 v0, v0
	v_mov_b32_e32 v16, v1
                                        ; implicit-def: $vgpr22_vgpr23
                                        ; implicit-def: $agpr8_agpr9
	s_waitcnt lgkmcnt(0)
	ds_read_b64 v[52:53], v0
	v_readfirstlane_b32 s74, v0
	s_waitcnt vmcnt(0)
	v_not_b32_sdwa v1, v4 dst_sel:DWORD dst_unused:UNUSED_PAD src0_sel:BYTE_0
	v_add_u32_sdwa v5, v4, v1 dst_sel:DWORD dst_unused:UNUSED_PAD src0_sel:BYTE_1 src1_sel:DWORD
	v_ashrrev_i32_e32 v6, 31, v5
	v_mul_lo_u32 v7, v35, v5
	v_mad_u64_u32 v[10:11], s[0:1], v34, v5, 0
	v_mul_lo_u32 v5, v34, v6
	v_add3_u32 v11, v11, v5, v7
	v_cmp_ne_u32_sdwa s[0:1], v4, v0 src0_sel:BYTE_0 src1_sel:DWORD
	s_and_saveexec_b64 s[2:3], s[0:1]
	s_xor_b64 s[0:1], exec, s[2:3]
	s_cbranch_execz .LBB18_6
; %bb.1:
	v_cmp_ne_u32_sdwa s[2:3], v4, v0 src0_sel:BYTE_1 src1_sel:DWORD
                                        ; implicit-def: $vgpr22_vgpr23
                                        ; implicit-def: $agpr8_agpr9
	s_and_saveexec_b64 s[4:5], s[2:3]
	s_xor_b64 s[2:3], exec, s[4:5]
	s_cbranch_execz .LBB18_3
; %bb.2:
	flat_load_dwordx2 v[4:5], v[2:3] offset:96
	v_add_u32_e32 v0, v0, v1
	v_ashrrev_i32_e32 v1, 31, v0
	v_mul_lo_u32 v1, v34, v1
	v_mul_lo_u32 v6, v35, v0
	v_mad_u64_u32 v[12:13], s[4:5], v34, v0, v[32:33]
	v_add3_u32 v13, v6, v13, v1
	v_accvgpr_write_b32 a8, v12
	v_accvgpr_write_b32 a9, v13
	s_waitcnt vmcnt(0) lgkmcnt(0)
	v_lshrrev_b64 v[22:23], 21, v[4:5]
.LBB18_3:
	s_andn2_saveexec_b64 s[2:3], s[2:3]
	s_cbranch_execz .LBB18_5
; %bb.4:
	flat_load_dword v0, v[2:3] offset:100
	v_lshl_add_u64 v[4:5], v[10:11], 0, v[32:33]
	v_accvgpr_write_b32 a9, v5
	v_accvgpr_write_b32 a8, v4
	v_mov_b64_e32 v[34:35], v[8:9]
	s_waitcnt vmcnt(0) lgkmcnt(0)
	v_lshrrev_b32_e32 v22, 10, v0
.LBB18_5:
	s_or_b64 exec, exec, s[2:3]
.LBB18_6:
	s_andn2_saveexec_b64 s[0:1], s[0:1]
	s_cbranch_execz .LBB18_8
; %bb.7:
	flat_load_dwordx2 v[22:23], v[2:3] offset:96
	v_mov_b64_e32 v[0:1], 0
	v_accvgpr_write_b32 a9, v1
	v_accvgpr_write_b32 a8, v0
	v_mov_b64_e32 v[34:35], v[32:33]
.LBB18_8:
	s_or_b64 exec, exec, s[0:1]
	flat_load_dwordx4 v[18:21], v[2:3] offset:16
	v_lshl_add_u64 v[0:1], v[8:9], 0, v[32:33]
	v_lshl_add_u64 v[32:33], v[0:1], 0, v[10:11]
	v_cmp_ge_i32_e32 vcc, v61, v16
	s_and_saveexec_b64 s[0:1], vcc
	s_xor_b64 s[0:1], exec, s[0:1]
	s_cbranch_execz .LBB18_41
; %bb.9:
	s_waitcnt lgkmcnt(0)
	flat_load_dword v0, v[52:53]
	s_waitcnt vmcnt(0) lgkmcnt(0)
	v_ashrrev_i32_e32 v2, 31, v0
	v_mul_lo_u32 v1, v33, v0
	v_mul_lo_u32 v2, v32, v2
	v_mad_u64_u32 v[4:5], s[2:3], v32, v0, v[18:19]
	v_add3_u32 v5, v1, v5, v2
	v_cmp_ne_u64_e32 vcc, v[20:21], v[4:5]
	s_and_saveexec_b64 s[2:3], vcc
	s_cbranch_execz .LBB18_40
; %bb.10:
	v_mad_u64_u32 v[4:5], s[4:5], v32, v0, 0
	v_add3_u32 v5, v5, v2, v1
	v_accvgpr_read_b32 v0, a8
	v_accvgpr_read_b32 v1, a9
	v_lshl_add_u64 v[2:3], v[20:21], 0, v[0:1]
	v_lshl_add_u64 v[0:1], v[18:19], 0, v[0:1]
	;; [unrolled: 1-line block ×3, first 2 shown]
	v_sub_u32_e32 v1, v61, v16
	v_ashrrev_i32_e32 v0, 31, v1
	v_lshrrev_b32_e32 v0, 26, v0
	v_add_u32_e32 v0, v1, v0
	v_and_b32_e32 v6, 0xffffffc0, v0
	v_sub_u32_e32 v20, v1, v6
	v_cmp_gt_i32_e32 vcc, 1, v20
	v_mov_b32_e32 v1, 0
	s_and_saveexec_b64 s[4:5], vcc
; %bb.11:
	v_or_b32_e32 v1, v2, v4
	v_and_b32_e32 v1, 15, v1
	v_cmp_ne_u32_e32 vcc, 0, v1
	s_nop 1
	v_cndmask_b32_e64 v1, 0, 1, vcc
; %bb.12:
	s_or_b64 exec, exec, s[4:5]
	v_ashrrev_i32_e32 v21, 6, v0
	;;#ASMSTART
	;;#ASMEND
	s_nop 0
	v_cmp_ne_u32_e32 vcc, 0, v1
	s_cbranch_vccz .LBB18_14
; %bb.13:
	s_mov_b64 s[14:15], -1
	s_mov_b64 s[6:7], 0
	v_mov_b64_e32 v[10:11], 0
	s_mov_b64 s[4:5], 0
                                        ; implicit-def: $vgpr8_vgpr9
                                        ; implicit-def: $vgpr0_vgpr1
	v_mov_b32_e32 v6, v20
	v_mov_b32_e32 v7, v21
	s_and_saveexec_b64 s[10:11], s[14:15]
	s_cbranch_execnz .LBB18_25
	s_branch .LBB18_34
.LBB18_14:
	v_ashrrev_i32_e32 v0, 31, v35
	v_lshrrev_b32_e32 v0, 19, v0
	v_mov_b32_e32 v1, 0
	v_lshl_add_u64 v[0:1], v[34:35], 0, v[0:1]
	v_ashrrev_i64 v[12:13], 13, v[0:1]
	v_ashrrev_i32_e32 v0, 31, v21
	v_sub_co_u32_e32 v16, vcc, v12, v21
	s_mov_b64 s[14:15], 0
	s_nop 0
	v_subb_co_u32_e32 v17, vcc, v13, v0, vcc
	v_cmp_gt_i64_e32 vcc, 1, v[16:17]
	s_mov_b64 s[4:5], -1
	v_mov_b64_e32 v[10:11], 0
	s_mov_b64 s[6:7], 0
                                        ; implicit-def: $vgpr8_vgpr9
                                        ; implicit-def: $vgpr0_vgpr1
                                        ; implicit-def: $vgpr6
                                        ; implicit-def: $vgpr7
	s_and_saveexec_b64 s[10:11], vcc
	s_cbranch_execz .LBB18_24
; %bb.15:
	v_lshlrev_b64 v[0:1], 13, v[12:13]
	v_cmp_ne_u64_e32 vcc, v[34:35], v[0:1]
	v_mov_b64_e32 v[10:11], 0
                                        ; implicit-def: $vgpr8_vgpr9
                                        ; implicit-def: $vgpr6
                                        ; implicit-def: $vgpr7
	s_and_saveexec_b64 s[4:5], vcc
	s_cbranch_execz .LBB18_23
; %bb.16:
	v_sub_co_u32_e32 v10, vcc, v34, v0
	v_mov_b32_e32 v9, 0
	s_nop 0
	v_subb_co_u32_e32 v11, vcc, v35, v1, vcc
	v_ashrrev_i32_e32 v6, 31, v11
	v_lshrrev_b32_e32 v8, 22, v6
	v_lshl_add_u64 v[6:7], v[10:11], 0, v[8:9]
	v_ashrrev_i64 v[18:19], 10, v[6:7]
	v_and_b32_e32 v6, 0xfffffc00, v6
	v_sub_co_u32_e32 v12, vcc, v10, v6
	v_lshl_add_u64 v[14:15], v[6:7], 0, v[0:1]
	s_nop 0
	v_subb_co_u32_e32 v13, vcc, v11, v7, vcc
	v_cmp_lt_i64_e32 vcc, 15, v[12:13]
	s_and_saveexec_b64 s[6:7], vcc
; %bb.17:
	v_and_b32_e32 v8, 15, v34
	v_sub_co_u32_e32 v6, vcc, v12, v8
	v_lshl_add_u64 v[18:19], v[18:19], 0, 1
	s_nop 0
	v_subbrev_co_u32_e32 v7, vcc, 0, v13, vcc
	v_lshl_add_u64 v[14:15], v[6:7], 0, v[14:15]
	v_mov_b64_e32 v[12:13], v[8:9]
; %bb.18:
	s_or_b64 exec, exec, s[6:7]
	v_lshlrev_b32_e32 v6, 6, v16
	v_sub_u32_e32 v6, v20, v6
	v_ashrrev_i32_e32 v7, 31, v6
	v_lshrrev_b32_e32 v7, 26, v7
	v_add_u32_e32 v7, v6, v7
	v_ashrrev_i32_e32 v16, 6, v7
	v_and_b32_e32 v7, 0xffffffc0, v7
	v_sub_u32_e32 v17, v6, v7
	v_lshlrev_b32_e32 v6, 4, v17
	v_lshl_add_u32 v8, v16, 10, v6
	v_ashrrev_i32_e32 v9, 31, v8
	v_sub_co_u32_e32 v6, vcc, v10, v8
	s_mov_b64 s[16:17], -1
	s_nop 0
	v_subb_co_u32_e32 v7, vcc, v11, v9, vcc
	v_cmp_gt_i64_e32 vcc, 16, v[6:7]
	v_mov_b64_e32 v[10:11], 0
                                        ; implicit-def: $vgpr34_vgpr35
                                        ; implicit-def: $vgpr6
                                        ; implicit-def: $vgpr7
	s_and_saveexec_b64 s[6:7], vcc
	s_cbranch_execz .LBB18_22
; %bb.19:
	v_cmp_ne_u64_e32 vcc, 0, v[12:13]
	v_mov_b64_e32 v[10:11], 0
                                        ; implicit-def: $vgpr6
                                        ; implicit-def: $vgpr7
	s_and_saveexec_b64 s[16:17], vcc
; %bb.20:
	v_sub_u32_e32 v6, v16, v18
	v_lshl_add_u32 v6, v6, 6, v17
	v_ashrrev_i32_e32 v7, 31, v6
	v_lshrrev_b32_e32 v7, 26, v7
	v_add_u32_e32 v7, v6, v7
	v_and_b32_e32 v10, 0xffffffc0, v7
	s_mov_b64 s[14:15], exec
	v_sub_u32_e32 v6, v6, v10
	v_ashrrev_i32_e32 v7, 6, v7
	v_mov_b64_e32 v[10:11], v[14:15]
; %bb.21:
	s_or_b64 exec, exec, s[16:17]
	s_xor_b64 s[16:17], exec, -1
	s_and_b64 s[14:15], s[14:15], exec
	v_mov_b64_e32 v[34:35], v[12:13]
.LBB18_22:
	s_or_b64 exec, exec, s[6:7]
	s_and_b64 s[6:7], s[16:17], exec
	s_and_b64 s[14:15], s[14:15], exec
.LBB18_23:
	s_or_b64 exec, exec, s[4:5]
	s_xor_b64 s[4:5], exec, -1
	s_and_b64 s[6:7], s[6:7], exec
	s_and_b64 s[14:15], s[14:15], exec
.LBB18_24:
	s_or_b64 exec, exec, s[10:11]
	s_and_saveexec_b64 s[10:11], s[14:15]
	s_cbranch_execz .LBB18_34
.LBB18_25:
	v_ashrrev_i32_e32 v12, 31, v35
	v_lshrrev_b32_e32 v12, 21, v12
	v_mov_b32_e32 v13, 0
	v_lshl_add_u64 v[12:13], v[34:35], 0, v[12:13]
	v_ashrrev_i64 v[14:15], 11, v[12:13]
	v_ashrrev_i32_e32 v13, 31, v7
	v_sub_co_u32_e32 v12, vcc, v14, v7
	s_nop 1
	v_subb_co_u32_e32 v13, vcc, v15, v13, vcc
	v_cmp_gt_i64_e32 vcc, 1, v[12:13]
	s_and_saveexec_b64 s[14:15], vcc
	s_xor_b64 s[14:15], exec, s[14:15]
	s_cbranch_execz .LBB18_31
; %bb.26:
	v_lshlrev_b64 v[14:15], 11, v[14:15]
	v_cmp_ne_u64_e32 vcc, v[34:35], v[14:15]
	s_and_saveexec_b64 s[16:17], vcc
	s_cbranch_execz .LBB18_30
; %bb.27:
	v_lshlrev_b32_e32 v7, 6, v12
	v_sub_co_u32_e32 v16, vcc, v34, v14
	v_sub_u32_e32 v6, v6, v7
	s_nop 0
	v_subb_co_u32_e32 v17, vcc, v35, v15, vcc
	v_ashrrev_i32_e32 v7, 31, v6
	v_cmp_gt_i64_e32 vcc, v[16:17], v[6:7]
	s_and_b64 exec, exec, vcc
	s_cbranch_execz .LBB18_30
; %bb.28:
	v_lshl_add_u64 v[10:11], v[14:15], 0, v[10:11]
	v_lshl_add_u64 v[6:7], v[10:11], 0, v[6:7]
	v_lshl_add_u64 v[10:11], v[6:7], 0, v[2:3]
	flat_load_ubyte v10, v[10:11]
	v_lshl_add_u64 v[6:7], v[6:7], 0, v[4:5]
	s_and_b64 vcc, exec, -1
	s_waitcnt vmcnt(0) lgkmcnt(0)
	flat_store_byte v[6:7], v10 nt
.LBB18_29:                              ; =>This Inner Loop Header: Depth=1
	s_mov_b64 vcc, vcc
	s_cbranch_vccnz .LBB18_29
.LBB18_30:
	s_or_b64 exec, exec, s[16:17]
                                        ; implicit-def: $vgpr7
                                        ; implicit-def: $vgpr6
                                        ; implicit-def: $vgpr10_vgpr11
.LBB18_31:
	s_andn2_saveexec_b64 s[14:15], s[14:15]
	s_cbranch_execz .LBB18_34
; %bb.32:
	v_lshl_add_u32 v6, v7, 11, v6
	v_ashrrev_i32_e32 v7, 31, v6
	v_lshl_add_u64 v[10:11], v[10:11], 0, v[6:7]
	v_lshl_add_u64 v[6:7], v[10:11], 0, v[4:5]
	;; [unrolled: 1-line block ×3, first 2 shown]
	s_and_b64 vcc, exec, 0
.LBB18_33:                              ; =>This Inner Loop Header: Depth=1
	flat_load_ubyte v12, v[10:11] nt
	flat_load_ubyte v13, v[10:11] offset:64 nt
	flat_load_ubyte v14, v[10:11] offset:128 nt
	;; [unrolled: 1-line block ×31, first 2 shown]
	s_waitcnt vmcnt(0) lgkmcnt(0)
	flat_store_byte v[6:7], v12 nt
	flat_store_byte v[6:7], v13 offset:64 nt
	flat_store_byte v[6:7], v14 offset:128 nt
	flat_store_byte v[6:7], v15 offset:192 nt
	flat_store_byte v[6:7], v16 offset:256 nt
	flat_store_byte v[6:7], v17 offset:320 nt
	flat_store_byte v[6:7], v18 offset:384 nt
	flat_store_byte v[6:7], v19 offset:448 nt
	flat_store_byte v[6:7], v22 offset:512 nt
	flat_store_byte v[6:7], v23 offset:576 nt
	flat_store_byte v[6:7], v24 offset:640 nt
	flat_store_byte v[6:7], v25 offset:704 nt
	flat_store_byte v[6:7], v26 offset:768 nt
	flat_store_byte v[6:7], v27 offset:832 nt
	flat_store_byte v[6:7], v28 offset:896 nt
	flat_store_byte v[6:7], v29 offset:960 nt
	flat_store_byte v[6:7], v30 offset:1024 nt
	flat_store_byte v[6:7], v31 offset:1088 nt
	flat_store_byte v[6:7], v32 offset:1152 nt
	flat_store_byte v[6:7], v33 offset:1216 nt
	flat_store_byte v[6:7], v34 offset:1280 nt
	flat_store_byte v[6:7], v35 offset:1344 nt
	flat_store_byte v[6:7], v36 offset:1408 nt
	flat_store_byte v[6:7], v37 offset:1472 nt
	flat_store_byte v[6:7], v38 offset:1536 nt
	flat_store_byte v[6:7], v39 offset:1600 nt
	flat_store_byte v[6:7], v48 offset:1664 nt
	flat_store_byte v[6:7], v49 offset:1728 nt
	flat_store_byte v[6:7], v50 offset:1792 nt
	flat_store_byte v[6:7], v51 offset:1856 nt
	flat_store_byte v[6:7], v52 offset:1920 nt
	flat_store_byte v[6:7], v53 offset:1984 nt
	s_mov_b64 vcc, vcc
	s_cbranch_vccz .LBB18_33
.LBB18_34:
	s_or_b64 exec, exec, s[10:11]
	s_and_saveexec_b64 s[10:11], s[6:7]
	s_cbranch_execz .LBB18_37
; %bb.35:
	v_lshl_add_u64 v[6:7], v[0:1], 0, v[8:9]
	v_lshl_add_u64 v[0:1], v[6:7], 0, v[4:5]
	;; [unrolled: 1-line block ×3, first 2 shown]
	s_and_b64 vcc, exec, 0
.LBB18_36:                              ; =>This Inner Loop Header: Depth=1
	global_load_dwordx4 v[8:11], v[6:7], off nt
	s_waitcnt vmcnt(0)
	global_store_dwordx4 v[0:1], v[8:11], off nt
	s_mov_b64 vcc, vcc
	s_cbranch_vccz .LBB18_36
.LBB18_37:
	s_or_b64 exec, exec, s[10:11]
	s_and_saveexec_b64 s[6:7], s[4:5]
	s_xor_b64 s[6:7], exec, s[6:7]
	s_cbranch_execz .LBB18_40
; %bb.38:
	v_lshlrev_b32_e32 v0, 4, v20
	v_lshl_add_u32 v6, v21, 13, v0
	v_ashrrev_i32_e32 v7, 31, v6
	v_lshl_add_u64 v[0:1], v[4:5], 0, v[6:7]
	v_lshl_add_u64 v[2:3], v[2:3], 0, v[6:7]
	s_mov_b64 s[4:5], 0x1000
	s_mov_b64 s[6:7], 0x1400
	;; [unrolled: 1-line block ×4, first 2 shown]
	v_lshl_add_u64 v[4:5], v[2:3], 0, s[4:5]
	v_lshl_add_u64 v[6:7], v[2:3], 0, s[6:7]
	;; [unrolled: 1-line block ×8, first 2 shown]
	s_and_b64 vcc, exec, 0
.LBB18_39:                              ; =>This Inner Loop Header: Depth=1
	global_load_dwordx4 v[20:23], v[2:3], off nt
	global_load_dwordx4 v[24:27], v[2:3], off offset:1024 nt
	global_load_dwordx4 v[28:31], v[2:3], off offset:2048 nt
	;; [unrolled: 1-line block ×3, first 2 shown]
	global_load_dwordx4 v[36:39], v[4:5], off nt
	global_load_dwordx4 v[48:51], v[6:7], off nt
	;; [unrolled: 1-line block ×4, first 2 shown]
	s_waitcnt vmcnt(0)
	global_store_dwordx4 v[0:1], v[20:23], off nt
	global_store_dwordx4 v[0:1], v[24:27], off offset:1024 nt
	global_store_dwordx4 v[0:1], v[28:31], off offset:2048 nt
	;; [unrolled: 1-line block ×3, first 2 shown]
	global_store_dwordx4 v[12:13], v[36:39], off nt
	global_store_dwordx4 v[14:15], v[48:51], off nt
	;; [unrolled: 1-line block ×4, first 2 shown]
	s_mov_b64 vcc, vcc
	s_cbranch_vccz .LBB18_39
.LBB18_40:
	s_or_b64 exec, exec, s[2:3]
                                        ; implicit-def: $vgpr34_vgpr35
                                        ; implicit-def: $agpr8_agpr9
                                        ; implicit-def: $vgpr22_vgpr23
                                        ; implicit-def: $vgpr32_vgpr33
                                        ; implicit-def: $vgpr61
                                        ; implicit-def: $vgpr16
                                        ; implicit-def: $vgpr52_vgpr53
                                        ; implicit-def: $vgpr31
                                        ; implicit-def: $vgpr20_vgpr21
                                        ; implicit-def: $vgpr2_vgpr3
.LBB18_41:
	s_andn2_saveexec_b64 s[34:35], s[0:1]
	s_cbranch_execz .LBB18_1033
; %bb.42:
	s_trap 2
	ds_read_b64 v[4:5], v0
	s_waitcnt lgkmcnt(0)
	v_cmp_ne_u32_e32 vcc, -1, v4
	s_nop 1
	v_cndmask_b32_e64 v1, 0, 1, vcc
	v_cmp_ne_u32_e32 vcc, -1, v5
	s_nop 1
	v_addc_co_u32_e64 v0, s[0:1], 0, v1, vcc
	v_lshlrev_b32_e32 v4, 1, v0
	v_cmp_le_i32_e64 s[0:1], v4, v16
	s_and_saveexec_b64 s[2:3], s[0:1]
	s_xor_b64 s[36:37], exec, s[2:3]
	s_cbranch_execz .LBB18_1030
; %bb.43:
	flat_load_dwordx2 v[4:5], v[2:3] offset:104
	flat_load_ushort v13, v[2:3] offset:8
	flat_load_dword v12, v[2:3] offset:4
	s_trap 2
	s_load_dword s0, s[8:9], 0x0
	v_mov_b32_e32 v6, 0
	v_mov_b32_e32 v62, 4
	s_waitcnt lgkmcnt(0)
	s_cmp_lt_u32 s12, s0
	s_cselect_b32 s0, 12, 18
	s_add_u32 s0, s8, s0
	s_addc_u32 s1, s9, 0
	global_load_ushort v17, v6, s[0:1]
	ds_read_b32 v6, v0
	v_cmp_ge_i32_e64 s[0:1], v61, v1
	s_waitcnt lgkmcnt(0)
	v_readfirstlane_b32 s14, v6
	s_and_saveexec_b64 s[2:3], s[0:1]
	s_cbranch_execz .LBB18_53
; %bb.44:
	v_cmp_le_u32_e64 s[0:1], v0, v61
                                        ; implicit-def: $vgpr62
	s_and_saveexec_b64 s[4:5], s[0:1]
	s_xor_b64 s[0:1], exec, s[4:5]
	s_cbranch_execz .LBB18_50
; %bb.45:
	v_cndmask_b32_e64 v6, 0, 1, vcc
	v_sub_u32_e32 v6, v16, v6
	v_cmp_ge_u32_e32 vcc, v61, v6
                                        ; implicit-def: $sgpr6
	s_and_saveexec_b64 s[4:5], vcc
	s_xor_b64 s[4:5], exec, s[4:5]
; %bb.46:
	s_mov_b32 s6, 16
                                        ; implicit-def: $vgpr0
; %bb.47:
	s_or_saveexec_b64 s[4:5], s[4:5]
	v_mov_b32_e32 v62, s6
	s_xor_b64 exec, exec, s[4:5]
; %bb.48:
	v_sub_u32_e32 v0, v16, v0
	v_cmp_ge_i32_e32 vcc, v61, v0
	s_nop 1
	v_cndmask_b32_e64 v0, 0, 1, vcc
	v_lshlrev_b32_e32 v62, 5, v0
; %bb.49:
	s_or_b64 exec, exec, s[4:5]
.LBB18_50:
	s_andn2_saveexec_b64 s[0:1], s[0:1]
; %bb.51:
	v_mov_b32_e32 v62, 8
; %bb.52:
	s_or_b64 exec, exec, s[0:1]
.LBB18_53:
	s_or_b64 exec, exec, s[2:3]
	v_and_b32_e32 v0, 36, v62
	v_cmp_ne_u32_e32 vcc, 0, v0
	v_mov_b32_e32 v14, -1
	s_and_saveexec_b64 s[0:1], vcc
	s_cbranch_execz .LBB18_55
; %bb.54:
	s_trap 2
	ds_read_b32 v14, v0
.LBB18_55:
	s_or_b64 exec, exec, s[0:1]
	v_and_b32_e32 v0, 24, v62
	v_cmp_ne_u32_e64 s[0:1], 0, v0
	s_and_saveexec_b64 s[2:3], s[0:1]
	s_cbranch_execz .LBB18_57
; %bb.56:
	s_trap 2
	s_waitcnt lgkmcnt(0)
	ds_read_b32 v14, v0
.LBB18_57:
	s_or_b64 exec, exec, s[2:3]
	s_waitcnt vmcnt(0)
	v_lshrrev_b64 v[6:7], 31, v[12:13]
	v_mov_b64_e32 v[12:13], 0
	v_and_b32_e32 v0, 3, v6
	v_mov_b64_e32 v[40:41], v[12:13]
                                        ; implicit-def: $agpr16_agpr17
                                        ; implicit-def: $vgpr44
                                        ; implicit-def: $vgpr38_vgpr39
                                        ; implicit-def: $vgpr58_vgpr59
                                        ; implicit-def: $vgpr36_vgpr37
                                        ; implicit-def: $vgpr26_vgpr27
	s_and_saveexec_b64 s[0:1], vcc
	s_cbranch_execz .LBB18_67
; %bb.58:
	s_trap 2
	ds_read_b64 v[6:7], v0
	s_waitcnt lgkmcnt(1)
	v_ashrrev_i32_e32 v15, 31, v14
	v_and_b32_e32 v8, 0xffff, v0
	s_movk_i32 s2, 0xa8
                                        ; implicit-def: $agpr16_agpr17
	s_waitcnt lgkmcnt(0)
	v_lshl_add_u64 v[6:7], v[14:15], 3, v[6:7]
	flat_load_dwordx2 v[6:7], v[6:7]
	s_waitcnt vmcnt(0) lgkmcnt(0)
	v_mad_u64_u32 v[6:7], s[2:3], v8, s2, v[6:7]
	flat_load_dword v8, v[6:7] offset:640
	s_mov_b64 s[2:3], 0x1f8
	v_lshl_add_u64 v[12:13], v[6:7], 0, s[2:3]
	s_waitcnt vmcnt(0) lgkmcnt(0)
	v_cmp_eq_u32_e32 vcc, 1, v8
	s_and_saveexec_b64 s[2:3], vcc
	s_cbranch_execz .LBB18_60
; %bb.59:
	flat_load_dwordx2 v[8:9], v[12:13] offset:144
	v_or_b32_e32 v62, 0x2000, v62
	s_waitcnt vmcnt(0) lgkmcnt(0)
	flat_load_dwordx2 v[6:7], v[8:9]
	s_trap 2
	v_accvgpr_write_b32 a17, v9
	v_accvgpr_write_b32 a16, v8
	s_waitcnt vmcnt(0) lgkmcnt(0)
	ds_write_b64 v0, v[6:7]
	flat_load_dwordx2 v[6:7], v[8:9] offset:8
	s_waitcnt vmcnt(0) lgkmcnt(0)
	ds_write_b64 v0, v[6:7]
	flat_load_dwordx2 v[6:7], v[8:9] offset:16
	s_waitcnt vmcnt(0) lgkmcnt(0)
	ds_write_b64 v0, v[6:7]
.LBB18_60:
	s_or_b64 exec, exec, s[2:3]
	flat_load_dwordx2 v[6:7], v[12:13] offset:104
	v_and_b32_e32 v8, 32, v62
	v_cmp_ne_u32_e32 vcc, 0, v8
                                        ; implicit-def: $vgpr26_vgpr27
	s_waitcnt vmcnt(0) lgkmcnt(0)
	v_lshl_add_u64 v[38:39], v[6:7], 0, 3
	v_and_b32_e32 v38, -4, v38
	s_and_saveexec_b64 s[2:3], vcc
	s_cbranch_execz .LBB18_62
; %bb.61:
	flat_load_dwordx2 v[26:27], v[12:13] offset:56
	s_waitcnt vmcnt(0) lgkmcnt(0)
	flat_store_dwordx2 v[26:27], v[38:39] sc0 sc1
.LBB18_62:
	s_or_b64 exec, exec, s[2:3]
	v_and_b32_e32 v6, 4, v62
	v_cmp_ne_u32_e32 vcc, 0, v6
	v_mov_b64_e32 v[40:41], 0
                                        ; implicit-def: $vgpr44
                                        ; implicit-def: $vgpr58_vgpr59
                                        ; implicit-def: $vgpr36_vgpr37
	s_and_saveexec_b64 s[2:3], vcc
	s_cbranch_execz .LBB18_66
; %bb.63:
	v_and_b32_e32 v6, 0x800, v62
	v_cmp_eq_u32_e32 vcc, 0, v6
	s_and_saveexec_b64 s[4:5], vcc
	s_cbranch_execz .LBB18_65
; %bb.64:
	s_trap 2
	ds_write_b64 v0, v[12:13]
.LBB18_65:
	s_or_b64 exec, exec, s[4:5]
	flat_load_dwordx2 v[26:27], v[12:13] offset:48
	v_or_b32_e32 v6, 0x100, v62
	s_waitcnt vmcnt(0) lgkmcnt(0)
	flat_load_dwordx2 v[36:37], v[26:27] sc0 sc1
	flat_load_dwordx2 v[40:41], v[12:13] offset:96
	flat_load_dword v44, v[12:13] offset:72
	flat_load_dwordx2 v[58:59], v[12:13] offset:16
	s_waitcnt vmcnt(0) lgkmcnt(0)
	v_cmp_eq_u64_e32 vcc, 0, v[40:41]
	s_nop 1
	v_cndmask_b32_e32 v62, v6, v62, vcc
.LBB18_66:
	s_or_b64 exec, exec, s[2:3]
.LBB18_67:
	s_or_b64 exec, exec, s[0:1]
	v_and_b32_e32 v6, 24, v62
	v_cmp_ne_u32_e32 vcc, 0, v6
                                        ; implicit-def: $agpr54_agpr55
	s_and_saveexec_b64 s[0:1], vcc
	s_cbranch_execz .LBB18_75
; %bb.68:
	s_trap 2
	ds_read_b64 v[6:7], v0
	s_waitcnt lgkmcnt(0)
	v_ashrrev_i32_e32 v15, 31, v14
	v_and_b32_e32 v0, 0xffff, v0
	s_movk_i32 s2, 0xa8
                                        ; implicit-def: $agpr54_agpr55
	v_lshl_add_u64 v[6:7], v[14:15], 3, v[6:7]
	flat_load_dwordx2 v[6:7], v[6:7]
	s_waitcnt vmcnt(0) lgkmcnt(0)
	v_mad_u64_u32 v[12:13], s[2:3], v0, s2, v[6:7]
	flat_load_dwordx4 v[40:43], v[12:13] offset:96
	v_or_b32_e32 v0, 0x100, v62
	s_waitcnt vmcnt(0) lgkmcnt(0)
	v_cmp_eq_u64_e32 vcc, 0, v[40:41]
	s_nop 1
	v_cndmask_b32_e32 v62, v0, v62, vcc
	v_and_b32_e32 v0, 16, v62
	v_cmp_ne_u32_e32 vcc, 0, v0
	s_and_saveexec_b64 s[2:3], vcc
	s_cbranch_execz .LBB18_70
; %bb.69:
	flat_load_dwordx2 a[54:55], v[12:13] offset:120
	flat_load_dwordx2 v[26:27], v[12:13] offset:48
	;; [unrolled: 1-line block ×3, first 2 shown]
.LBB18_70:
	s_or_b64 exec, exec, s[2:3]
	v_lshl_add_u64 v[38:39], v[42:43], 0, 3
	v_and_b32_e32 v0, 8, v62
	v_and_b32_e32 v38, -4, v38
	v_cmp_ne_u32_e32 vcc, 0, v0
	s_and_saveexec_b64 s[2:3], vcc
	s_cbranch_execz .LBB18_74
; %bb.71:
	v_and_b32_e32 v0, 0x800, v62
	v_cmp_eq_u32_e32 vcc, 0, v0
	s_and_saveexec_b64 s[4:5], vcc
	s_cbranch_execz .LBB18_73
; %bb.72:
	s_trap 2
	ds_write_b64 v0, v[12:13]
.LBB18_73:
	s_or_b64 exec, exec, s[4:5]
	s_waitcnt vmcnt(0) lgkmcnt(0)
	flat_load_dwordx2 v[26:27], v[12:13] offset:56
	s_waitcnt vmcnt(0) lgkmcnt(0)
	flat_load_dwordx2 v[36:37], v[26:27] sc0 sc1
	flat_load_dword v44, v[12:13] offset:72
	flat_load_dwordx2 v[58:59], v[12:13] offset:16
.LBB18_74:
	s_or_b64 exec, exec, s[2:3]
.LBB18_75:
	s_or_b64 exec, exec, s[0:1]
	v_cmp_eq_u32_e64 s[0:1], 0, v61
	s_and_saveexec_b64 s[2:3], s[0:1]
	s_cbranch_execz .LBB18_77
; %bb.76:
	flat_load_dwordx2 v[6:7], v[2:3] offset:32
	v_mov_b32_e32 v8, v20
	v_mov_b32_e32 v9, v21
	;; [unrolled: 1-line block ×4, first 2 shown]
	ds_write2_b64 v0, v[8:9], v[10:11] offset1:1
	s_trap 2
	s_waitcnt vmcnt(0) lgkmcnt(0)
	ds_write_b64 v0, v[6:7]
	ds_write_b64 v0, v[4:5]
.LBB18_77:
	s_or_b64 exec, exec, s[2:3]
	s_mov_b64 s[40:41], 0
	v_cmp_ne_u64_e32 vcc, 0, v[34:35]
	s_waitcnt lgkmcnt(0)
	v_mov_b64_e32 v[14:15], 0
	s_and_saveexec_b64 s[38:39], vcc
	s_cbranch_execz .LBB18_994
; %bb.78:
	flat_load_dword v0, v[2:3] offset:4
	v_mov_b32_e32 v49, 0
	v_lshlrev_b32_e32 v4, 9, v22
	v_mov_b32_e32 v11, v49
	v_cvt_f64_u32_e32 v[2:3], 0
	v_and_b32_e32 v10, 0x3ffffe00, v4
	v_accvgpr_write_b32 a33, v11
	s_ashr_i32 s12, s14, 31
	v_and_b32_e32 v5, 63, v31
	v_ashrrev_i32_e32 v6, 31, v61
	v_ldexp_f64 v[2:3], v[2:3], 32
	v_accvgpr_write_b32 a32, v10
	v_cvt_f64_u32_e32 v[10:11], v10
	v_accvgpr_write_b32 a19, v13
	s_lshr_b32 s15, s12, 26
	v_cmp_eq_u32_e64 s[12:13], 0, v5
	v_lshrrev_b32_e32 v5, 26, v6
	v_add_f64 v[2:3], v[2:3], v[10:11]
	v_accvgpr_write_b32 a18, v12
	v_lshrrev_b32_e32 v50, 6, v16
	v_mov_b32_e32 v8, 0xfffff800
	v_add_u32_e32 v12, v61, v5
	v_accvgpr_write_b32 a39, v3
	v_mov_b32_e32 v7, 0xfffff000
	v_and_b32_e32 v42, 0xffffffc0, v16
	v_mov_b32_e32 v9, 0xffffe000
	v_lshlrev_b32_e32 v60, 10, v50
	v_lshl_add_u32 v6, v50, 11, v8
	v_accvgpr_write_b32 a38, v2
	v_ashrrev_i32_e32 v30, 6, v12
	v_and_b32_e32 v2, 0xffffffc0, v12
	s_mov_b64 s[18:19], 0x800
	v_lshl_add_u32 v4, v50, 12, v7
	v_subrev_u32_e32 v54, 64, v42
	v_lshl_add_u32 v8, v50, 13, v9
	v_add_u32_e32 v28, 0xfffffc00, v60
	v_ashrrev_i32_e32 v7, 31, v6
	v_sub_u32_e32 v3, v61, v2
	v_lshlrev_b32_e32 v2, 12, v30
	v_accvgpr_write_b32 a10, v18
	s_mov_b64 s[44:45], 0x400
	s_mov_b64 s[20:21], 0x2000
	s_add_i32 s14, s14, s15
	v_ashrrev_i32_e32 v55, 31, v54
	v_ashrrev_i32_e32 v9, 31, v8
	v_ashrrev_i32_e32 v29, 31, v28
	v_lshl_add_u64 v[56:57], v[6:7], 0, s[18:19]
	v_lshl_add_u32 v6, v3, 4, v2
	v_accvgpr_write_b32 a11, v19
	v_accvgpr_write_b32 a12, v20
	v_accvgpr_write_b32 a13, v21
	v_cmp_eq_u32_e64 s[2:3], 64, v16
	v_cmp_ne_u32_e64 s[4:5], 64, v16
	v_accvgpr_write_b32 a5, v17
	v_cmp_ne_u32_sdwa s[42:43], v17, v16 src0_sel:WORD_0 src1_sel:DWORD
	v_accvgpr_write_b32 a0, v16
	s_waitcnt vmcnt(0)
	v_accvgpr_read_b32 v16, a54
	s_ashr_i32 s79, s14, 6
	v_lshl_add_u64 v[22:23], v[54:55], 0, 64
	v_lshl_add_u64 v[20:21], v[8:9], 0, s[20:21]
	;; [unrolled: 1-line block ×3, first 2 shown]
	v_ashrrev_i32_e32 v7, 31, v6
	v_ashrrev_i32_e32 v43, 31, v44
	s_mov_b64 s[16:17], 0x1000
	v_accvgpr_read_b32 v17, a55
	v_mov_b64_e32 v[14:15], 0
	v_ashrrev_i32_e32 v5, 31, v4
	s_cmp_gt_i32 s74, 2
	v_accvgpr_write_b32 a49, v7
	v_add_u32_e32 v12, v6, v2
	v_accvgpr_write_b32 a2, v34
	v_accvgpr_write_b32 a6, v52
	;; [unrolled: 1-line block ×5, first 2 shown]
	v_accvgpr_mov_b32 a26, a54
	v_accvgpr_write_b32 a34, v54
	v_accvgpr_write_b32 a37, v29
	;; [unrolled: 1-line block ×4, first 2 shown]
	s_waitcnt lgkmcnt(0)
	v_and_b32_e32 v0, 1, v0
	v_cmp_eq_u32_e64 s[20:21], 1, v0
	v_accvgpr_write_b32 a47, v19
	v_accvgpr_write_b32 a1, v31
	s_movk_i32 s75, 0xffc0
	s_movk_i32 s76, 0xfc00
	v_cmp_eq_u64_e64 s[6:7], 0, v[16:17]
	v_cmp_ne_u64_e64 s[10:11], 0, v[16:17]
	s_movk_i32 s77, 0x270e
	v_mov_b32_e32 v45, 1
	s_mov_b64 s[46:47], 0x7c0
	s_movk_i32 s78, 0x108
	v_mov_b32_e32 v51, v49
	v_lshl_add_u64 v[46:47], v[4:5], 0, s[16:17]
	v_mov_b64_e32 v[4:5], v[14:15]
	v_cmp_gt_i32_e64 s[14:15], 1, v3
	v_cmp_le_i32_e64 s[16:17], v3, v1
	v_accvgpr_write_b32 a41, v3
	v_cmp_lt_i32_e64 s[18:19], v3, v1
	s_cselect_b64 s[48:49], -1, 0
	s_add_i32 s80, s74, -2
	v_accvgpr_write_b32 a48, v6
	v_ashrrev_i32_e32 v13, 31, v12
	s_xor_b64 s[50:51], s[20:21], -1
	v_accvgpr_write_b32 a3, v35
	v_accvgpr_write_b32 a4, v61
	;; [unrolled: 1-line block ×7, first 2 shown]
	v_accvgpr_mov_b32 a27, a55
	v_accvgpr_write_b32 a23, v43
	v_accvgpr_write_b32 a28, v42
	;; [unrolled: 1-line block ×9, first 2 shown]
	s_trap 2
	scratch_store_dwordx2 off, v[12:13], s33 offset:168 ; 8-byte Folded Spill
	s_branch .LBB18_81
.LBB18_79:                              ;   in Loop: Header=BB18_81 Depth=1
	s_or_b64 exec, exec, s[22:23]
.LBB18_80:                              ;   in Loop: Header=BB18_81 Depth=1
	s_or_b64 exec, exec, s[24:25]
	v_accvgpr_read_b32 v4, a30
	v_accvgpr_read_b32 v0, a32
	;; [unrolled: 1-line block ×4, first 2 shown]
	v_lshl_add_u64 v[4:5], v[4:5], 0, v[0:1]
	v_cmp_ge_u64_e32 vcc, v[4:5], v[34:35]
	s_or_b64 s[40:41], vcc, s[40:41]
	s_andn2_b64 exec, exec, s[40:41]
	s_cbranch_execz .LBB18_993
.LBB18_81:                              ; =>This Loop Header: Depth=1
                                        ;     Child Loop BB18_98 Depth 2
                                        ;     Child Loop BB18_129 Depth 2
                                        ;     Child Loop BB18_172 Depth 2
                                        ;     Child Loop BB18_244 Depth 2
                                        ;     Child Loop BB18_249 Depth 2
                                        ;     Child Loop BB18_258 Depth 2
                                        ;     Child Loop BB18_263 Depth 2
                                        ;     Child Loop BB18_211 Depth 2
                                        ;     Child Loop BB18_216 Depth 2
                                        ;       Child Loop BB18_217 Depth 3
                                        ;     Child Loop BB18_227 Depth 2
                                        ;     Child Loop BB18_232 Depth 2
                                        ;       Child Loop BB18_233 Depth 3
                                        ;     Child Loop BB18_274 Depth 2
                                        ;     Child Loop BB18_346 Depth 2
	;; [unrolled: 1-line block ×26, first 2 shown]
                                        ;       Child Loop BB18_699 Depth 3
                                        ;     Child Loop BB18_708 Depth 2
                                        ;     Child Loop BB18_713 Depth 2
                                        ;       Child Loop BB18_714 Depth 3
                                        ;     Child Loop BB18_753 Depth 2
                                        ;     Child Loop BB18_772 Depth 2
	;; [unrolled: 1-line block ×17, first 2 shown]
	v_sub_co_u32_e32 v2, vcc, v34, v4
	v_cvt_f64_u32_e32 v[2:3], v2
	s_nop 0
	v_subb_co_u32_e32 v0, vcc, v35, v5, vcc
	v_cvt_f64_u32_e32 v[0:1], v0
	v_ldexp_f64 v[0:1], v[0:1], 32
	v_add_f64 v[0:1], v[0:1], v[2:3]
	v_accvgpr_read_b32 v2, a38
	v_accvgpr_read_b32 v3, a39
	v_max_f64 v[2:3], v[2:3], v[2:3]
	v_min_f64 v[0:1], v[2:3], v[0:1]
	v_cvt_i32_f64_e32 v6, v[0:1]
	v_accvgpr_read_b32 v0, a8
	v_accvgpr_read_b32 v1, a9
	v_lshl_add_u64 v[16:17], v[4:5], 0, v[0:1]
	flat_load_dword v0, v[52:53]
	v_accvgpr_write_b32 a31, v5
	v_accvgpr_write_b32 a30, v4
	v_accvgpr_read_b32 v8, a10
	v_accvgpr_read_b32 v9, a11
	;; [unrolled: 1-line block ×4, first 2 shown]
	v_max_i32_e32 v31, 0, v6
	v_accvgpr_write_b32 a53, v17
	v_accvgpr_write_b32 a52, v16
	v_cmp_lt_i32_e64 s[24:25], 0, v6
	s_mov_b64 s[30:31], 0
	s_mov_b64 s[28:29], 0
	s_waitcnt vmcnt(0) lgkmcnt(0)
	v_ashrrev_i32_e32 v1, 31, v0
	v_mul_lo_u32 v4, v33, v0
	v_mul_lo_u32 v1, v32, v1
	v_mad_u64_u32 v[2:3], s[22:23], v32, v0, v[16:17]
	v_add3_u32 v3, v4, v3, v1
	v_lshl_add_u64 v[0:1], v[10:11], 0, v[16:17]
	v_lshl_add_u64 v[4:5], v[8:9], 0, v[2:3]
	v_cmp_ne_u64_e32 vcc, v[0:1], v[4:5]
	v_add_u32_e32 v0, 15, v31
	v_ashrrev_i32_e32 v1, 31, v0
	v_lshrrev_b32_e32 v1, 28, v1
	v_add_u32_e32 v0, v0, v1
	v_and_b32_e32 v0, -16, v0
	v_max_i32_e32 v17, s79, v0
	v_cmp_gt_i32_e64 s[22:23], 1, v6
	s_mov_b64 s[26:27], exec
	s_and_b64 vcc, s[26:27], vcc
	s_xor_b64 s[52:53], vcc, s[26:27]
	v_accvgpr_write_b32 a50, v31
	v_accvgpr_write_b32 a51, v17
	s_mov_b64 exec, vcc
	s_cbranch_execz .LBB18_88
; %bb.82:                               ;   in Loop: Header=BB18_81 Depth=1
	v_mov_b32_e32 v0, 0
	v_mov_b32_e32 v24, v17
	s_and_saveexec_b64 s[54:55], s[24:25]
	s_cbranch_execz .LBB18_385
; %bb.83:                               ;   in Loop: Header=BB18_81 Depth=1
	s_and_saveexec_b64 s[26:27], s[0:1]
	s_cbranch_execz .LBB18_85
; %bb.84:                               ;   in Loop: Header=BB18_81 Depth=1
	s_trap 2
	ds_read2_b64 v[4:7], v0 offset1:1
	ds_read_b64 v[0:1], v0
	v_accvgpr_read_b32 v8, a52
	v_accvgpr_read_b32 v9, a53
	s_waitcnt lgkmcnt(1)
	v_lshl_add_u64 v[4:5], v[4:5], 0, v[8:9]
	v_lshl_add_u64 v[6:7], v[6:7], 0, v[2:3]
	s_waitcnt lgkmcnt(0)
	v_lshl_add_u64 v[2:3], v[0:1], 0, v[2:3]
	v_cmp_ne_u64_e32 vcc, 0, v[0:1]
	ds_write_b64 v0, v[4:5]
	ds_write_b64 v0, v[6:7]
	v_cndmask_b32_e32 v1, 0, v3, vcc
	v_cndmask_b32_e32 v0, 0, v2, vcc
	ds_write_b64 v0, v[0:1]
.LBB18_85:                              ;   in Loop: Header=BB18_81 Depth=1
	s_or_b64 exec, exec, s[26:27]
	v_and_b32_e32 v0, 8, v62
	v_cmp_ne_u32_e32 vcc, 0, v0
	s_mov_b64 s[28:29], -1
	s_and_saveexec_b64 s[26:27], vcc
	s_cbranch_execz .LBB18_111
; %bb.86:                               ;   in Loop: Header=BB18_81 Depth=1
	v_lshl_add_u64 v[0:1], v[36:37], 0, 8
	v_lshl_add_u64 v[2:3], v[38:39], 0, 4
	v_cmp_lt_u64_e32 vcc, v[0:1], v[2:3]
	v_mov_b32_e32 v0, 1
	s_and_saveexec_b64 s[28:29], vcc
	s_cbranch_execz .LBB18_110
; %bb.87:                               ;   in Loop: Header=BB18_81 Depth=1
	v_mov_b32_e32 v0, 0
                                        ; implicit-def: $sgpr56_sgpr57
	s_branch .LBB18_98
.LBB18_88:                              ;   in Loop: Header=BB18_81 Depth=1
	s_andn2_saveexec_b64 s[52:53], s[52:53]
	s_cbranch_execz .LBB18_523
.LBB18_89:                              ;   in Loop: Header=BB18_81 Depth=1
	v_mov_b32_e32 v0, 0
	v_mov_b32_e32 v2, v17
	s_and_saveexec_b64 s[54:55], s[24:25]
	s_cbranch_execz .LBB18_431
; %bb.90:                               ;   in Loop: Header=BB18_81 Depth=1
	s_and_saveexec_b64 s[26:27], s[0:1]
	s_cbranch_execz .LBB18_92
; %bb.91:                               ;   in Loop: Header=BB18_81 Depth=1
	s_trap 2
	ds_read_b64 v[0:1], v0
	v_accvgpr_read_b32 v2, a52
	v_accvgpr_read_b32 v3, a53
	v_mov_b32_e32 v48, v49
	s_waitcnt lgkmcnt(0)
	v_lshl_add_u64 v[0:1], v[0:1], 0, v[2:3]
	ds_write_b64 v0, v[0:1]
	ds_write_b64 v0, v[48:49]
.LBB18_92:                              ;   in Loop: Header=BB18_81 Depth=1
	s_or_b64 exec, exec, s[26:27]
	v_and_b32_e32 v0, 8, v62
	v_cmp_ne_u32_e32 vcc, 0, v0
	s_mov_b64 s[56:57], -1
	v_lshl_add_u64 v[4:5], v[38:39], 0, 4
	s_and_saveexec_b64 s[26:27], vcc
	s_cbranch_execz .LBB18_135
; %bb.93:                               ;   in Loop: Header=BB18_81 Depth=1
	v_lshl_add_u64 v[0:1], v[36:37], 0, 8
	v_lshl_add_u64 v[2:3], v[38:39], 0, 4
	v_cmp_lt_u64_e32 vcc, v[0:1], v[2:3]
	v_mov_b32_e32 v0, 1
	s_and_saveexec_b64 s[56:57], vcc
	s_cbranch_execz .LBB18_134
; %bb.94:                               ;   in Loop: Header=BB18_81 Depth=1
	s_mov_b64 s[58:59], 0
	v_mov_b32_e32 v0, 0
                                        ; implicit-def: $sgpr60_sgpr61
	s_branch .LBB18_105
.LBB18_95:                              ;   in Loop: Header=BB18_98 Depth=2
	s_or_b64 exec, exec, s[64:65]
	v_mov_b32_e32 v1, 0
	s_orn2_b64 s[62:63], s[62:63], exec
.LBB18_96:                              ;   in Loop: Header=BB18_98 Depth=2
	s_or_b64 exec, exec, s[60:61]
	s_andn2_b64 vcc, s[56:57], exec
	s_and_b64 s[56:57], s[62:63], exec
	s_or_b64 s[56:57], vcc, s[56:57]
	v_mov_b32_e32 v0, v1
.LBB18_97:                              ;   in Loop: Header=BB18_98 Depth=2
	s_or_b64 exec, exec, s[58:59]
	s_waitcnt vmcnt(0) lgkmcnt(0)
	v_lshl_add_u64 v[4:5], v[36:37], 0, 8
	v_cmp_ge_u64_e32 vcc, v[4:5], v[2:3]
	s_xor_b64 s[58:59], s[56:57], -1
	s_or_b64 vcc, s[58:59], vcc
	s_and_b64 vcc, exec, vcc
	s_or_b64 s[30:31], vcc, s[30:31]
	s_andn2_b64 exec, exec, s[30:31]
	s_cbranch_execz .LBB18_109
.LBB18_98:                              ;   Parent Loop BB18_81 Depth=1
                                        ; =>  This Inner Loop Header: Depth=2
	s_sleep 1
	flat_load_dwordx2 v[36:37], v[26:27] sc0 sc1
	v_and_b32_e32 v1, 64, v62
	v_cmp_eq_u32_e32 vcc, 0, v1
	s_andn2_b64 s[56:57], s[56:57], exec
	s_and_saveexec_b64 s[58:59], vcc
	s_cbranch_execz .LBB18_97
; %bb.99:                               ;   in Loop: Header=BB18_98 Depth=2
	v_add_u32_e32 v1, 1, v0
	v_cmp_lt_i32_e32 vcc, s77, v0
	s_mov_b64 s[62:63], -1
	s_and_saveexec_b64 s[60:61], vcc
	s_cbranch_execz .LBB18_96
; %bb.100:                              ;   in Loop: Header=BB18_98 Depth=2
	s_trap 2
	ds_read_b64 v[0:1], v0
	s_waitcnt vmcnt(0) lgkmcnt(0)
	flat_load_dword v0, v[0:1] sc0 sc1
	s_waitcnt vmcnt(0) lgkmcnt(0)
	buffer_inv sc0 sc1
	v_cmp_ne_u32_e32 vcc, 0, v0
	s_and_saveexec_b64 s[64:65], vcc
	s_cbranch_execz .LBB18_95
; %bb.101:                              ;   in Loop: Header=BB18_98 Depth=2
	v_or_b32_e32 v62, 64, v62
	s_xor_b64 s[62:63], exec, -1
	ds_write_b32 v0, v0
	s_trap 2
	s_branch .LBB18_95
.LBB18_102:                             ;   in Loop: Header=BB18_105 Depth=2
	s_or_b64 exec, exec, s[68:69]
	v_mov_b32_e32 v1, 0
	s_orn2_b64 s[66:67], s[66:67], exec
.LBB18_103:                             ;   in Loop: Header=BB18_105 Depth=2
	s_or_b64 exec, exec, s[64:65]
	s_andn2_b64 vcc, s[60:61], exec
	s_and_b64 s[60:61], s[66:67], exec
	s_or_b64 s[60:61], vcc, s[60:61]
	v_mov_b32_e32 v0, v1
.LBB18_104:                             ;   in Loop: Header=BB18_105 Depth=2
	s_or_b64 exec, exec, s[62:63]
	s_waitcnt vmcnt(0) lgkmcnt(0)
	v_lshl_add_u64 v[6:7], v[36:37], 0, 8
	v_cmp_ge_u64_e32 vcc, v[6:7], v[2:3]
	s_xor_b64 s[62:63], s[60:61], -1
	s_or_b64 vcc, s[62:63], vcc
	s_and_b64 vcc, exec, vcc
	s_or_b64 s[58:59], vcc, s[58:59]
	s_andn2_b64 exec, exec, s[58:59]
	s_cbranch_execz .LBB18_133
.LBB18_105:                             ;   Parent Loop BB18_81 Depth=1
                                        ; =>  This Inner Loop Header: Depth=2
	s_sleep 1
	flat_load_dwordx2 v[36:37], v[26:27] sc0 sc1
	v_and_b32_e32 v1, 64, v62
	v_cmp_eq_u32_e32 vcc, 0, v1
	s_andn2_b64 s[60:61], s[60:61], exec
	s_and_saveexec_b64 s[62:63], vcc
	s_cbranch_execz .LBB18_104
; %bb.106:                              ;   in Loop: Header=BB18_105 Depth=2
	v_add_u32_e32 v1, 1, v0
	v_cmp_lt_i32_e32 vcc, s77, v0
	s_mov_b64 s[66:67], -1
	s_and_saveexec_b64 s[64:65], vcc
	s_cbranch_execz .LBB18_103
; %bb.107:                              ;   in Loop: Header=BB18_105 Depth=2
	s_trap 2
	ds_read_b64 v[0:1], v0
	s_waitcnt vmcnt(0) lgkmcnt(0)
	flat_load_dword v0, v[0:1] sc0 sc1
	s_waitcnt vmcnt(0) lgkmcnt(0)
	buffer_inv sc0 sc1
	v_cmp_ne_u32_e32 vcc, 0, v0
	s_and_saveexec_b64 s[68:69], vcc
	s_cbranch_execz .LBB18_102
; %bb.108:                              ;   in Loop: Header=BB18_105 Depth=2
	v_or_b32_e32 v62, 64, v62
	s_xor_b64 s[66:67], exec, -1
	ds_write_b32 v0, v0
	s_trap 2
	s_branch .LBB18_102
.LBB18_109:                             ;   in Loop: Header=BB18_81 Depth=1
	s_or_b64 exec, exec, s[30:31]
	v_and_b32_e32 v0, 8, v62
.LBB18_110:                             ;   in Loop: Header=BB18_81 Depth=1
	s_or_b64 exec, exec, s[28:29]
	v_cmp_eq_u32_e32 vcc, 0, v0
	s_orn2_b64 s[28:29], vcc, exec
	;;#ASMSTART
	s_wakeup
	;;#ASMEND
.LBB18_111:                             ;   in Loop: Header=BB18_81 Depth=1
	s_or_b64 exec, exec, s[26:27]
	s_xor_b64 s[26:27], s[28:29], -1
	v_min_i32_e32 v24, v17, v31
	s_and_saveexec_b64 s[28:29], s[26:27]
	s_cbranch_execz .LBB18_121
; %bb.112:                              ;   in Loop: Header=BB18_81 Depth=1
	v_and_b32_e32 v0, 0x100, v62
	v_cmp_ne_u32_e32 vcc, 0, v0
	v_and_b32_e32 v0, 7, v38
	s_mov_b64 s[26:27], -1
                                        ; implicit-def: $vgpr2_vgpr3
	s_and_saveexec_b64 s[30:31], vcc
	s_cbranch_execz .LBB18_116
; %bb.113:                              ;   in Loop: Header=BB18_81 Depth=1
	v_mad_u64_u32 v[4:5], s[26:27], v0, 24, v[40:41]
	flat_load_dword v1, v[4:5]
	v_ashrrev_i32_e32 v25, 31, v24
	flat_store_dwordx2 v[4:5], v[24:25] offset:8
                                        ; implicit-def: $vgpr2_vgpr3
	s_waitcnt vmcnt(0) lgkmcnt(0)
	v_cmp_ne_u32_e32 vcc, 1, v1
	v_cmp_eq_u32_e64 s[26:27], 1, v1
	s_and_saveexec_b64 s[56:57], s[26:27]
	s_cbranch_execz .LBB18_115
; %bb.114:                              ;   in Loop: Header=BB18_81 Depth=1
	flat_load_dword v2, v[4:5] offset:4 sc0 sc1
	s_waitcnt vmcnt(0) lgkmcnt(0)
	v_ashrrev_i32_e32 v3, 31, v2
.LBB18_115:                             ;   in Loop: Header=BB18_81 Depth=1
	s_or_b64 exec, exec, s[56:57]
	s_orn2_b64 s[26:27], vcc, exec
.LBB18_116:                             ;   in Loop: Header=BB18_81 Depth=1
	s_or_b64 exec, exec, s[30:31]
	s_and_saveexec_b64 vcc, s[26:27]
; %bb.117:                              ;   in Loop: Header=BB18_81 Depth=1
	v_mad_i64_i32 v[2:3], s[26:27], v0, v44, 0
; %bb.118:                              ;   in Loop: Header=BB18_81 Depth=1
	s_or_b64 exec, exec, vcc
	v_lshl_add_u64 v[0:1], v[58:59], 0, v[2:3]
	ds_write_b64 v0, v[0:1] offset:792
	v_and_b32_e32 v0, 0x2000, v62
	v_cmp_ne_u32_e32 vcc, 0, v0
	s_and_saveexec_b64 s[26:27], vcc
	s_cbranch_execz .LBB18_120
; %bb.119:                              ;   in Loop: Header=BB18_81 Depth=1
	ds_read_b64 v[0:1], v0 offset:584
	s_waitcnt lgkmcnt(0)
	v_lshl_add_u64 v[0:1], v[0:1], 0, 1
	ds_write_b64 v0, v[0:1] offset:584
.LBB18_120:                             ;   in Loop: Header=BB18_81 Depth=1
	s_or_b64 exec, exec, s[26:27]
	v_lshl_add_u64 v[38:39], v[38:39], 0, 4
.LBB18_121:                             ;   in Loop: Header=BB18_81 Depth=1
	s_or_b64 exec, exec, s[28:29]
	s_and_saveexec_b64 s[26:27], s[4:5]
	s_cbranch_execz .LBB18_164
; %bb.122:                              ;   in Loop: Header=BB18_81 Depth=1
	s_and_saveexec_b64 s[28:29], s[42:43]
	s_xor_b64 s[28:29], exec, s[28:29]
	s_cbranch_execz .LBB18_161
; %bb.123:                              ;   in Loop: Header=BB18_81 Depth=1
	s_and_saveexec_b64 s[30:31], s[12:13]
	s_cbranch_execz .LBB18_160
; %bb.124:                              ;   in Loop: Header=BB18_81 Depth=1
	s_mov_b64 s[58:59], exec
	v_mbcnt_lo_u32_b32 v0, s58, 0
	v_mbcnt_hi_u32_b32 v0, s59, v0
	v_cmp_eq_u32_e32 vcc, 0, v0
	s_waitcnt lgkmcnt(0)
	s_and_saveexec_b64 s[56:57], vcc
	s_cbranch_execz .LBB18_126
; %bb.125:                              ;   in Loop: Header=BB18_81 Depth=1
	s_bcnt1_i32_b64 vcc_lo, s[58:59]
	v_mov_b32_e32 v48, vcc_lo
	ds_add_u64 v0, v[48:49]
	s_trap 2
.LBB18_126:                             ;   in Loop: Header=BB18_81 Depth=1
	s_or_b64 exec, exec, s[56:57]
	s_trap 2
	ds_read_b64 v[0:1], v0
	v_lshl_add_u64 v[14:15], v[14:15], 0, v[50:51]
	s_waitcnt lgkmcnt(0)
	v_cmp_lt_u64_e32 vcc, v[0:1], v[14:15]
	s_and_saveexec_b64 s[56:57], vcc
	s_cbranch_execz .LBB18_159
; %bb.127:                              ;   in Loop: Header=BB18_81 Depth=1
	s_mov_b32 s68, 0
	s_mov_b64 s[58:59], 0
                                        ; implicit-def: $sgpr60_sgpr61
                                        ; implicit-def: $sgpr62_sgpr63
	s_branch .LBB18_129
.LBB18_128:                             ;   in Loop: Header=BB18_129 Depth=2
	s_or_b64 exec, exec, s[66:67]
	s_and_b64 vcc, exec, vcc
	s_or_b64 s[58:59], vcc, s[58:59]
	s_andn2_b64 vcc, s[60:61], exec
	s_and_b64 s[60:61], s[62:63], exec
	s_or_b64 s[60:61], vcc, s[60:61]
	s_andn2_b64 exec, exec, s[58:59]
	s_cbranch_execz .LBB18_157
.LBB18_129:                             ;   Parent Loop BB18_81 Depth=1
                                        ; =>  This Inner Loop Header: Depth=2
	s_add_i32 s68, s68, 1
	s_cmpk_lg_i32 s68, 0x2710
	s_cselect_b64 s[64:65], -1, 0
	s_and_b64 vcc, exec, s[64:65]
                                        ; implicit-def: $sgpr66_sgpr67
	s_cbranch_vccnz .LBB18_131
; %bb.130:                              ;   in Loop: Header=BB18_129 Depth=2
	s_trap 2
	ds_read_b64 v[0:1], v0
	s_andn2_b64 s[64:65], s[64:65], exec
	s_mov_b32 s68, 0
	s_mov_b64 s[66:67], -1
	s_waitcnt lgkmcnt(0)
	flat_load_dword v0, v[0:1] sc0 sc1
	s_waitcnt vmcnt(0) lgkmcnt(0)
	buffer_inv sc0 sc1
	v_cmp_eq_u32_e32 vcc, 0, v0
	s_and_b64 vcc, vcc, exec
	s_or_b64 s[64:65], s[64:65], vcc
.LBB18_131:                             ;   in Loop: Header=BB18_129 Depth=2
	s_andn2_b64 s[62:63], s[62:63], exec
	s_and_b64 s[66:67], s[66:67], exec
	s_mov_b64 vcc, -1
	s_or_b64 s[62:63], s[62:63], s[66:67]
	s_and_saveexec_b64 s[66:67], s[64:65]
	s_cbranch_execz .LBB18_128
; %bb.132:                              ;   in Loop: Header=BB18_129 Depth=2
	s_sleep 1
	s_trap 2
	ds_read_b64 v[0:1], v0
	s_andn2_b64 s[62:63], s[62:63], exec
	s_waitcnt lgkmcnt(0)
	v_cmp_ge_u64_e32 vcc, v[0:1], v[14:15]
	s_orn2_b64 vcc, vcc, exec
	s_branch .LBB18_128
.LBB18_133:                             ;   in Loop: Header=BB18_81 Depth=1
	s_or_b64 exec, exec, s[58:59]
	v_and_b32_e32 v0, 8, v62
.LBB18_134:                             ;   in Loop: Header=BB18_81 Depth=1
	s_or_b64 exec, exec, s[56:57]
	v_cmp_eq_u32_e32 vcc, 0, v0
	s_orn2_b64 s[56:57], vcc, exec
	;;#ASMSTART
	s_wakeup
	;;#ASMEND
.LBB18_135:                             ;   in Loop: Header=BB18_81 Depth=1
	s_or_b64 exec, exec, s[26:27]
	s_xor_b64 s[26:27], s[56:57], -1
	v_min_i32_e32 v2, v17, v31
	s_and_saveexec_b64 s[56:57], s[26:27]
	s_cbranch_execz .LBB18_145
; %bb.136:                              ;   in Loop: Header=BB18_81 Depth=1
	v_and_b32_e32 v0, 0x100, v62
	v_cmp_ne_u32_e32 vcc, 0, v0
	v_and_b32_e32 v0, 7, v38
	s_mov_b64 s[26:27], -1
                                        ; implicit-def: $vgpr8_vgpr9
	s_and_saveexec_b64 s[58:59], vcc
	s_cbranch_execz .LBB18_140
; %bb.137:                              ;   in Loop: Header=BB18_81 Depth=1
	v_mad_u64_u32 v[10:11], s[26:27], v0, 24, v[40:41]
	flat_load_dword v1, v[10:11]
	v_ashrrev_i32_e32 v3, 31, v2
	flat_store_dwordx2 v[10:11], v[2:3] offset:8
                                        ; implicit-def: $vgpr8_vgpr9
	s_waitcnt vmcnt(0) lgkmcnt(0)
	v_cmp_ne_u32_e32 vcc, 1, v1
	v_cmp_eq_u32_e64 s[26:27], 1, v1
	s_and_saveexec_b64 s[60:61], s[26:27]
	s_cbranch_execz .LBB18_139
; %bb.138:                              ;   in Loop: Header=BB18_81 Depth=1
	flat_load_dword v8, v[10:11] offset:4 sc0 sc1
	s_waitcnt vmcnt(0) lgkmcnt(0)
	v_ashrrev_i32_e32 v9, 31, v8
.LBB18_139:                             ;   in Loop: Header=BB18_81 Depth=1
	s_or_b64 exec, exec, s[60:61]
	s_orn2_b64 s[26:27], vcc, exec
.LBB18_140:                             ;   in Loop: Header=BB18_81 Depth=1
	s_or_b64 exec, exec, s[58:59]
	s_and_saveexec_b64 vcc, s[26:27]
; %bb.141:                              ;   in Loop: Header=BB18_81 Depth=1
	v_mad_i64_i32 v[8:9], s[26:27], v0, v44, 0
; %bb.142:                              ;   in Loop: Header=BB18_81 Depth=1
	s_or_b64 exec, exec, vcc
	v_lshl_add_u64 v[0:1], v[58:59], 0, v[8:9]
	ds_write_b64 v0, v[0:1] offset:784
	v_and_b32_e32 v0, 0x2000, v62
	v_cmp_ne_u32_e32 vcc, 0, v0
	s_and_saveexec_b64 s[26:27], vcc
	s_cbranch_execz .LBB18_144
; %bb.143:                              ;   in Loop: Header=BB18_81 Depth=1
	ds_read_b64 v[0:1], v0 offset:584
	s_waitcnt lgkmcnt(0)
	v_lshl_add_u64 v[0:1], v[0:1], 0, 1
	ds_write_b64 v0, v[0:1] offset:584
.LBB18_144:                             ;   in Loop: Header=BB18_81 Depth=1
	s_or_b64 exec, exec, s[26:27]
	v_mov_b64_e32 v[38:39], v[4:5]
.LBB18_145:                             ;   in Loop: Header=BB18_81 Depth=1
	s_or_b64 exec, exec, s[56:57]
	s_and_saveexec_b64 s[26:27], s[4:5]
	s_cbranch_execz .LBB18_183
; %bb.146:                              ;   in Loop: Header=BB18_81 Depth=1
	s_and_saveexec_b64 vcc, s[42:43]
	s_xor_b64 s[56:57], exec, vcc
	s_cbranch_execz .LBB18_180
; %bb.147:                              ;   in Loop: Header=BB18_81 Depth=1
	s_and_saveexec_b64 s[58:59], s[12:13]
	s_cbranch_execz .LBB18_179
; %bb.148:                              ;   in Loop: Header=BB18_81 Depth=1
	s_mov_b64 s[62:63], exec
	v_mbcnt_lo_u32_b32 v0, s62, 0
	v_mbcnt_hi_u32_b32 v0, s63, v0
	v_cmp_eq_u32_e32 vcc, 0, v0
	s_waitcnt lgkmcnt(0)
	s_and_saveexec_b64 s[60:61], vcc
	s_cbranch_execz .LBB18_150
; %bb.149:                              ;   in Loop: Header=BB18_81 Depth=1
	s_bcnt1_i32_b64 vcc_lo, s[62:63]
	v_mov_b32_e32 v48, vcc_lo
	ds_add_u64 v0, v[48:49]
	s_trap 2
.LBB18_150:                             ;   in Loop: Header=BB18_81 Depth=1
	s_or_b64 exec, exec, s[60:61]
	s_trap 2
	ds_read_b64 v[0:1], v0
	v_lshl_add_u64 v[14:15], v[14:15], 0, v[50:51]
	s_waitcnt lgkmcnt(0)
	v_cmp_lt_u64_e32 vcc, v[0:1], v[14:15]
	s_and_saveexec_b64 s[60:61], vcc
	s_cbranch_execz .LBB18_178
; %bb.151:                              ;   in Loop: Header=BB18_81 Depth=1
	s_mov_b32 s72, 0
	s_mov_b64 s[62:63], 0
                                        ; implicit-def: $sgpr64_sgpr65
                                        ; implicit-def: $sgpr66_sgpr67
	s_branch .LBB18_153
.LBB18_152:                             ;   in Loop: Header=BB18_153 Depth=2
	s_or_b64 exec, exec, s[70:71]
	s_and_b64 vcc, exec, vcc
	s_or_b64 s[62:63], vcc, s[62:63]
	s_andn2_b64 vcc, s[64:65], exec
	s_and_b64 s[64:65], s[66:67], exec
	s_or_b64 s[64:65], vcc, s[64:65]
	s_andn2_b64 exec, exec, s[62:63]
	s_cbranch_execz .LBB18_176
.LBB18_153:                             ;   Parent Loop BB18_81 Depth=1
                                        ; =>  This Inner Loop Header: Depth=2
	s_add_i32 s72, s72, 1
	s_cmpk_lg_i32 s72, 0x2710
	s_cselect_b64 s[68:69], -1, 0
	s_and_b64 vcc, exec, s[68:69]
                                        ; implicit-def: $sgpr70_sgpr71
	s_cbranch_vccnz .LBB18_155
; %bb.154:                              ;   in Loop: Header=BB18_153 Depth=2
	s_trap 2
	ds_read_b64 v[0:1], v0
	s_andn2_b64 s[68:69], s[68:69], exec
	s_mov_b32 s72, 0
	s_mov_b64 s[70:71], -1
	s_waitcnt vmcnt(0) lgkmcnt(0)
	flat_load_dword v0, v[0:1] sc0 sc1
	s_waitcnt vmcnt(0) lgkmcnt(0)
	buffer_inv sc0 sc1
	v_cmp_eq_u32_e32 vcc, 0, v0
	s_and_b64 vcc, vcc, exec
	s_or_b64 s[68:69], s[68:69], vcc
.LBB18_155:                             ;   in Loop: Header=BB18_153 Depth=2
	s_andn2_b64 s[66:67], s[66:67], exec
	s_and_b64 s[70:71], s[70:71], exec
	s_mov_b64 vcc, -1
	s_or_b64 s[66:67], s[66:67], s[70:71]
	s_and_saveexec_b64 s[70:71], s[68:69]
	s_cbranch_execz .LBB18_152
; %bb.156:                              ;   in Loop: Header=BB18_153 Depth=2
	s_sleep 1
	s_trap 2
	ds_read_b64 v[0:1], v0
	s_andn2_b64 s[66:67], s[66:67], exec
	s_waitcnt lgkmcnt(0)
	v_cmp_ge_u64_e32 vcc, v[0:1], v[14:15]
	s_orn2_b64 vcc, vcc, exec
	s_branch .LBB18_152
.LBB18_157:                             ;   in Loop: Header=BB18_81 Depth=1
	s_or_b64 exec, exec, s[58:59]
	s_and_saveexec_b64 vcc, s[60:61]
	s_xor_b64 vcc, exec, vcc
	s_cbranch_execz .LBB18_159
; %bb.158:                              ;   in Loop: Header=BB18_81 Depth=1
	ds_write_b32 v0, v45
	s_trap 2
.LBB18_159:                             ;   in Loop: Header=BB18_81 Depth=1
	s_or_b64 exec, exec, s[56:57]
	;;#ASMSTART
	s_wakeup
	;;#ASMEND
.LBB18_160:                             ;   in Loop: Header=BB18_81 Depth=1
	s_or_b64 exec, exec, s[30:31]
.LBB18_161:                             ;   in Loop: Header=BB18_81 Depth=1
	s_andn2_saveexec_b64 s[28:29], s[28:29]
	s_cbranch_execz .LBB18_163
; %bb.162:                              ;   in Loop: Header=BB18_81 Depth=1
	s_waitcnt lgkmcnt(0)
	s_barrier
.LBB18_163:                             ;   in Loop: Header=BB18_81 Depth=1
	s_or_b64 exec, exec, s[28:29]
.LBB18_164:                             ;   in Loop: Header=BB18_81 Depth=1
	s_or_b64 exec, exec, s[26:27]
	s_trap 2
	ds_read_b32 v0, v0
	v_and_b32_e32 v1, 0x4000, v62
	v_cmp_ne_u32_e32 vcc, 0, v1
	s_xor_b64 s[26:27], s[2:3], -1
	s_and_b64 s[28:29], s[26:27], vcc
	s_and_saveexec_b64 s[26:27], s[28:29]
	s_cbranch_execz .LBB18_202
; %bb.165:                              ;   in Loop: Header=BB18_81 Depth=1
	s_and_saveexec_b64 s[28:29], s[42:43]
	s_xor_b64 s[28:29], exec, s[28:29]
	s_cbranch_execz .LBB18_199
; %bb.166:                              ;   in Loop: Header=BB18_81 Depth=1
	s_and_saveexec_b64 s[30:31], s[12:13]
	s_cbranch_execz .LBB18_198
; %bb.167:                              ;   in Loop: Header=BB18_81 Depth=1
	s_mov_b64 s[58:59], exec
	v_mbcnt_lo_u32_b32 v1, s58, 0
	v_mbcnt_hi_u32_b32 v1, s59, v1
	v_cmp_eq_u32_e32 vcc, 0, v1
	s_waitcnt lgkmcnt(0)
	s_and_saveexec_b64 s[56:57], vcc
	s_cbranch_execz .LBB18_169
; %bb.168:                              ;   in Loop: Header=BB18_81 Depth=1
	s_bcnt1_i32_b64 vcc_lo, s[58:59]
	v_mov_b32_e32 v48, vcc_lo
	ds_add_u64 v0, v[48:49]
	s_trap 2
.LBB18_169:                             ;   in Loop: Header=BB18_81 Depth=1
	s_or_b64 exec, exec, s[56:57]
	s_trap 2
	ds_read_b64 v[2:3], v0
	v_lshl_add_u64 v[14:15], v[14:15], 0, v[50:51]
	s_waitcnt lgkmcnt(0)
	v_cmp_lt_u64_e32 vcc, v[2:3], v[14:15]
	s_and_saveexec_b64 s[56:57], vcc
	s_cbranch_execz .LBB18_197
; %bb.170:                              ;   in Loop: Header=BB18_81 Depth=1
	s_mov_b32 s68, 0
	s_mov_b64 s[58:59], 0
                                        ; implicit-def: $sgpr60_sgpr61
                                        ; implicit-def: $sgpr62_sgpr63
	s_branch .LBB18_172
.LBB18_171:                             ;   in Loop: Header=BB18_172 Depth=2
	s_or_b64 exec, exec, s[66:67]
	s_and_b64 vcc, exec, vcc
	s_or_b64 s[58:59], vcc, s[58:59]
	s_andn2_b64 vcc, s[60:61], exec
	s_and_b64 s[60:61], s[62:63], exec
	s_or_b64 s[60:61], vcc, s[60:61]
	s_andn2_b64 exec, exec, s[58:59]
	s_cbranch_execz .LBB18_195
.LBB18_172:                             ;   Parent Loop BB18_81 Depth=1
                                        ; =>  This Inner Loop Header: Depth=2
	s_add_i32 s68, s68, 1
	s_cmpk_lg_i32 s68, 0x2710
	s_cselect_b64 s[64:65], -1, 0
	s_and_b64 vcc, exec, s[64:65]
                                        ; implicit-def: $sgpr66_sgpr67
	s_cbranch_vccnz .LBB18_174
; %bb.173:                              ;   in Loop: Header=BB18_172 Depth=2
	s_trap 2
	ds_read_b64 v[2:3], v0
	s_andn2_b64 s[64:65], s[64:65], exec
	s_mov_b32 s68, 0
	s_mov_b64 s[66:67], -1
	s_waitcnt lgkmcnt(0)
	flat_load_dword v1, v[2:3] sc0 sc1
	s_waitcnt vmcnt(0) lgkmcnt(0)
	buffer_inv sc0 sc1
	v_cmp_eq_u32_e32 vcc, 0, v1
	s_and_b64 vcc, vcc, exec
	s_or_b64 s[64:65], s[64:65], vcc
.LBB18_174:                             ;   in Loop: Header=BB18_172 Depth=2
	s_andn2_b64 s[62:63], s[62:63], exec
	s_and_b64 s[66:67], s[66:67], exec
	s_mov_b64 vcc, -1
	s_or_b64 s[62:63], s[62:63], s[66:67]
	s_and_saveexec_b64 s[66:67], s[64:65]
	s_cbranch_execz .LBB18_171
; %bb.175:                              ;   in Loop: Header=BB18_172 Depth=2
	s_sleep 1
	s_trap 2
	ds_read_b64 v[2:3], v0
	s_andn2_b64 s[62:63], s[62:63], exec
	s_waitcnt lgkmcnt(0)
	v_cmp_ge_u64_e32 vcc, v[2:3], v[14:15]
	s_orn2_b64 vcc, vcc, exec
	s_branch .LBB18_171
.LBB18_176:                             ;   in Loop: Header=BB18_81 Depth=1
	s_or_b64 exec, exec, s[62:63]
	s_and_saveexec_b64 vcc, s[64:65]
	s_xor_b64 vcc, exec, vcc
	s_cbranch_execz .LBB18_178
; %bb.177:                              ;   in Loop: Header=BB18_81 Depth=1
	ds_write_b32 v0, v45
	s_trap 2
.LBB18_178:                             ;   in Loop: Header=BB18_81 Depth=1
	s_or_b64 exec, exec, s[60:61]
	;;#ASMSTART
	s_wakeup
	;;#ASMEND
.LBB18_179:                             ;   in Loop: Header=BB18_81 Depth=1
	s_or_b64 exec, exec, s[58:59]
.LBB18_180:                             ;   in Loop: Header=BB18_81 Depth=1
	s_andn2_saveexec_b64 vcc, s[56:57]
	s_cbranch_execz .LBB18_182
; %bb.181:                              ;   in Loop: Header=BB18_81 Depth=1
	s_waitcnt lgkmcnt(0)
	s_barrier
.LBB18_182:                             ;   in Loop: Header=BB18_81 Depth=1
	s_or_b64 exec, exec, vcc
.LBB18_183:                             ;   in Loop: Header=BB18_81 Depth=1
	s_or_b64 exec, exec, s[26:27]
	s_trap 2
	ds_read_b32 v0, v0
	v_and_b32_e32 v1, 0x4000, v62
	v_cmp_ne_u32_e32 vcc, 0, v1
	s_xor_b64 s[26:27], s[2:3], -1
	s_and_b64 vcc, s[26:27], vcc
	s_and_saveexec_b64 s[26:27], vcc
	s_cbranch_execz .LBB18_285
; %bb.184:                              ;   in Loop: Header=BB18_81 Depth=1
	s_and_saveexec_b64 vcc, s[42:43]
	s_xor_b64 s[56:57], exec, vcc
	s_cbranch_execz .LBB18_282
; %bb.185:                              ;   in Loop: Header=BB18_81 Depth=1
	s_and_saveexec_b64 s[58:59], s[12:13]
	s_cbranch_execz .LBB18_281
; %bb.186:                              ;   in Loop: Header=BB18_81 Depth=1
	s_mov_b64 s[62:63], exec
	v_mbcnt_lo_u32_b32 v1, s62, 0
	v_mbcnt_hi_u32_b32 v1, s63, v1
	v_cmp_eq_u32_e32 vcc, 0, v1
	s_waitcnt lgkmcnt(0)
	s_and_saveexec_b64 s[60:61], vcc
	s_cbranch_execz .LBB18_188
; %bb.187:                              ;   in Loop: Header=BB18_81 Depth=1
	s_bcnt1_i32_b64 vcc_lo, s[62:63]
	v_mov_b32_e32 v48, vcc_lo
	ds_add_u64 v0, v[48:49]
	s_trap 2
.LBB18_188:                             ;   in Loop: Header=BB18_81 Depth=1
	s_or_b64 exec, exec, s[60:61]
	s_trap 2
	ds_read_b64 v[4:5], v0
	v_lshl_add_u64 v[14:15], v[14:15], 0, v[50:51]
	s_waitcnt lgkmcnt(0)
	v_cmp_lt_u64_e32 vcc, v[4:5], v[14:15]
	s_and_saveexec_b64 s[60:61], vcc
	s_cbranch_execz .LBB18_280
; %bb.189:                              ;   in Loop: Header=BB18_81 Depth=1
	s_mov_b32 s72, 0
	s_mov_b64 s[62:63], 0
                                        ; implicit-def: $sgpr64_sgpr65
                                        ; implicit-def: $sgpr66_sgpr67
	s_branch .LBB18_191
.LBB18_190:                             ;   in Loop: Header=BB18_191 Depth=2
	s_or_b64 exec, exec, s[70:71]
	s_and_b64 vcc, exec, vcc
	s_or_b64 s[62:63], vcc, s[62:63]
	s_andn2_b64 vcc, s[64:65], exec
	s_and_b64 s[64:65], s[66:67], exec
	s_or_b64 s[64:65], vcc, s[64:65]
	s_andn2_b64 exec, exec, s[62:63]
	s_cbranch_execz .LBB18_278
.LBB18_191:                             ;   Parent Loop BB18_81 Depth=1
                                        ; =>  This Inner Loop Header: Depth=2
	s_add_i32 s72, s72, 1
	s_cmpk_lg_i32 s72, 0x2710
	s_cselect_b64 s[68:69], -1, 0
	s_and_b64 vcc, exec, s[68:69]
                                        ; implicit-def: $sgpr70_sgpr71
	s_cbranch_vccnz .LBB18_193
; %bb.192:                              ;   in Loop: Header=BB18_191 Depth=2
	s_trap 2
	ds_read_b64 v[4:5], v0
	s_andn2_b64 s[68:69], s[68:69], exec
	s_mov_b32 s72, 0
	s_mov_b64 s[70:71], -1
	s_waitcnt vmcnt(0) lgkmcnt(0)
	flat_load_dword v1, v[4:5] sc0 sc1
	s_waitcnt vmcnt(0) lgkmcnt(0)
	buffer_inv sc0 sc1
	v_cmp_eq_u32_e32 vcc, 0, v1
	s_and_b64 vcc, vcc, exec
	s_or_b64 s[68:69], s[68:69], vcc
.LBB18_193:                             ;   in Loop: Header=BB18_191 Depth=2
	s_andn2_b64 s[66:67], s[66:67], exec
	s_and_b64 s[70:71], s[70:71], exec
	s_mov_b64 vcc, -1
	s_or_b64 s[66:67], s[66:67], s[70:71]
	s_and_saveexec_b64 s[70:71], s[68:69]
	s_cbranch_execz .LBB18_190
; %bb.194:                              ;   in Loop: Header=BB18_191 Depth=2
	s_sleep 1
	s_trap 2
	ds_read_b64 v[4:5], v0
	s_andn2_b64 s[66:67], s[66:67], exec
	s_waitcnt lgkmcnt(0)
	v_cmp_ge_u64_e32 vcc, v[4:5], v[14:15]
	s_orn2_b64 vcc, vcc, exec
	s_branch .LBB18_190
.LBB18_195:                             ;   in Loop: Header=BB18_81 Depth=1
	s_or_b64 exec, exec, s[58:59]
	s_and_saveexec_b64 vcc, s[60:61]
	s_xor_b64 vcc, exec, vcc
	s_cbranch_execz .LBB18_197
; %bb.196:                              ;   in Loop: Header=BB18_81 Depth=1
	ds_write_b32 v0, v45
	s_trap 2
.LBB18_197:                             ;   in Loop: Header=BB18_81 Depth=1
	s_or_b64 exec, exec, s[56:57]
	;;#ASMSTART
	s_wakeup
	;;#ASMEND
.LBB18_198:                             ;   in Loop: Header=BB18_81 Depth=1
	s_or_b64 exec, exec, s[30:31]
.LBB18_199:                             ;   in Loop: Header=BB18_81 Depth=1
	s_andn2_saveexec_b64 s[28:29], s[28:29]
	s_cbranch_execz .LBB18_201
; %bb.200:                              ;   in Loop: Header=BB18_81 Depth=1
	s_waitcnt lgkmcnt(0)
	s_barrier
.LBB18_201:                             ;   in Loop: Header=BB18_81 Depth=1
	s_or_b64 exec, exec, s[28:29]
.LBB18_202:                             ;   in Loop: Header=BB18_81 Depth=1
	s_or_b64 exec, exec, s[26:27]
	s_trap 2
	s_waitcnt lgkmcnt(0)
	ds_read_b64 v[2:3], v0
	s_waitcnt lgkmcnt(0)
	v_readfirstlane_b32 s26, v2
	v_readfirstlane_b32 s27, v3
	s_cmp_eq_u64 s[26:27], 0
	s_cselect_b64 s[26:27], -1, 0
	s_or_b64 s[28:29], s[26:27], s[26:27]
	s_mov_b64 s[26:27], 0
	s_and_b64 vcc, exec, s[28:29]
	s_cbranch_vccnz .LBB18_266
; %bb.203:                              ;   in Loop: Header=BB18_81 Depth=1
	s_trap 2
	ds_read_b64 v[2:3], v0
	v_cmp_eq_u32_e64 s[26:27], 0, v0
	s_waitcnt lgkmcnt(0)
	v_cmp_ne_u64_e32 vcc, 0, v[2:3]
	v_cndmask_b32_e64 v25, 0, v24, s[26:27]
	s_cbranch_vccz .LBB18_236
; %bb.204:                              ;   in Loop: Header=BB18_81 Depth=1
	s_mov_b64 s[28:29], -1
	s_and_saveexec_b64 s[26:27], s[14:15]
	s_cbranch_execz .LBB18_206
; %bb.205:                              ;   in Loop: Header=BB18_81 Depth=1
	ds_read_b32 v0, v0 offset:720
	s_waitcnt lgkmcnt(0)
	v_and_b32_e32 v0, 15, v0
	v_cmp_eq_u32_e32 vcc, 0, v0
	s_orn2_b64 s[28:29], vcc, exec
.LBB18_206:                             ;   in Loop: Header=BB18_81 Depth=1
	s_or_b64 exec, exec, s[26:27]
	s_and_saveexec_b64 s[26:27], s[16:17]
	s_cbranch_execz .LBB18_208
; %bb.207:                              ;   in Loop: Header=BB18_81 Depth=1
	ds_read_b32 v0, v0 offset:784
	s_waitcnt lgkmcnt(0)
	v_and_b32_e32 v0, 15, v0
	v_cmp_eq_u32_e32 vcc, 0, v0
	s_and_b64 vcc, s[28:29], vcc
	s_andn2_b64 s[28:29], s[28:29], exec
	s_and_b64 vcc, vcc, exec
	s_or_b64 s[28:29], s[28:29], vcc
.LBB18_208:                             ;   in Loop: Header=BB18_81 Depth=1
	s_or_b64 exec, exec, s[26:27]
	s_xor_b64 s[28:29], s[28:29], -1
	v_cndmask_b32_e64 v0, 0, 1, s[28:29]
	s_mov_b64 s[26:27], -1
	;;#ASMSTART
	;;#ASMEND
	v_mov_b32_e32 v8, 0
	v_cmp_ne_u32_e32 vcc, 0, v0
	v_mov_b32_e32 v9, v25
	v_mov_b32_e32 v10, v61
	;; [unrolled: 1-line block ×3, first 2 shown]
	s_cbranch_vccnz .LBB18_224
; %bb.209:                              ;   in Loop: Header=BB18_81 Depth=1
	v_ashrrev_i32_e32 v0, 31, v25
	v_lshrrev_b32_e32 v0, 20, v0
	v_add_u32_e32 v0, v25, v0
	v_ashrrev_i32_e32 v0, 12, v0
	v_sub_u32_e32 v1, v0, v30
	v_cmp_lt_i32_e32 vcc, 0, v1
	s_and_saveexec_b64 s[26:27], vcc
	s_cbranch_execz .LBB18_213
; %bb.210:                              ;   in Loop: Header=BB18_81 Depth=1
	s_trap 2
	ds_read_b64 v[2:3], v0
	ds_read_b128 v[4:7], v0
	v_accvgpr_read_b32 v8, a48
	v_accvgpr_read_b32 v9, a49
	s_mov_b64 s[28:29], 0
	s_waitcnt lgkmcnt(1)
	v_lshl_add_u64 v[2:3], v[2:3], 0, v[8:9]
	s_waitcnt lgkmcnt(0)
	v_lshl_add_u64 v[4:5], v[4:5], 0, v[8:9]
	v_lshl_add_u64 v[8:9], v[6:7], 0, v[8:9]
.LBB18_211:                             ;   Parent Loop BB18_81 Depth=1
                                        ; =>  This Inner Loop Header: Depth=2
	global_load_dwordx4 v[10:13], v[2:3], off nt
	global_load_dwordx4 v[16:19], v[2:3], off offset:1024 nt
	global_load_dwordx4 v[20:23], v[2:3], off offset:2048 nt
	;; [unrolled: 1-line block ×3, first 2 shown]
	v_sub_u32_e32 v1, v1, v50
	v_cmp_gt_i32_e32 vcc, 1, v1
	v_lshl_add_u64 v[2:3], v[2:3], 0, v[46:47]
	s_or_b64 s[28:29], vcc, s[28:29]
	s_waitcnt vmcnt(3)
	global_store_dwordx4 v[4:5], v[10:13], off nt
	s_waitcnt vmcnt(3)
	global_store_dwordx4 v[4:5], v[16:19], off offset:1024 nt
	s_waitcnt vmcnt(3)
	global_store_dwordx4 v[4:5], v[20:23], off offset:2048 nt
	;; [unrolled: 2-line block ×3, first 2 shown]
	global_store_dwordx4 v[8:9], v[10:13], off nt
	global_store_dwordx4 v[8:9], v[16:19], off offset:1024 nt
	global_store_dwordx4 v[8:9], v[20:23], off offset:2048 nt
	;; [unrolled: 1-line block ×3, first 2 shown]
	v_lshl_add_u64 v[4:5], v[4:5], 0, v[46:47]
	v_lshl_add_u64 v[8:9], v[8:9], 0, v[46:47]
	s_andn2_b64 exec, exec, s[28:29]
	s_cbranch_execnz .LBB18_211
; %bb.212:                              ;   in Loop: Header=BB18_81 Depth=1
	s_or_b64 exec, exec, s[28:29]
	scratch_load_dwordx2 v[12:13], off, s33 offset:168 ; 8-byte Folded Reload
	v_accvgpr_read_b32 v28, a36
	v_accvgpr_read_b32 v22, a42
	;; [unrolled: 1-line block ×11, first 2 shown]
.LBB18_213:                             ;   in Loop: Header=BB18_81 Depth=1
	s_or_b64 exec, exec, s[26:27]
	v_lshlrev_b32_e32 v0, 12, v0
	v_cmp_ne_u32_e32 vcc, v25, v0
	s_mov_b64 s[26:27], 0
	v_mov_b32_e32 v8, 0
                                        ; implicit-def: $vgpr9
                                        ; implicit-def: $vgpr10
                                        ; implicit-def: $vgpr2
	s_and_saveexec_b64 s[56:57], vcc
	s_cbranch_execz .LBB18_223
; %bb.214:                              ;   in Loop: Header=BB18_81 Depth=1
	v_lshlrev_b32_e32 v1, 6, v1
	v_accvgpr_read_b32 v2, a41
	v_sub_u32_e32 v1, v2, v1
	v_sub_u32_e32 v3, v25, v0
	v_ashrrev_i32_e32 v2, 31, v1
	v_lshrrev_b32_e32 v2, 26, v2
	v_ashrrev_i32_e32 v5, 31, v3
	v_add_u32_e32 v2, v1, v2
	v_lshrrev_b32_e32 v5, 22, v5
	v_ashrrev_i32_e32 v4, 6, v2
	v_and_b32_e32 v2, 0xffffffc0, v2
	v_add_u32_e32 v5, v3, v5
	v_sub_u32_e32 v1, v1, v2
	v_and_b32_e32 v7, 0xfffffc00, v5
	v_lshlrev_b32_e32 v2, 4, v1
	s_waitcnt vmcnt(0)
	v_sub_u32_e32 v12, v3, v7
	v_lshl_add_u32 v2, v4, 10, v2
	v_ashrrev_i32_e32 v6, 10, v5
	v_cmp_lt_i32_e64 s[26:27], 15, v12
	v_sub_u32_e32 v10, v3, v2
	s_nop 0
	v_addc_co_u32_e64 v3, vcc, 0, v6, s[26:27]
	v_sub_u32_e32 v11, v3, v4
	v_cmp_lt_i32_e32 vcc, 15, v10
	s_and_saveexec_b64 s[58:59], vcc
	s_cbranch_execz .LBB18_220
; %bb.215:                              ;   in Loop: Header=BB18_81 Depth=1
	s_trap 2
	ds_read_b64 v[4:5], v0
	ds_read_b128 v[20:23], v0
	v_add_u32_e32 v2, v2, v0
	v_ashrrev_i32_e32 v3, 31, v2
	s_mov_b64 s[60:61], 0
	s_waitcnt lgkmcnt(1)
	v_lshl_add_u64 v[18:19], v[4:5], 0, v[2:3]
	s_waitcnt lgkmcnt(0)
	v_lshl_add_u64 v[54:55], v[20:21], 0, v[2:3]
	v_lshl_add_u64 v[8:9], v[22:23], 0, v[2:3]
.LBB18_216:                             ;   Parent Loop BB18_81 Depth=1
                                        ; =>  This Loop Header: Depth=2
                                        ;       Child Loop BB18_217 Depth 3
	global_load_dwordx4 v[2:5], v[18:19], off nt
	s_mov_b64 s[64:65], -1
	s_mov_b64 s[62:63], 0
	s_waitcnt vmcnt(0)
.LBB18_217:                             ;   Parent Loop BB18_81 Depth=1
                                        ;     Parent Loop BB18_216 Depth=2
                                        ; =>    This Inner Loop Header: Depth=3
	s_cmp_eq_u32 s62, 0
	s_cselect_b64 s[28:29], -1, 0
	s_cmp_eq_u32 s62, 1
	s_cselect_b64 s[30:31], -1, 0
	v_cndmask_b32_e64 v6, 0, 1, s[64:65]
	v_cndmask_b32_e64 v17, v55, v9, s[30:31]
	v_cndmask_b32_e64 v16, v54, v8, s[30:31]
	v_cmp_ne_u32_e32 vcc, 1, v6
	global_store_dwordx4 v[16:17], v[2:5], off nt
	v_lshl_add_u64 v[16:17], v[16:17], 0, s[44:45]
	s_mov_b64 s[64:65], 0
	s_mov_b64 s[62:63], 1
	s_and_b64 vcc, exec, vcc
	v_cndmask_b32_e64 v9, v9, v17, s[30:31]
	v_cndmask_b32_e64 v8, v8, v16, s[30:31]
	;; [unrolled: 1-line block ×4, first 2 shown]
	s_cbranch_vccz .LBB18_217
; %bb.218:                              ;   in Loop: Header=BB18_216 Depth=2
	v_accvgpr_read_b32 v2, a46
	v_sub_u32_e32 v10, v10, v60
	v_accvgpr_read_b32 v3, a47
	v_cmp_gt_i32_e32 vcc, 16, v10
	v_lshl_add_u64 v[54:55], v[54:55], 0, v[28:29]
	v_lshl_add_u64 v[8:9], v[8:9], 0, v[28:29]
	;; [unrolled: 1-line block ×3, first 2 shown]
	s_or_b64 s[60:61], vcc, s[60:61]
	v_sub_u32_e32 v11, v11, v50
	s_andn2_b64 exec, exec, s[60:61]
	s_cbranch_execnz .LBB18_216
; %bb.219:                              ;   in Loop: Header=BB18_81 Depth=1
	s_or_b64 exec, exec, s[60:61]
	v_accvgpr_read_b32 v55, a35
	v_accvgpr_read_b32 v22, a42
	;; [unrolled: 1-line block ×9, first 2 shown]
.LBB18_220:                             ;   in Loop: Header=BB18_81 Depth=1
	s_or_b64 exec, exec, s[58:59]
	v_and_b32_e32 v3, 15, v25
	v_cndmask_b32_e64 v9, v12, v3, s[26:27]
	v_cmp_ne_u32_e32 vcc, 0, v9
	s_mov_b64 s[28:29], 0
	v_mov_b32_e32 v8, 0
                                        ; implicit-def: $vgpr10
                                        ; implicit-def: $vgpr2
	s_and_saveexec_b64 s[30:31], vcc
	s_cbranch_execz .LBB18_222
; %bb.221:                              ;   in Loop: Header=BB18_81 Depth=1
	v_sub_u32_e32 v2, v12, v3
	v_cndmask_b32_e64 v2, 0, v2, s[26:27]
	v_cmp_lt_i32_e32 vcc, 0, v11
	v_add3_u32 v8, v7, v0, v2
	s_mov_b64 s[28:29], exec
	v_cndmask_b32_e32 v0, 0, v50, vcc
	v_sub_u32_e32 v0, v0, v11
	v_lshl_add_u32 v10, v0, 6, v1
	v_ashrrev_i32_e32 v0, 31, v10
	v_lshrrev_b32_e32 v0, 26, v0
	v_add_u32_e32 v0, v10, v0
	v_ashrrev_i32_e32 v2, 6, v0
.LBB18_222:                             ;   in Loop: Header=BB18_81 Depth=1
	s_or_b64 exec, exec, s[30:31]
	scratch_load_dwordx2 v[12:13], off, s33 offset:168 ; 8-byte Folded Reload
	s_and_b64 s[26:27], s[28:29], exec
.LBB18_223:                             ;   in Loop: Header=BB18_81 Depth=1
	s_or_b64 exec, exec, s[56:57]
.LBB18_224:                             ;   in Loop: Header=BB18_81 Depth=1
	s_and_saveexec_b64 s[30:31], s[26:27]
	s_cbranch_execz .LBB18_235
; %bb.225:                              ;   in Loop: Header=BB18_81 Depth=1
	v_ashrrev_i32_e32 v0, 31, v9
	v_lshrrev_b32_e32 v0, 21, v0
	v_add_u32_e32 v0, v9, v0
	v_ashrrev_i32_e32 v3, 11, v0
	v_sub_u32_e32 v11, v3, v2
	v_ashrrev_i32_e32 v0, 31, v10
	v_cmp_lt_i32_e32 vcc, 0, v11
	v_lshrrev_b32_e32 v1, 26, v0
	s_and_saveexec_b64 s[26:27], vcc
	s_cbranch_execz .LBB18_229
; %bb.226:                              ;   in Loop: Header=BB18_81 Depth=1
	v_add_u32_e32 v0, v10, v1
	v_accvgpr_write_b32 a55, v3
	s_trap 2
	v_accvgpr_write_b32 a54, v1
	v_and_b32_e32 v3, 0xffffffc0, v0
	ds_read_b64 v[0:1], v0
	v_sub_u32_e32 v3, v10, v3
	v_lshlrev_b32_e32 v2, 11, v2
	s_waitcnt vmcnt(0)
	v_add3_u32 v12, v8, v3, v2
	v_ashrrev_i32_e32 v13, 31, v12
	s_waitcnt lgkmcnt(0)
	ds_read_b128 v[4:7], v0
	v_lshl_add_u64 v[0:1], v[0:1], 0, s[46:47]
	v_lshl_add_u64 v[54:55], v[0:1], 0, v[12:13]
	s_mov_b64 s[28:29], 0
	s_waitcnt lgkmcnt(0)
	v_lshl_add_u64 v[2:3], v[4:5], 0, v[12:13]
	v_lshl_add_u64 v[4:5], v[6:7], 0, v[12:13]
.LBB18_227:                             ;   Parent Loop BB18_81 Depth=1
                                        ; =>  This Inner Loop Header: Depth=2
	v_add_co_u32_e32 v18, vcc, 0xfffff840, v54
	flat_load_ubyte v48, v[54:55] nt
	s_nop 0
	v_addc_co_u32_e32 v19, vcc, -1, v55, vcc
	v_add_co_u32_e32 v6, vcc, 0xfffff880, v54
	flat_load_ubyte v1, v[18:19] nt
	s_nop 0
	v_addc_co_u32_e32 v7, vcc, -1, v55, vcc
	v_add_co_u32_e32 v12, vcc, 0xfffff8c0, v54
	flat_load_ubyte v18, v[6:7] nt
	s_nop 0
	v_addc_co_u32_e32 v13, vcc, -1, v55, vcc
	v_add_co_u32_e32 v6, vcc, 0xfffff900, v54
	flat_load_ubyte v19, v[12:13] nt
	s_nop 0
	v_addc_co_u32_e32 v7, vcc, -1, v55, vcc
	v_add_co_u32_e32 v12, vcc, 0xfffff940, v54
	flat_load_ubyte v0, v[6:7] nt
	s_nop 0
	v_addc_co_u32_e32 v13, vcc, -1, v55, vcc
	v_add_co_u32_e32 v20, vcc, 0xfffff980, v54
	flat_load_ubyte v7, v[12:13] nt
	s_nop 0
	v_addc_co_u32_e32 v21, vcc, -1, v55, vcc
	v_add_co_u32_e32 v12, vcc, 0xfffff9c0, v54
	flat_load_ubyte v42, v[20:21] nt
	s_nop 0
	v_addc_co_u32_e32 v13, vcc, -1, v55, vcc
	v_add_co_u32_e32 v20, vcc, 0xfffffa00, v54
	flat_load_ubyte v43, v[12:13] nt
	s_nop 0
	v_addc_co_u32_e32 v21, vcc, -1, v55, vcc
	v_add_co_u32_e32 v12, vcc, 0xfffffa40, v54
	flat_load_ubyte v28, v[20:21] nt
	s_nop 0
	v_addc_co_u32_e32 v13, vcc, -1, v55, vcc
	v_add_co_u32_e32 v20, vcc, 0xfffffa80, v54
	flat_load_ubyte v12, v[12:13] nt
	s_nop 0
	v_addc_co_u32_e32 v21, vcc, -1, v55, vcc
	v_add_co_u32_e32 v22, vcc, 0xfffffac0, v54
	flat_load_ubyte v13, v[20:21] nt
	s_nop 0
	v_addc_co_u32_e32 v23, vcc, -1, v55, vcc
	v_add_co_u32_e32 v20, vcc, 0xfffffb00, v54
	flat_load_ubyte v34, v[22:23] nt
	s_nop 0
	v_addc_co_u32_e32 v21, vcc, -1, v55, vcc
	v_add_co_u32_e32 v22, vcc, 0xfffffb40, v54
	flat_load_ubyte v35, v[20:21] nt
	s_nop 0
	v_addc_co_u32_e32 v23, vcc, -1, v55, vcc
	v_add_co_u32_e32 v20, vcc, 0xfffffb80, v54
	flat_load_ubyte v32, v[22:23] nt
	s_nop 0
	v_addc_co_u32_e32 v21, vcc, -1, v55, vcc
	v_add_co_u32_e32 v22, vcc, 0xfffffbc0, v54
	flat_load_ubyte v33, v[20:21] nt
	s_nop 0
	v_addc_co_u32_e32 v23, vcc, -1, v55, vcc
	v_add_co_u32_e32 v20, vcc, s76, v54
	flat_load_ubyte v44, v[22:23] nt
	s_nop 0
	v_addc_co_u32_e32 v21, vcc, -1, v55, vcc
	v_add_co_u32_e32 v22, vcc, 0xfffffc40, v54
	flat_load_ubyte v45, v[20:21] nt
	s_nop 0
	v_addc_co_u32_e32 v23, vcc, -1, v55, vcc
	v_add_co_u32_e32 v20, vcc, 0xfffffc80, v54
	flat_load_ubyte v29, v[22:23] nt
	s_nop 0
	v_addc_co_u32_e32 v21, vcc, -1, v55, vcc
	v_add_co_u32_e32 v22, vcc, 0xfffffcc0, v54
	flat_load_ubyte v52, v[20:21] nt
	s_nop 0
	v_addc_co_u32_e32 v23, vcc, -1, v55, vcc
	v_add_co_u32_e32 v20, vcc, 0xfffffd00, v54
	flat_load_ubyte v53, v[22:23] nt
	s_nop 0
	v_addc_co_u32_e32 v21, vcc, -1, v55, vcc
	v_add_co_u32_e32 v22, vcc, 0xfffffd40, v54
	flat_load_ubyte v40, v[20:21] nt
	s_nop 0
	v_addc_co_u32_e32 v23, vcc, -1, v55, vcc
	v_add_co_u32_e32 v20, vcc, 0xfffffd80, v54
	flat_load_ubyte v41, v[22:23] nt
	s_nop 0
	v_addc_co_u32_e32 v21, vcc, -1, v55, vcc
	v_add_co_u32_e32 v22, vcc, 0xfffffdc0, v54
	flat_load_ubyte v30, v[20:21] nt
	s_nop 0
	v_addc_co_u32_e32 v23, vcc, -1, v55, vcc
	v_add_co_u32_e32 v20, vcc, 0xfffffe00, v54
	flat_load_ubyte v31, v[22:23] nt
	s_nop 0
	v_addc_co_u32_e32 v21, vcc, -1, v55, vcc
	v_add_co_u32_e32 v58, vcc, 0xfffffe40, v54
	flat_load_ubyte v22, v[20:21] nt
	s_nop 0
	v_addc_co_u32_e32 v59, vcc, -1, v55, vcc
	v_add_co_u32_e32 v20, vcc, 0xfffffe80, v54
	flat_load_ubyte v23, v[58:59] nt
	s_nop 0
	v_addc_co_u32_e32 v21, vcc, -1, v55, vcc
	v_add_co_u32_e32 v58, vcc, 0xfffffec0, v54
	flat_load_ubyte v20, v[20:21] nt
	s_nop 0
	v_addc_co_u32_e32 v59, vcc, -1, v55, vcc
	v_add_co_u32_e32 v60, vcc, 0xffffff00, v54
	flat_load_ubyte v21, v[58:59] nt
	s_nop 0
	v_addc_co_u32_e32 v61, vcc, -1, v55, vcc
	v_add_co_u32_e32 v16, vcc, 0xffffff40, v54
	flat_load_ubyte v58, v[60:61] nt
	s_nop 0
	v_addc_co_u32_e32 v17, vcc, -1, v55, vcc
	v_add_co_u32_e32 v60, vcc, 0xffffff80, v54
	flat_load_ubyte v59, v[16:17] nt
	s_nop 0
	v_addc_co_u32_e32 v61, vcc, -1, v55, vcc
	v_add_co_u32_e32 v16, vcc, s75, v54
	flat_load_ubyte v6, v[60:61] nt
	s_nop 0
	v_addc_co_u32_e32 v17, vcc, -1, v55, vcc
	flat_load_ubyte v16, v[16:17] nt
	v_sub_u32_e32 v11, v11, v50
	v_cmp_gt_i32_e32 vcc, 1, v11
	s_or_b64 s[28:29], vcc, s[28:29]
	v_lshl_add_u64 v[54:55], v[54:55], 0, v[56:57]
	s_waitcnt vmcnt(0) lgkmcnt(0)
	flat_store_byte v[2:3], v48 offset:1984 nt
	flat_store_byte v[2:3], v1 nt
	flat_store_byte v[2:3], v18 offset:64 nt
	flat_store_byte v[2:3], v19 offset:128 nt
	;; [unrolled: 1-line block ×30, first 2 shown]
	flat_store_byte v[4:5], v1 nt
	flat_store_byte v[4:5], v18 offset:64 nt
	flat_store_byte v[4:5], v19 offset:128 nt
	;; [unrolled: 1-line block ×31, first 2 shown]
	v_lshl_add_u64 v[2:3], v[2:3], 0, v[56:57]
	v_lshl_add_u64 v[4:5], v[4:5], 0, v[56:57]
	s_andn2_b64 exec, exec, s[28:29]
	s_cbranch_execnz .LBB18_227
; %bb.228:                              ;   in Loop: Header=BB18_81 Depth=1
	s_or_b64 exec, exec, s[28:29]
	scratch_load_dwordx2 v[12:13], off, s33 offset:168 ; 8-byte Folded Reload
	v_accvgpr_read_b32 v35, a3
	v_accvgpr_read_b32 v53, a7
	v_accvgpr_read_b32 v33, a15
	v_accvgpr_read_b32 v41, a21
	v_accvgpr_read_b32 v59, a25
	v_accvgpr_read_b32 v55, a35
	v_accvgpr_read_b32 v28, a36
	v_accvgpr_read_b32 v22, a42
	v_accvgpr_read_b32 v20, a44
	v_accvgpr_read_b32 v18, a46
	v_accvgpr_read_b32 v34, a2
	v_accvgpr_read_b32 v61, a4
	v_accvgpr_read_b32 v52, a6
	v_accvgpr_read_b32 v32, a14
	v_accvgpr_read_b32 v40, a20
	v_accvgpr_read_b32 v44, a22
	v_accvgpr_read_b32 v58, a24
	v_accvgpr_read_b32 v43, a23
	v_accvgpr_read_b32 v42, a28
	v_mov_b32_e32 v45, 1
	v_accvgpr_read_b32 v60, a29
	v_accvgpr_read_b32 v54, a34
	;; [unrolled: 1-line block ×11, first 2 shown]
.LBB18_229:                             ;   in Loop: Header=BB18_81 Depth=1
	s_or_b64 exec, exec, s[26:27]
	v_lshlrev_b32_e32 v0, 11, v3
	v_cmp_ne_u32_e32 vcc, v9, v0
	s_and_b64 exec, exec, vcc
	s_cbranch_execz .LBB18_235
; %bb.230:                              ;   in Loop: Header=BB18_81 Depth=1
	v_add_u32_e32 v1, v10, v1
	v_and_b32_e32 v1, 0xffffffc0, v1
	v_sub_u32_e32 v1, v10, v1
	v_lshlrev_b32_e32 v2, 6, v11
	v_sub_u32_e32 v1, v1, v2
	v_add_u32_e32 v1, v0, v1
	v_sub_u32_e32 v0, v9, v1
	v_cmp_lt_i32_e32 vcc, 0, v0
	s_and_b64 exec, exec, vcc
	s_cbranch_execz .LBB18_235
; %bb.231:                              ;   in Loop: Header=BB18_81 Depth=1
	s_trap 2
	ds_read_b64 v[2:3], v0
	ds_read_b128 v[4:7], v0
	v_add_u32_e32 v8, v1, v8
	v_ashrrev_i32_e32 v9, 31, v8
	s_mov_b64 s[56:57], 0
	s_waitcnt lgkmcnt(0)
	v_lshl_add_u64 v[2:3], v[2:3], 0, v[8:9]
	v_lshl_add_u64 v[4:5], v[4:5], 0, v[8:9]
	;; [unrolled: 1-line block ×3, first 2 shown]
.LBB18_232:                             ;   Parent Loop BB18_81 Depth=1
                                        ; =>  This Loop Header: Depth=2
                                        ;       Child Loop BB18_233 Depth 3
	flat_load_ubyte v1, v[2:3] nt
	s_mov_b64 s[58:59], -1
	s_mov_b64 s[60:61], 0
	s_waitcnt vmcnt(0)
.LBB18_233:                             ;   Parent Loop BB18_81 Depth=1
                                        ;     Parent Loop BB18_232 Depth=2
                                        ; =>    This Inner Loop Header: Depth=3
	s_cmp_eq_u32 s60, 1
	s_cselect_b64 vcc, -1, 0
	v_cndmask_b32_e32 v7, v5, v9, vcc
	s_cmp_eq_u32 s60, 0
	v_cndmask_b32_e32 v6, v4, v8, vcc
	s_waitcnt lgkmcnt(0)
	flat_store_byte v[6:7], v1 nt
	v_lshl_add_u64 v[6:7], v[6:7], 0, 64
	s_cselect_b64 s[26:27], -1, 0
	s_and_b64 s[28:29], exec, s[58:59]
	s_mov_b64 s[60:61], 1
	s_mov_b64 s[58:59], 0
	v_cndmask_b32_e32 v9, v9, v7, vcc
	v_cndmask_b32_e32 v8, v8, v6, vcc
	v_cndmask_b32_e64 v5, v5, v7, s[26:27]
	v_cndmask_b32_e64 v4, v4, v6, s[26:27]
	s_mov_b64 vcc, s[28:29]
	s_cbranch_vccnz .LBB18_233
; %bb.234:                              ;   in Loop: Header=BB18_232 Depth=2
	v_sub_u32_e32 v0, v0, v42
	v_cmp_gt_i32_e32 vcc, 1, v0
	v_lshl_add_u64 v[4:5], v[4:5], 0, v[54:55]
	v_lshl_add_u64 v[8:9], v[8:9], 0, v[54:55]
	s_or_b64 s[56:57], vcc, s[56:57]
	v_lshl_add_u64 v[2:3], v[22:23], 0, v[2:3]
	s_andn2_b64 exec, exec, s[56:57]
	s_cbranch_execnz .LBB18_232
.LBB18_235:                             ;   in Loop: Header=BB18_81 Depth=1
	s_or_b64 exec, exec, s[30:31]
	s_branch .LBB18_265
.LBB18_236:                             ;   in Loop: Header=BB18_81 Depth=1
	s_cbranch_execz .LBB18_265
; %bb.237:                              ;   in Loop: Header=BB18_81 Depth=1
	s_mov_b64 s[26:27], -1
	s_and_saveexec_b64 s[28:29], s[14:15]
	s_cbranch_execz .LBB18_239
; %bb.238:                              ;   in Loop: Header=BB18_81 Depth=1
	ds_read_b32 v0, v0 offset:720
	s_waitcnt lgkmcnt(0)
	v_and_b32_e32 v0, 15, v0
	v_cmp_eq_u32_e32 vcc, 0, v0
	s_orn2_b64 s[26:27], vcc, exec
.LBB18_239:                             ;   in Loop: Header=BB18_81 Depth=1
	s_or_b64 exec, exec, s[28:29]
	s_and_saveexec_b64 s[28:29], s[14:15]
	s_cbranch_execz .LBB18_241
; %bb.240:                              ;   in Loop: Header=BB18_81 Depth=1
	ds_read_b32 v0, v0 offset:784
	s_waitcnt lgkmcnt(0)
	v_and_b32_e32 v0, 15, v0
	v_cmp_eq_u32_e32 vcc, 0, v0
	s_and_b64 vcc, s[26:27], vcc
	s_andn2_b64 s[26:27], s[26:27], exec
	s_and_b64 vcc, vcc, exec
	s_or_b64 s[26:27], s[26:27], vcc
.LBB18_241:                             ;   in Loop: Header=BB18_81 Depth=1
	s_or_b64 exec, exec, s[28:29]
	s_xor_b64 s[26:27], s[26:27], -1
	v_cndmask_b32_e64 v0, 0, 1, s[26:27]
	;;#ASMSTART
	;;#ASMEND
	s_mov_b64 s[30:31], -1
	v_cmp_ne_u32_e32 vcc, 0, v0
	v_mov_b32_e32 v1, 0
	v_mov_b32_e32 v16, v25
	;; [unrolled: 1-line block ×4, first 2 shown]
	s_cbranch_vccnz .LBB18_255
; %bb.242:                              ;   in Loop: Header=BB18_81 Depth=1
	v_ashrrev_i32_e32 v0, 31, v25
	v_lshrrev_b32_e32 v0, 19, v0
	v_add_u32_e32 v0, v25, v0
	v_ashrrev_i32_e32 v6, 13, v0
	v_sub_u32_e32 v7, v6, v30
	v_cmp_lt_i32_e32 vcc, 0, v7
	s_and_saveexec_b64 s[28:29], vcc
	s_cbranch_execz .LBB18_246
; %bb.243:                              ;   in Loop: Header=BB18_81 Depth=1
	s_trap 2
	ds_read_b64 v[2:3], v0
	s_mov_b64 s[30:31], 0
	v_mov_b64_e32 v[0:1], v[20:21]
	s_waitcnt lgkmcnt(0)
	v_mov_b64_e32 v[4:5], v[2:3]
.LBB18_244:                             ;   Parent Loop BB18_81 Depth=1
                                        ; =>  This Inner Loop Header: Depth=2
	scratch_load_dwordx2 v[8:9], off, s33 offset:168 ; 8-byte Folded Reload
	v_sub_u32_e32 v7, v7, v50
	v_cmp_gt_i32_e64 s[26:27], 1, v7
	s_or_b64 s[30:31], s[26:27], s[30:31]
	s_waitcnt vmcnt(0)
	v_lshl_add_u64 v[12:13], v[8:9], 0, v[4:5]
	global_load_dwordx4 v[8:11], v[12:13], off nt
	global_load_dwordx4 v[16:19], v[12:13], off offset:1024 nt
	global_load_dwordx4 v[20:23], v[12:13], off offset:2048 nt
	;; [unrolled: 1-line block ×3, first 2 shown]
	v_add_co_u32_e32 v12, vcc, 0x1000, v12
	v_lshl_add_u64 v[4:5], v[4:5], 0, v[0:1]
	s_nop 0
	v_addc_co_u32_e32 v13, vcc, 0, v13, vcc
	global_load_dwordx4 v[32:35], v[12:13], off nt
	global_load_dwordx4 v[52:55], v[12:13], off offset:1024 nt
	global_load_dwordx4 v[40:43], v[12:13], off offset:2048 nt
	global_load_dwordx4 v[58:61], v[12:13], off offset:3072 nt
	s_nop 0
	scratch_load_dwordx2 v[12:13], off, s33 offset:168 ; 8-byte Folded Reload
	s_waitcnt vmcnt(0)
	v_lshl_add_u64 v[12:13], v[12:13], 0, v[2:3]
	v_add_co_u32_e32 v44, vcc, 0x1000, v12
	global_store_dwordx4 v[12:13], v[8:11], off nt
	global_store_dwordx4 v[12:13], v[16:19], off offset:1024 nt
	global_store_dwordx4 v[12:13], v[20:23], off offset:2048 nt
	;; [unrolled: 1-line block ×3, first 2 shown]
	v_addc_co_u32_e32 v45, vcc, 0, v13, vcc
	scratch_load_dwordx2 v[12:13], off, s33 offset:168 ; 8-byte Folded Reload
	v_lshl_add_u64 v[2:3], v[2:3], 0, v[0:1]
	global_store_dwordx4 v[44:45], v[32:35], off nt
	global_store_dwordx4 v[44:45], v[52:55], off offset:1024 nt
	global_store_dwordx4 v[44:45], v[40:43], off offset:2048 nt
	;; [unrolled: 1-line block ×3, first 2 shown]
	s_andn2_b64 exec, exec, s[30:31]
	s_cbranch_execnz .LBB18_244
; %bb.245:                              ;   in Loop: Header=BB18_81 Depth=1
	s_or_b64 exec, exec, s[30:31]
	v_accvgpr_read_b32 v35, a3
	v_accvgpr_read_b32 v53, a7
	;; [unrolled: 1-line block ×18, first 2 shown]
	v_mov_b32_e32 v45, 1
	v_accvgpr_read_b32 v60, a29
	v_accvgpr_read_b32 v54, a34
	;; [unrolled: 1-line block ×5, first 2 shown]
	v_mov_b64_e32 v[20:21], v[0:1]
	v_accvgpr_read_b32 v19, a47
	v_accvgpr_read_b32 v31, a50
	;; [unrolled: 1-line block ×3, first 2 shown]
.LBB18_246:                             ;   in Loop: Header=BB18_81 Depth=1
	s_or_b64 exec, exec, s[28:29]
	v_lshlrev_b32_e32 v6, 13, v6
	v_cmp_ne_u32_e32 vcc, v25, v6
	s_mov_b64 s[30:31], 0
	v_mov_b32_e32 v1, 0
                                        ; implicit-def: $vgpr16
                                        ; implicit-def: $vgpr0
                                        ; implicit-def: $vgpr4
	s_and_saveexec_b64 s[28:29], vcc
	s_cbranch_execz .LBB18_254
; %bb.247:                              ;   in Loop: Header=BB18_81 Depth=1
	v_lshlrev_b32_e32 v0, 6, v7
	v_accvgpr_read_b32 v1, a41
	v_sub_u32_e32 v0, v1, v0
	v_sub_u32_e32 v2, v25, v6
	v_ashrrev_i32_e32 v1, 31, v0
	v_lshrrev_b32_e32 v1, 26, v1
	v_ashrrev_i32_e32 v4, 31, v2
	v_add_u32_e32 v1, v0, v1
	v_lshrrev_b32_e32 v4, 22, v4
	v_ashrrev_i32_e32 v3, 6, v1
	v_and_b32_e32 v1, 0xffffffc0, v1
	v_add_u32_e32 v4, v2, v4
	v_sub_u32_e32 v7, v0, v1
	v_and_b32_e32 v8, 0xfffffc00, v4
	v_lshlrev_b32_e32 v0, 4, v7
	v_sub_u32_e32 v31, v2, v8
	v_lshl_add_u32 v1, v3, 10, v0
	v_ashrrev_i32_e32 v5, 10, v4
	v_cmp_lt_i32_e32 vcc, 15, v31
	v_sub_u32_e32 v0, v2, v1
	s_nop 0
	v_addc_co_u32_e64 v2, s[26:27], 0, v5, vcc
	v_sub_u32_e32 v9, v2, v3
	v_cmp_lt_i32_e64 s[26:27], 15, v0
	s_and_saveexec_b64 s[30:31], s[26:27]
	s_cbranch_execz .LBB18_251
; %bb.248:                              ;   in Loop: Header=BB18_81 Depth=1
	s_trap 2
	ds_read_b64 v[2:3], v0
	v_add_u32_e32 v4, v1, v6
	v_ashrrev_i32_e32 v5, 31, v4
	s_mov_b64 s[56:57], 0
	v_mov_b64_e32 v[10:11], v[18:19]
.LBB18_249:                             ;   Parent Loop BB18_81 Depth=1
                                        ; =>  This Inner Loop Header: Depth=2
	s_waitcnt vmcnt(0) lgkmcnt(0)
	v_lshl_add_u64 v[12:13], v[2:3], 0, v[4:5]
	global_load_dwordx4 v[16:19], v[12:13], off nt
	v_sub_u32_e32 v0, v0, v60
	v_cmp_gt_i32_e64 s[26:27], 16, v0
	v_sub_u32_e32 v9, v9, v50
	v_lshl_add_u64 v[4:5], v[4:5], 0, v[10:11]
	s_or_b64 s[56:57], s[26:27], s[56:57]
	s_waitcnt vmcnt(0)
	global_store_dwordx4 v[12:13], v[16:19], off nt
	s_andn2_b64 exec, exec, s[56:57]
	s_cbranch_execnz .LBB18_249
; %bb.250:                              ;   in Loop: Header=BB18_81 Depth=1
	s_or_b64 exec, exec, s[56:57]
	scratch_load_dwordx2 v[12:13], off, s33 offset:168 ; 8-byte Folded Reload
	v_mov_b64_e32 v[18:19], v[10:11]
	v_accvgpr_read_b32 v17, a51
.LBB18_251:                             ;   in Loop: Header=BB18_81 Depth=1
	s_or_b64 exec, exec, s[30:31]
	v_and_b32_e32 v2, 15, v25
	v_cndmask_b32_e32 v16, v31, v2, vcc
	v_cmp_ne_u32_e64 s[26:27], 0, v16
	s_mov_b64 s[30:31], 0
	v_mov_b32_e32 v1, 0
                                        ; implicit-def: $vgpr0
                                        ; implicit-def: $vgpr4
	s_and_saveexec_b64 s[56:57], s[26:27]
	s_cbranch_execz .LBB18_253
; %bb.252:                              ;   in Loop: Header=BB18_81 Depth=1
	v_sub_u32_e32 v0, v31, v2
	v_cndmask_b32_e32 v0, 0, v0, vcc
	v_cmp_lt_i32_e32 vcc, 0, v9
	v_add3_u32 v1, v8, v6, v0
	s_mov_b64 s[30:31], exec
	v_cndmask_b32_e32 v0, 0, v50, vcc
	v_sub_u32_e32 v0, v0, v9
	v_lshl_add_u32 v0, v0, 6, v7
	v_ashrrev_i32_e32 v2, 31, v0
	v_lshrrev_b32_e32 v2, 26, v2
	v_add_u32_e32 v2, v0, v2
	v_ashrrev_i32_e32 v4, 6, v2
.LBB18_253:                             ;   in Loop: Header=BB18_81 Depth=1
	s_or_b64 exec, exec, s[56:57]
	s_and_b64 s[30:31], s[30:31], exec
	v_accvgpr_read_b32 v31, a50
.LBB18_254:                             ;   in Loop: Header=BB18_81 Depth=1
	s_or_b64 exec, exec, s[28:29]
.LBB18_255:                             ;   in Loop: Header=BB18_81 Depth=1
	s_and_saveexec_b64 s[26:27], s[30:31]
	s_cbranch_execz .LBB18_264
; %bb.256:                              ;   in Loop: Header=BB18_81 Depth=1
	v_ashrrev_i32_e32 v2, 31, v16
	v_lshrrev_b32_e32 v2, 21, v2
	v_add_u32_e32 v2, v16, v2
	s_waitcnt vmcnt(0)
	v_ashrrev_i32_e32 v12, 11, v2
	v_sub_u32_e32 v7, v12, v4
	v_cmp_lt_i32_e32 vcc, 0, v7
	s_and_saveexec_b64 s[28:29], vcc
	s_cbranch_execz .LBB18_260
; %bb.257:                              ;   in Loop: Header=BB18_81 Depth=1
	v_ashrrev_i32_e32 v5, 31, v0
	s_trap 2
	ds_read_b64 v[2:3], v0
	v_lshrrev_b32_e32 v5, 26, v5
	v_add_u32_e32 v5, v0, v5
	v_and_b32_e32 v5, 0xffffffc0, v5
	v_sub_u32_e32 v5, v0, v5
	v_lshlrev_b32_e32 v4, 11, v4
	v_add3_u32 v4, v1, v5, v4
	v_ashrrev_i32_e32 v5, 31, v4
	s_mov_b64 s[30:31], 0
	s_waitcnt lgkmcnt(0)
	v_mov_b64_e32 v[8:9], v[2:3]
.LBB18_258:                             ;   Parent Loop BB18_81 Depth=1
                                        ; =>  This Inner Loop Header: Depth=2
	v_lshl_add_u64 v[10:11], v[4:5], 0, v[8:9]
	flat_load_ubyte v6, v[10:11] nt
	flat_load_ubyte v13, v[10:11] offset:64 nt
	flat_load_ubyte v17, v[10:11] offset:128 nt
	;; [unrolled: 1-line block ×31, first 2 shown]
	v_sub_u32_e32 v7, v7, v50
	v_cmp_gt_i32_e32 vcc, 1, v7
	v_lshl_add_u64 v[10:11], v[4:5], 0, v[2:3]
	v_lshl_add_u64 v[8:9], v[8:9], 0, v[56:57]
	;; [unrolled: 1-line block ×3, first 2 shown]
	s_or_b64 s[30:31], vcc, s[30:31]
	s_waitcnt vmcnt(0) lgkmcnt(0)
	flat_store_byte v[10:11], v6 nt
	flat_store_byte v[10:11], v13 offset:64 nt
	flat_store_byte v[10:11], v17 offset:128 nt
	;; [unrolled: 1-line block ×31, first 2 shown]
	s_andn2_b64 exec, exec, s[30:31]
	s_cbranch_execnz .LBB18_258
; %bb.259:                              ;   in Loop: Header=BB18_81 Depth=1
	s_or_b64 exec, exec, s[30:31]
	v_accvgpr_read_b32 v35, a3
	v_accvgpr_read_b32 v53, a7
	;; [unrolled: 1-line block ×19, first 2 shown]
	v_mov_b32_e32 v45, 1
	v_accvgpr_read_b32 v60, a29
	v_accvgpr_read_b32 v54, a34
	;; [unrolled: 1-line block ×9, first 2 shown]
.LBB18_260:                             ;   in Loop: Header=BB18_81 Depth=1
	s_or_b64 exec, exec, s[28:29]
	v_lshlrev_b32_e32 v2, 11, v12
	scratch_load_dwordx2 v[12:13], off, s33 offset:168 ; 8-byte Folded Reload
	v_cmp_ne_u32_e32 vcc, v16, v2
	s_and_b64 s[28:29], exec, vcc
	s_mov_b64 exec, s[28:29]
	s_cbranch_execz .LBB18_264
; %bb.261:                              ;   in Loop: Header=BB18_81 Depth=1
	v_ashrrev_i32_e32 v3, 31, v0
	v_lshrrev_b32_e32 v3, 26, v3
	v_add_u32_e32 v3, v0, v3
	v_and_b32_e32 v3, 0xffffffc0, v3
	v_sub_u32_e32 v0, v0, v3
	v_lshlrev_b32_e32 v3, 6, v7
	v_sub_u32_e32 v0, v0, v3
	v_add_u32_e32 v4, v2, v0
	v_sub_u32_e32 v0, v16, v4
	v_cmp_lt_i32_e32 vcc, 0, v0
	s_and_b64 exec, exec, vcc
	s_cbranch_execz .LBB18_264
; %bb.262:                              ;   in Loop: Header=BB18_81 Depth=1
	s_trap 2
	ds_read_b64 v[2:3], v0
	v_add_u32_e32 v4, v4, v1
	v_ashrrev_i32_e32 v5, 31, v4
	s_mov_b64 s[28:29], 0
.LBB18_263:                             ;   Parent Loop BB18_81 Depth=1
                                        ; =>  This Inner Loop Header: Depth=2
	s_waitcnt lgkmcnt(0)
	v_lshl_add_u64 v[6:7], v[2:3], 0, v[4:5]
	flat_load_ubyte v1, v[6:7] nt
	v_sub_u32_e32 v0, v0, v42
	v_cmp_gt_i32_e32 vcc, 1, v0
	v_lshl_add_u64 v[4:5], v[4:5], 0, v[22:23]
	s_or_b64 s[28:29], vcc, s[28:29]
	s_waitcnt vmcnt(0) lgkmcnt(0)
	flat_store_byte v[6:7], v1 nt
	s_andn2_b64 exec, exec, s[28:29]
	s_cbranch_execnz .LBB18_263
.LBB18_264:                             ;   in Loop: Header=BB18_81 Depth=1
	s_or_b64 exec, exec, s[26:27]
.LBB18_265:                             ;   in Loop: Header=BB18_81 Depth=1
	v_cmp_lt_i32_e64 s[26:27], 0, v25
.LBB18_266:                             ;   in Loop: Header=BB18_81 Depth=1
	s_and_saveexec_b64 s[28:29], s[4:5]
	s_cbranch_execz .LBB18_333
; %bb.267:                              ;   in Loop: Header=BB18_81 Depth=1
	s_and_saveexec_b64 vcc, s[42:43]
	s_xor_b64 s[30:31], exec, vcc
	s_cbranch_execz .LBB18_330
; %bb.268:                              ;   in Loop: Header=BB18_81 Depth=1
	s_and_saveexec_b64 s[56:57], s[12:13]
	s_cbranch_execz .LBB18_329
; %bb.269:                              ;   in Loop: Header=BB18_81 Depth=1
	s_mov_b64 s[60:61], exec
	v_mbcnt_lo_u32_b32 v0, s60, 0
	v_mbcnt_hi_u32_b32 v0, s61, v0
	v_cmp_eq_u32_e32 vcc, 0, v0
	s_waitcnt lgkmcnt(0)
	s_and_saveexec_b64 s[58:59], vcc
	s_cbranch_execz .LBB18_271
; %bb.270:                              ;   in Loop: Header=BB18_81 Depth=1
	s_bcnt1_i32_b64 vcc_lo, s[60:61]
	v_mov_b32_e32 v48, vcc_lo
	ds_add_u64 v0, v[48:49]
	s_trap 2
.LBB18_271:                             ;   in Loop: Header=BB18_81 Depth=1
	s_or_b64 exec, exec, s[58:59]
	s_trap 2
	ds_read_b64 v[0:1], v0
	v_lshl_add_u64 v[14:15], v[14:15], 0, v[50:51]
	s_waitcnt lgkmcnt(0)
	v_cmp_lt_u64_e32 vcc, v[0:1], v[14:15]
	s_and_saveexec_b64 s[58:59], vcc
	s_cbranch_execz .LBB18_328
; %bb.272:                              ;   in Loop: Header=BB18_81 Depth=1
	s_mov_b32 s70, 0
	s_mov_b64 s[60:61], 0
                                        ; implicit-def: $sgpr62_sgpr63
                                        ; implicit-def: $sgpr64_sgpr65
	s_branch .LBB18_274
.LBB18_273:                             ;   in Loop: Header=BB18_274 Depth=2
	s_or_b64 exec, exec, s[68:69]
	s_and_b64 vcc, exec, vcc
	s_or_b64 s[60:61], vcc, s[60:61]
	s_andn2_b64 vcc, s[62:63], exec
	s_and_b64 s[62:63], s[64:65], exec
	s_or_b64 s[62:63], vcc, s[62:63]
	s_andn2_b64 exec, exec, s[60:61]
	s_cbranch_execz .LBB18_326
.LBB18_274:                             ;   Parent Loop BB18_81 Depth=1
                                        ; =>  This Inner Loop Header: Depth=2
	s_add_i32 s70, s70, 1
	s_cmpk_lg_i32 s70, 0x2710
	s_cselect_b64 s[66:67], -1, 0
	s_and_b64 vcc, exec, s[66:67]
                                        ; implicit-def: $sgpr68_sgpr69
	s_cbranch_vccnz .LBB18_276
; %bb.275:                              ;   in Loop: Header=BB18_274 Depth=2
	s_trap 2
	ds_read_b64 v[0:1], v0
	s_andn2_b64 s[66:67], s[66:67], exec
	s_mov_b32 s70, 0
	s_mov_b64 s[68:69], -1
	s_waitcnt vmcnt(0) lgkmcnt(0)
	flat_load_dword v0, v[0:1] sc0 sc1
	s_waitcnt vmcnt(0) lgkmcnt(0)
	buffer_inv sc0 sc1
	v_cmp_eq_u32_e32 vcc, 0, v0
	s_and_b64 vcc, vcc, exec
	s_or_b64 s[66:67], s[66:67], vcc
.LBB18_276:                             ;   in Loop: Header=BB18_274 Depth=2
	s_andn2_b64 s[64:65], s[64:65], exec
	s_and_b64 s[68:69], s[68:69], exec
	s_mov_b64 vcc, -1
	s_or_b64 s[64:65], s[64:65], s[68:69]
	s_and_saveexec_b64 s[68:69], s[66:67]
	s_cbranch_execz .LBB18_273
; %bb.277:                              ;   in Loop: Header=BB18_274 Depth=2
	s_sleep 1
	s_trap 2
	ds_read_b64 v[0:1], v0
	s_andn2_b64 s[64:65], s[64:65], exec
	s_waitcnt lgkmcnt(0)
	v_cmp_ge_u64_e32 vcc, v[0:1], v[14:15]
	s_orn2_b64 vcc, vcc, exec
	s_branch .LBB18_273
.LBB18_278:                             ;   in Loop: Header=BB18_81 Depth=1
	s_or_b64 exec, exec, s[62:63]
	s_and_saveexec_b64 vcc, s[64:65]
	s_xor_b64 vcc, exec, vcc
	s_cbranch_execz .LBB18_280
; %bb.279:                              ;   in Loop: Header=BB18_81 Depth=1
	ds_write_b32 v0, v45
	s_trap 2
.LBB18_280:                             ;   in Loop: Header=BB18_81 Depth=1
	s_or_b64 exec, exec, s[60:61]
	;;#ASMSTART
	s_wakeup
	;;#ASMEND
.LBB18_281:                             ;   in Loop: Header=BB18_81 Depth=1
	s_or_b64 exec, exec, s[58:59]
.LBB18_282:                             ;   in Loop: Header=BB18_81 Depth=1
	s_andn2_saveexec_b64 vcc, s[56:57]
	s_cbranch_execz .LBB18_284
; %bb.283:                              ;   in Loop: Header=BB18_81 Depth=1
	s_waitcnt lgkmcnt(0)
	s_barrier
.LBB18_284:                             ;   in Loop: Header=BB18_81 Depth=1
	s_or_b64 exec, exec, vcc
.LBB18_285:                             ;   in Loop: Header=BB18_81 Depth=1
	s_or_b64 exec, exec, s[26:27]
	s_trap 2
	s_waitcnt lgkmcnt(0)
	ds_read_b64 v[4:5], v0
	s_waitcnt lgkmcnt(0)
	v_readfirstlane_b32 s26, v4
	v_readfirstlane_b32 s27, v5
	s_cmp_eq_u64 s[26:27], 0
	s_cselect_b64 s[26:27], -1, 0
	s_or_b64 vcc, s[26:27], s[26:27]
	s_mov_b64 s[26:27], 0
	s_and_b64 vcc, exec, vcc
	s_cbranch_vccnz .LBB18_314
; %bb.286:                              ;   in Loop: Header=BB18_81 Depth=1
	s_mov_b64 s[26:27], -1
	s_and_saveexec_b64 s[56:57], s[14:15]
	s_cbranch_execz .LBB18_288
; %bb.287:                              ;   in Loop: Header=BB18_81 Depth=1
	ds_read_b32 v1, v0 offset:720
	s_waitcnt lgkmcnt(0)
	v_and_b32_e32 v1, 15, v1
	v_cmp_eq_u32_e32 vcc, 0, v1
	s_orn2_b64 s[26:27], vcc, exec
.LBB18_288:                             ;   in Loop: Header=BB18_81 Depth=1
	s_or_b64 exec, exec, s[56:57]
	s_and_saveexec_b64 s[56:57], s[18:19]
	s_cbranch_execz .LBB18_290
; %bb.289:                              ;   in Loop: Header=BB18_81 Depth=1
	ds_read_b32 v1, v0 offset:784
	s_waitcnt lgkmcnt(0)
	v_and_b32_e32 v1, 15, v1
	v_cmp_eq_u32_e32 vcc, 0, v1
	s_and_b64 vcc, s[26:27], vcc
	s_andn2_b64 s[26:27], s[26:27], exec
	s_and_b64 vcc, vcc, exec
	s_or_b64 s[26:27], s[26:27], vcc
.LBB18_290:                             ;   in Loop: Header=BB18_81 Depth=1
	s_or_b64 exec, exec, s[56:57]
	s_xor_b64 s[26:27], s[26:27], -1
	v_cmp_eq_u32_e32 vcc, 0, v0
	v_cndmask_b32_e64 v0, 0, 1, s[26:27]
	;;#ASMSTART
	;;#ASMEND
	v_mov_b32_e32 v1, 0
	v_cndmask_b32_e32 v3, 0, v2, vcc
	s_mov_b64 s[58:59], -1
	v_cmp_ne_u32_e32 vcc, 0, v0
	v_mov_b32_e32 v16, v3
	v_mov_b32_e32 v0, v61
	;; [unrolled: 1-line block ×3, first 2 shown]
	s_cbranch_vccz .LBB18_292
; %bb.291:                              ;   in Loop: Header=BB18_81 Depth=1
	s_and_saveexec_b64 s[26:27], s[58:59]
	s_cbranch_execnz .LBB18_305
	s_branch .LBB18_313
.LBB18_292:                             ;   in Loop: Header=BB18_81 Depth=1
	v_ashrrev_i32_e32 v0, 31, v3
	v_lshrrev_b32_e32 v0, 19, v0
	v_add_u32_e32 v0, v3, v0
	v_ashrrev_i32_e32 v6, 13, v0
	v_sub_u32_e32 v7, v6, v30
	v_cmp_lt_i32_e32 vcc, 0, v7
	s_and_saveexec_b64 s[56:57], vcc
	s_cbranch_execz .LBB18_296
; %bb.293:                              ;   in Loop: Header=BB18_81 Depth=1
	s_trap 2
	ds_read_b64 v[4:5], v0
	s_mov_b64 s[58:59], 0
	v_mov_b64_e32 v[0:1], v[20:21]
	s_waitcnt lgkmcnt(0)
	v_mov_b64_e32 v[8:9], v[4:5]
.LBB18_294:                             ;   Parent Loop BB18_81 Depth=1
                                        ; =>  This Inner Loop Header: Depth=2
	s_waitcnt vmcnt(0)
	v_lshl_add_u64 v[24:25], v[12:13], 0, v[8:9]
	global_load_dwordx4 v[10:13], v[24:25], off nt
	global_load_dwordx4 v[16:19], v[24:25], off offset:1024 nt
	global_load_dwordx4 v[20:23], v[24:25], off offset:2048 nt
	global_load_dwordx4 v[28:31], v[24:25], off offset:3072 nt
	v_add_co_u32_e32 v24, vcc, 0x1000, v24
	v_sub_u32_e32 v7, v7, v50
	s_nop 0
	v_addc_co_u32_e32 v25, vcc, 0, v25, vcc
	global_load_dwordx4 v[32:35], v[24:25], off nt
	global_load_dwordx4 v[52:55], v[24:25], off offset:1024 nt
	global_load_dwordx4 v[40:43], v[24:25], off offset:2048 nt
	;; [unrolled: 1-line block ×3, first 2 shown]
	s_nop 0
	scratch_load_dwordx2 v[24:25], off, s33 offset:168 ; 8-byte Folded Reload
	v_cmp_gt_i32_e64 s[26:27], 1, v7
	v_lshl_add_u64 v[8:9], v[8:9], 0, v[0:1]
	s_or_b64 s[58:59], s[26:27], s[58:59]
	s_waitcnt vmcnt(0)
	v_lshl_add_u64 v[24:25], v[24:25], 0, v[4:5]
	global_store_dwordx4 v[24:25], v[10:13], off nt
	scratch_load_dwordx2 v[12:13], off, s33 offset:168 ; 8-byte Folded Reload
	v_lshl_add_u64 v[4:5], v[4:5], 0, v[0:1]
	v_add_co_u32_e32 v44, vcc, 0x1000, v24
	s_nop 1
	v_addc_co_u32_e32 v45, vcc, 0, v25, vcc
	global_store_dwordx4 v[24:25], v[16:19], off offset:1024 nt
	global_store_dwordx4 v[24:25], v[20:23], off offset:2048 nt
	;; [unrolled: 1-line block ×3, first 2 shown]
	global_store_dwordx4 v[44:45], v[32:35], off nt
	global_store_dwordx4 v[44:45], v[52:55], off offset:1024 nt
	global_store_dwordx4 v[44:45], v[40:43], off offset:2048 nt
	;; [unrolled: 1-line block ×3, first 2 shown]
	s_andn2_b64 exec, exec, s[58:59]
	s_cbranch_execnz .LBB18_294
; %bb.295:                              ;   in Loop: Header=BB18_81 Depth=1
	s_or_b64 exec, exec, s[58:59]
	v_accvgpr_read_b32 v35, a3
	v_accvgpr_read_b32 v53, a7
	;; [unrolled: 1-line block ×5, first 2 shown]
	v_accvgpr_mov_b32 a55, a27
	v_accvgpr_read_b32 v55, a35
	v_accvgpr_read_b32 v28, a36
	;; [unrolled: 1-line block ×11, first 2 shown]
	v_accvgpr_mov_b32 a54, a26
	v_accvgpr_read_b32 v43, a23
	v_accvgpr_read_b32 v42, a28
	v_mov_b32_e32 v45, 1
	v_accvgpr_read_b32 v60, a29
	v_accvgpr_read_b32 v54, a34
	;; [unrolled: 1-line block ×5, first 2 shown]
	v_mov_b64_e32 v[20:21], v[0:1]
	v_accvgpr_read_b32 v19, a47
	v_accvgpr_read_b32 v31, a50
	;; [unrolled: 1-line block ×3, first 2 shown]
.LBB18_296:                             ;   in Loop: Header=BB18_81 Depth=1
	s_or_b64 exec, exec, s[56:57]
	v_lshlrev_b32_e32 v6, 13, v6
	v_cmp_ne_u32_e32 vcc, v3, v6
	s_mov_b64 s[58:59], 0
	v_mov_b32_e32 v1, 0
                                        ; implicit-def: $vgpr16
                                        ; implicit-def: $vgpr0
                                        ; implicit-def: $vgpr8
	s_and_saveexec_b64 s[56:57], vcc
	s_cbranch_execz .LBB18_304
; %bb.297:                              ;   in Loop: Header=BB18_81 Depth=1
	v_lshlrev_b32_e32 v0, 6, v7
	v_accvgpr_read_b32 v1, a41
	v_sub_u32_e32 v0, v1, v0
	v_sub_u32_e32 v4, v3, v6
	v_ashrrev_i32_e32 v1, 31, v0
	v_lshrrev_b32_e32 v1, 26, v1
	v_ashrrev_i32_e32 v8, 31, v4
	v_add_u32_e32 v1, v0, v1
	v_lshrrev_b32_e32 v8, 22, v8
	v_ashrrev_i32_e32 v5, 6, v1
	v_and_b32_e32 v1, 0xffffffc0, v1
	v_add_u32_e32 v8, v4, v8
	v_sub_u32_e32 v7, v0, v1
	v_and_b32_e32 v10, 0xfffffc00, v8
	v_lshlrev_b32_e32 v0, 4, v7
	s_waitcnt vmcnt(0)
	v_sub_u32_e32 v12, v4, v10
	v_lshl_add_u32 v1, v5, 10, v0
	v_ashrrev_i32_e32 v9, 10, v8
	v_cmp_lt_i32_e32 vcc, 15, v12
	v_sub_u32_e32 v0, v4, v1
	s_nop 0
	v_addc_co_u32_e64 v4, s[26:27], 0, v9, vcc
	v_sub_u32_e32 v11, v4, v5
	v_cmp_lt_i32_e64 s[26:27], 15, v0
	s_and_saveexec_b64 s[58:59], s[26:27]
	s_cbranch_execz .LBB18_301
; %bb.298:                              ;   in Loop: Header=BB18_81 Depth=1
	s_trap 2
	ds_read_b64 v[4:5], v0
	v_add_u32_e32 v8, v1, v6
	v_ashrrev_i32_e32 v9, 31, v8
	s_mov_b64 s[60:61], 0
	v_mov_b64_e32 v[24:25], v[18:19]
.LBB18_299:                             ;   Parent Loop BB18_81 Depth=1
                                        ; =>  This Inner Loop Header: Depth=2
	s_waitcnt lgkmcnt(0)
	v_lshl_add_u64 v[20:21], v[4:5], 0, v[8:9]
	global_load_dwordx4 v[16:19], v[20:21], off nt
	v_sub_u32_e32 v0, v0, v60
	v_cmp_gt_i32_e64 s[26:27], 16, v0
	v_sub_u32_e32 v11, v11, v50
	v_lshl_add_u64 v[8:9], v[8:9], 0, v[24:25]
	s_or_b64 s[60:61], s[26:27], s[60:61]
	s_waitcnt vmcnt(0)
	global_store_dwordx4 v[20:21], v[16:19], off nt
	s_andn2_b64 exec, exec, s[60:61]
	s_cbranch_execnz .LBB18_299
; %bb.300:                              ;   in Loop: Header=BB18_81 Depth=1
	s_or_b64 exec, exec, s[60:61]
	v_accvgpr_read_b32 v20, a44
	v_accvgpr_read_b32 v21, a45
	v_mov_b64_e32 v[18:19], v[24:25]
	v_accvgpr_read_b32 v17, a51
.LBB18_301:                             ;   in Loop: Header=BB18_81 Depth=1
	s_or_b64 exec, exec, s[58:59]
	v_and_b32_e32 v4, 15, v3
	v_cndmask_b32_e32 v16, v12, v4, vcc
	v_cmp_ne_u32_e64 s[26:27], 0, v16
	s_mov_b64 s[58:59], 0
	v_mov_b32_e32 v1, 0
                                        ; implicit-def: $vgpr0
                                        ; implicit-def: $vgpr8
	s_and_saveexec_b64 s[60:61], s[26:27]
	s_cbranch_execz .LBB18_303
; %bb.302:                              ;   in Loop: Header=BB18_81 Depth=1
	v_sub_u32_e32 v0, v12, v4
	v_cndmask_b32_e32 v0, 0, v0, vcc
	v_cmp_lt_i32_e32 vcc, 0, v11
	v_add3_u32 v1, v10, v6, v0
	s_mov_b64 s[58:59], exec
	v_cndmask_b32_e32 v0, 0, v50, vcc
	v_sub_u32_e32 v0, v0, v11
	v_lshl_add_u32 v0, v0, 6, v7
	v_ashrrev_i32_e32 v4, 31, v0
	v_lshrrev_b32_e32 v4, 26, v4
	v_add_u32_e32 v4, v0, v4
	v_ashrrev_i32_e32 v8, 6, v4
.LBB18_303:                             ;   in Loop: Header=BB18_81 Depth=1
	s_or_b64 exec, exec, s[60:61]
	scratch_load_dwordx2 v[12:13], off, s33 offset:168 ; 8-byte Folded Reload
	s_and_b64 s[58:59], s[58:59], exec
.LBB18_304:                             ;   in Loop: Header=BB18_81 Depth=1
	s_or_b64 exec, exec, s[56:57]
	s_and_saveexec_b64 s[26:27], s[58:59]
	s_cbranch_execz .LBB18_313
.LBB18_305:                             ;   in Loop: Header=BB18_81 Depth=1
	v_ashrrev_i32_e32 v4, 31, v16
	v_lshrrev_b32_e32 v4, 21, v4
	v_add_u32_e32 v4, v16, v4
	s_waitcnt vmcnt(0)
	v_ashrrev_i32_e32 v12, 11, v4
	v_sub_u32_e32 v7, v12, v8
	v_cmp_lt_i32_e32 vcc, 0, v7
	s_and_saveexec_b64 s[56:57], vcc
	s_cbranch_execz .LBB18_309
; %bb.306:                              ;   in Loop: Header=BB18_81 Depth=1
	v_ashrrev_i32_e32 v6, 31, v0
	s_trap 2
	ds_read_b64 v[4:5], v0
	v_lshrrev_b32_e32 v6, 26, v6
	v_add_u32_e32 v6, v0, v6
	v_and_b32_e32 v6, 0xffffffc0, v6
	v_sub_u32_e32 v6, v0, v6
	v_lshlrev_b32_e32 v8, 11, v8
	v_add3_u32 v18, v1, v6, v8
	v_ashrrev_i32_e32 v19, 31, v18
	s_mov_b64 s[58:59], 0
	s_waitcnt lgkmcnt(0)
	v_mov_b64_e32 v[8:9], v[4:5]
.LBB18_307:                             ;   Parent Loop BB18_81 Depth=1
                                        ; =>  This Inner Loop Header: Depth=2
	v_lshl_add_u64 v[10:11], v[18:19], 0, v[8:9]
	flat_load_ubyte v6, v[10:11] nt
	flat_load_ubyte v13, v[10:11] offset:64 nt
	flat_load_ubyte v17, v[10:11] offset:128 nt
	;; [unrolled: 1-line block ×31, first 2 shown]
	v_sub_u32_e32 v7, v7, v50
	v_cmp_gt_i32_e32 vcc, 1, v7
	v_lshl_add_u64 v[10:11], v[18:19], 0, v[4:5]
	v_lshl_add_u64 v[8:9], v[8:9], 0, v[56:57]
	;; [unrolled: 1-line block ×3, first 2 shown]
	s_or_b64 s[58:59], vcc, s[58:59]
	s_waitcnt vmcnt(0) lgkmcnt(0)
	flat_store_byte v[10:11], v6 nt
	flat_store_byte v[10:11], v13 offset:64 nt
	flat_store_byte v[10:11], v17 offset:128 nt
	flat_store_byte v[10:11], v20 offset:192 nt
	flat_store_byte v[10:11], v21 offset:256 nt
	flat_store_byte v[10:11], v22 offset:320 nt
	flat_store_byte v[10:11], v23 offset:384 nt
	flat_store_byte v[10:11], v24 offset:448 nt
	flat_store_byte v[10:11], v25 offset:512 nt
	flat_store_byte v[10:11], v28 offset:576 nt
	flat_store_byte v[10:11], v29 offset:640 nt
	flat_store_byte v[10:11], v30 offset:704 nt
	flat_store_byte v[10:11], v31 offset:768 nt
	flat_store_byte v[10:11], v32 offset:832 nt
	flat_store_byte v[10:11], v33 offset:896 nt
	flat_store_byte v[10:11], v34 offset:960 nt
	flat_store_byte v[10:11], v35 offset:1024 nt
	flat_store_byte v[10:11], v48 offset:1088 nt
	flat_store_byte v[10:11], v52 offset:1152 nt
	flat_store_byte v[10:11], v53 offset:1216 nt
	flat_store_byte v[10:11], v54 offset:1280 nt
	flat_store_byte v[10:11], v55 offset:1344 nt
	flat_store_byte v[10:11], v40 offset:1408 nt
	flat_store_byte v[10:11], v41 offset:1472 nt
	flat_store_byte v[10:11], v42 offset:1536 nt
	flat_store_byte v[10:11], v43 offset:1600 nt
	flat_store_byte v[10:11], v44 offset:1664 nt
	flat_store_byte v[10:11], v45 offset:1728 nt
	flat_store_byte v[10:11], v58 offset:1792 nt
	flat_store_byte v[10:11], v59 offset:1856 nt
	flat_store_byte v[10:11], v60 offset:1920 nt
	flat_store_byte v[10:11], v61 offset:1984 nt
	s_andn2_b64 exec, exec, s[58:59]
	s_cbranch_execnz .LBB18_307
; %bb.308:                              ;   in Loop: Header=BB18_81 Depth=1
	s_or_b64 exec, exec, s[58:59]
	v_accvgpr_read_b32 v35, a3
	v_accvgpr_read_b32 v53, a7
	;; [unrolled: 1-line block ×5, first 2 shown]
	v_accvgpr_mov_b32 a55, a27
	v_accvgpr_read_b32 v55, a35
	v_accvgpr_read_b32 v28, a36
	;; [unrolled: 1-line block ×12, first 2 shown]
	v_accvgpr_mov_b32 a54, a26
	v_accvgpr_read_b32 v43, a23
	v_accvgpr_read_b32 v42, a28
	v_mov_b32_e32 v45, 1
	v_accvgpr_read_b32 v60, a29
	v_accvgpr_read_b32 v54, a34
	;; [unrolled: 1-line block ×9, first 2 shown]
.LBB18_309:                             ;   in Loop: Header=BB18_81 Depth=1
	s_or_b64 exec, exec, s[56:57]
	v_lshlrev_b32_e32 v4, 11, v12
	scratch_load_dwordx2 v[12:13], off, s33 offset:168 ; 8-byte Folded Reload
	v_cmp_ne_u32_e32 vcc, v16, v4
	s_and_b64 vcc, exec, vcc
	s_mov_b64 exec, vcc
	s_cbranch_execz .LBB18_313
; %bb.310:                              ;   in Loop: Header=BB18_81 Depth=1
	v_ashrrev_i32_e32 v5, 31, v0
	v_lshrrev_b32_e32 v5, 26, v5
	v_add_u32_e32 v5, v0, v5
	v_and_b32_e32 v5, 0xffffffc0, v5
	v_sub_u32_e32 v0, v0, v5
	v_lshlrev_b32_e32 v5, 6, v7
	v_sub_u32_e32 v0, v0, v5
	v_add_u32_e32 v6, v4, v0
	v_sub_u32_e32 v0, v16, v6
	v_cmp_lt_i32_e32 vcc, 0, v0
	s_and_b64 exec, exec, vcc
	s_cbranch_execz .LBB18_313
; %bb.311:                              ;   in Loop: Header=BB18_81 Depth=1
	s_trap 2
	ds_read_b64 v[4:5], v0
	v_add_u32_e32 v8, v6, v1
	v_ashrrev_i32_e32 v9, 31, v8
	s_mov_b64 s[56:57], 0
.LBB18_312:                             ;   Parent Loop BB18_81 Depth=1
                                        ; =>  This Inner Loop Header: Depth=2
	s_waitcnt lgkmcnt(0)
	v_lshl_add_u64 v[6:7], v[4:5], 0, v[8:9]
	flat_load_ubyte v1, v[6:7] nt
	v_sub_u32_e32 v0, v0, v42
	v_cmp_gt_i32_e32 vcc, 1, v0
	v_lshl_add_u64 v[8:9], v[8:9], 0, v[22:23]
	s_or_b64 s[56:57], vcc, s[56:57]
	s_waitcnt vmcnt(0) lgkmcnt(0)
	flat_store_byte v[6:7], v1 nt
	s_andn2_b64 exec, exec, s[56:57]
	s_cbranch_execnz .LBB18_312
.LBB18_313:                             ;   in Loop: Header=BB18_81 Depth=1
	s_or_b64 exec, exec, s[26:27]
	v_cmp_lt_i32_e64 s[26:27], 0, v3
.LBB18_314:                             ;   in Loop: Header=BB18_81 Depth=1
	s_and_saveexec_b64 s[56:57], s[4:5]
	s_cbranch_execz .LBB18_357
; %bb.315:                              ;   in Loop: Header=BB18_81 Depth=1
	s_and_saveexec_b64 vcc, s[42:43]
	s_xor_b64 s[58:59], exec, vcc
	s_cbranch_execz .LBB18_354
; %bb.316:                              ;   in Loop: Header=BB18_81 Depth=1
	s_and_saveexec_b64 s[60:61], s[12:13]
	s_cbranch_execz .LBB18_353
; %bb.317:                              ;   in Loop: Header=BB18_81 Depth=1
	s_mov_b64 s[64:65], exec
	v_mbcnt_lo_u32_b32 v0, s64, 0
	v_mbcnt_hi_u32_b32 v0, s65, v0
	v_cmp_eq_u32_e32 vcc, 0, v0
	s_waitcnt lgkmcnt(0)
	s_and_saveexec_b64 s[62:63], vcc
	s_cbranch_execz .LBB18_319
; %bb.318:                              ;   in Loop: Header=BB18_81 Depth=1
	s_bcnt1_i32_b64 vcc_lo, s[64:65]
	v_mov_b32_e32 v48, vcc_lo
	ds_add_u64 v0, v[48:49]
	s_trap 2
.LBB18_319:                             ;   in Loop: Header=BB18_81 Depth=1
	s_or_b64 exec, exec, s[62:63]
	s_trap 2
	ds_read_b64 v[0:1], v0
	v_lshl_add_u64 v[14:15], v[14:15], 0, v[50:51]
	s_waitcnt lgkmcnt(0)
	v_cmp_lt_u64_e32 vcc, v[0:1], v[14:15]
	s_and_saveexec_b64 s[62:63], vcc
	s_cbranch_execz .LBB18_352
; %bb.320:                              ;   in Loop: Header=BB18_81 Depth=1
	s_mov_b32 s81, 0
	s_mov_b64 s[64:65], 0
                                        ; implicit-def: $sgpr66_sgpr67
                                        ; implicit-def: $sgpr68_sgpr69
	s_branch .LBB18_322
.LBB18_321:                             ;   in Loop: Header=BB18_322 Depth=2
	s_or_b64 exec, exec, s[72:73]
	s_and_b64 vcc, exec, vcc
	s_or_b64 s[64:65], vcc, s[64:65]
	s_andn2_b64 vcc, s[66:67], exec
	s_and_b64 s[66:67], s[68:69], exec
	s_or_b64 s[66:67], vcc, s[66:67]
	s_andn2_b64 exec, exec, s[64:65]
	s_cbranch_execz .LBB18_350
.LBB18_322:                             ;   Parent Loop BB18_81 Depth=1
                                        ; =>  This Inner Loop Header: Depth=2
	s_add_i32 s81, s81, 1
	s_cmpk_lg_i32 s81, 0x2710
	s_cselect_b64 s[70:71], -1, 0
	s_and_b64 vcc, exec, s[70:71]
                                        ; implicit-def: $sgpr72_sgpr73
	s_cbranch_vccnz .LBB18_324
; %bb.323:                              ;   in Loop: Header=BB18_322 Depth=2
	s_trap 2
	ds_read_b64 v[0:1], v0
	s_andn2_b64 s[70:71], s[70:71], exec
	s_mov_b32 s81, 0
	s_mov_b64 s[72:73], -1
	s_waitcnt vmcnt(0) lgkmcnt(0)
	flat_load_dword v0, v[0:1] sc0 sc1
	s_waitcnt vmcnt(0) lgkmcnt(0)
	buffer_inv sc0 sc1
	v_cmp_eq_u32_e32 vcc, 0, v0
	s_and_b64 vcc, vcc, exec
	s_or_b64 s[70:71], s[70:71], vcc
.LBB18_324:                             ;   in Loop: Header=BB18_322 Depth=2
	s_andn2_b64 s[68:69], s[68:69], exec
	s_and_b64 s[72:73], s[72:73], exec
	s_mov_b64 vcc, -1
	s_or_b64 s[68:69], s[68:69], s[72:73]
	s_and_saveexec_b64 s[72:73], s[70:71]
	s_cbranch_execz .LBB18_321
; %bb.325:                              ;   in Loop: Header=BB18_322 Depth=2
	s_sleep 1
	s_trap 2
	ds_read_b64 v[0:1], v0
	s_andn2_b64 s[68:69], s[68:69], exec
	s_waitcnt lgkmcnt(0)
	v_cmp_ge_u64_e32 vcc, v[0:1], v[14:15]
	s_orn2_b64 vcc, vcc, exec
	s_branch .LBB18_321
.LBB18_326:                             ;   in Loop: Header=BB18_81 Depth=1
	s_or_b64 exec, exec, s[60:61]
	s_and_saveexec_b64 vcc, s[62:63]
	s_xor_b64 vcc, exec, vcc
	s_cbranch_execz .LBB18_328
; %bb.327:                              ;   in Loop: Header=BB18_81 Depth=1
	ds_write_b32 v0, v45
	s_trap 2
.LBB18_328:                             ;   in Loop: Header=BB18_81 Depth=1
	s_or_b64 exec, exec, s[58:59]
	;;#ASMSTART
	s_wakeup
	;;#ASMEND
.LBB18_329:                             ;   in Loop: Header=BB18_81 Depth=1
	s_or_b64 exec, exec, s[56:57]
.LBB18_330:                             ;   in Loop: Header=BB18_81 Depth=1
	s_andn2_saveexec_b64 vcc, s[30:31]
	s_cbranch_execz .LBB18_332
; %bb.331:                              ;   in Loop: Header=BB18_81 Depth=1
	s_waitcnt lgkmcnt(0)
	s_barrier
.LBB18_332:                             ;   in Loop: Header=BB18_81 Depth=1
	s_or_b64 exec, exec, vcc
.LBB18_333:                             ;   in Loop: Header=BB18_81 Depth=1
	s_or_b64 exec, exec, s[28:29]
	v_and_b32_e32 v0, 16, v62
	s_and_saveexec_b64 s[28:29], s[20:21]
	s_xor_b64 s[28:29], exec, s[28:29]
	s_cbranch_execz .LBB18_338
; %bb.334:                              ;   in Loop: Header=BB18_81 Depth=1
	v_and_b32_e32 v1, 16, v62
	v_cmp_ne_u32_e32 vcc, 0, v1
	v_and_b32_e32 v0, 16, v62
	s_and_b64 vcc, vcc, s[26:27]
	s_and_saveexec_b64 s[26:27], vcc
	s_cbranch_execz .LBB18_336
; %bb.335:                              ;   in Loop: Header=BB18_81 Depth=1
	v_mov_b32_e32 v0, 1
	buffer_wbl2 sc1
	s_waitcnt vmcnt(0) lgkmcnt(0)
	buffer_inv sc1
.LBB18_336:                             ;   in Loop: Header=BB18_81 Depth=1
	s_or_b64 exec, exec, s[26:27]
	s_andn2_saveexec_b64 s[26:27], s[28:29]
	s_cbranch_execnz .LBB18_339
.LBB18_337:                             ;   in Loop: Header=BB18_81 Depth=1
	s_or_b64 exec, exec, s[26:27]
	v_cmp_ne_u32_e32 vcc, 0, v0
	s_and_saveexec_b64 s[26:27], vcc
	s_cbranch_execnz .LBB18_381
	s_branch .LBB18_384
.LBB18_338:                             ;   in Loop: Header=BB18_81 Depth=1
	s_andn2_saveexec_b64 s[26:27], s[28:29]
	s_cbranch_execz .LBB18_337
.LBB18_339:                             ;   in Loop: Header=BB18_81 Depth=1
	s_and_saveexec_b64 s[28:29], s[42:43]
	s_xor_b64 s[28:29], exec, s[28:29]
	s_cbranch_execz .LBB18_378
; %bb.340:                              ;   in Loop: Header=BB18_81 Depth=1
	s_and_saveexec_b64 s[30:31], s[12:13]
	s_cbranch_execz .LBB18_377
; %bb.341:                              ;   in Loop: Header=BB18_81 Depth=1
	s_mov_b64 s[58:59], exec
	v_mbcnt_lo_u32_b32 v1, s58, 0
	v_mbcnt_hi_u32_b32 v1, s59, v1
	v_cmp_eq_u32_e32 vcc, 0, v1
	;;#ASMSTART
	s_waitcnt lgkmcnt(0) vmcnt(0)
	;;#ASMEND
	s_and_saveexec_b64 s[56:57], vcc
	s_cbranch_execz .LBB18_343
; %bb.342:                              ;   in Loop: Header=BB18_81 Depth=1
	s_bcnt1_i32_b64 vcc_lo, s[58:59]
	v_mov_b32_e32 v48, vcc_lo
	ds_add_u64 v0, v[48:49]
	s_trap 2
.LBB18_343:                             ;   in Loop: Header=BB18_81 Depth=1
	s_or_b64 exec, exec, s[56:57]
	s_trap 2
	ds_read_b64 v[2:3], v0
	v_lshl_add_u64 v[14:15], v[14:15], 0, v[50:51]
	s_waitcnt lgkmcnt(0)
	v_cmp_lt_u64_e32 vcc, v[2:3], v[14:15]
	s_and_saveexec_b64 s[56:57], vcc
	s_cbranch_execz .LBB18_376
; %bb.344:                              ;   in Loop: Header=BB18_81 Depth=1
	s_mov_b32 s68, 0
	s_mov_b64 s[58:59], 0
                                        ; implicit-def: $sgpr60_sgpr61
                                        ; implicit-def: $sgpr62_sgpr63
	s_branch .LBB18_346
.LBB18_345:                             ;   in Loop: Header=BB18_346 Depth=2
	s_or_b64 exec, exec, s[66:67]
	s_and_b64 vcc, exec, vcc
	s_or_b64 s[58:59], vcc, s[58:59]
	s_andn2_b64 vcc, s[60:61], exec
	s_and_b64 s[60:61], s[62:63], exec
	s_or_b64 s[60:61], vcc, s[60:61]
	s_andn2_b64 exec, exec, s[58:59]
	s_cbranch_execz .LBB18_374
.LBB18_346:                             ;   Parent Loop BB18_81 Depth=1
                                        ; =>  This Inner Loop Header: Depth=2
	s_add_i32 s68, s68, 1
	s_cmpk_lg_i32 s68, 0x2710
	s_cselect_b64 s[64:65], -1, 0
	s_and_b64 vcc, exec, s[64:65]
                                        ; implicit-def: $sgpr66_sgpr67
	s_cbranch_vccnz .LBB18_348
; %bb.347:                              ;   in Loop: Header=BB18_346 Depth=2
	s_trap 2
	ds_read_b64 v[2:3], v0
	s_andn2_b64 s[64:65], s[64:65], exec
	s_mov_b32 s68, 0
	s_mov_b64 s[66:67], -1
	s_waitcnt vmcnt(0) lgkmcnt(0)
	flat_load_dword v1, v[2:3] sc0 sc1
	s_waitcnt vmcnt(0) lgkmcnt(0)
	buffer_inv sc0 sc1
	v_cmp_eq_u32_e32 vcc, 0, v1
	s_and_b64 vcc, vcc, exec
	s_or_b64 s[64:65], s[64:65], vcc
.LBB18_348:                             ;   in Loop: Header=BB18_346 Depth=2
	s_andn2_b64 s[62:63], s[62:63], exec
	s_and_b64 s[66:67], s[66:67], exec
	s_mov_b64 vcc, -1
	s_or_b64 s[62:63], s[62:63], s[66:67]
	s_and_saveexec_b64 s[66:67], s[64:65]
	s_cbranch_execz .LBB18_345
; %bb.349:                              ;   in Loop: Header=BB18_346 Depth=2
	s_sleep 1
	s_trap 2
	ds_read_b64 v[2:3], v0
	s_andn2_b64 s[62:63], s[62:63], exec
	s_waitcnt lgkmcnt(0)
	v_cmp_ge_u64_e32 vcc, v[2:3], v[14:15]
	s_orn2_b64 vcc, vcc, exec
	s_branch .LBB18_345
.LBB18_350:                             ;   in Loop: Header=BB18_81 Depth=1
	s_or_b64 exec, exec, s[64:65]
	s_and_saveexec_b64 vcc, s[66:67]
	s_xor_b64 vcc, exec, vcc
	s_cbranch_execz .LBB18_352
; %bb.351:                              ;   in Loop: Header=BB18_81 Depth=1
	ds_write_b32 v0, v45
	s_trap 2
.LBB18_352:                             ;   in Loop: Header=BB18_81 Depth=1
	s_or_b64 exec, exec, s[62:63]
	;;#ASMSTART
	s_wakeup
	;;#ASMEND
.LBB18_353:                             ;   in Loop: Header=BB18_81 Depth=1
	s_or_b64 exec, exec, s[60:61]
.LBB18_354:                             ;   in Loop: Header=BB18_81 Depth=1
	s_andn2_saveexec_b64 vcc, s[58:59]
	s_cbranch_execz .LBB18_356
; %bb.355:                              ;   in Loop: Header=BB18_81 Depth=1
	s_waitcnt lgkmcnt(0)
	s_barrier
.LBB18_356:                             ;   in Loop: Header=BB18_81 Depth=1
	s_or_b64 exec, exec, vcc
.LBB18_357:                             ;   in Loop: Header=BB18_81 Depth=1
	s_or_b64 exec, exec, s[56:57]
	v_and_b32_e32 v0, 16, v62
	s_and_saveexec_b64 vcc, s[20:21]
	s_xor_b64 s[56:57], exec, vcc
	s_cbranch_execz .LBB18_362
; %bb.358:                              ;   in Loop: Header=BB18_81 Depth=1
	v_and_b32_e32 v1, 16, v62
	v_cmp_ne_u32_e32 vcc, 0, v1
	v_and_b32_e32 v0, 16, v62
	s_and_b64 vcc, vcc, s[26:27]
	s_and_saveexec_b64 s[26:27], vcc
	s_cbranch_execz .LBB18_360
; %bb.359:                              ;   in Loop: Header=BB18_81 Depth=1
	v_mov_b32_e32 v0, 1
	buffer_wbl2 sc1
	s_waitcnt vmcnt(0) lgkmcnt(0)
	buffer_inv sc1
.LBB18_360:                             ;   in Loop: Header=BB18_81 Depth=1
	s_or_b64 exec, exec, s[26:27]
	s_andn2_saveexec_b64 s[26:27], s[56:57]
	s_cbranch_execnz .LBB18_363
.LBB18_361:                             ;   in Loop: Header=BB18_81 Depth=1
	s_or_b64 exec, exec, s[26:27]
	v_cmp_ne_u32_e32 vcc, 0, v0
	s_and_saveexec_b64 s[26:27], vcc
	s_cbranch_execnz .LBB18_427
	s_branch .LBB18_430
.LBB18_362:                             ;   in Loop: Header=BB18_81 Depth=1
	s_andn2_saveexec_b64 s[26:27], s[56:57]
	s_cbranch_execz .LBB18_361
.LBB18_363:                             ;   in Loop: Header=BB18_81 Depth=1
	s_and_saveexec_b64 vcc, s[42:43]
	s_xor_b64 s[56:57], exec, vcc
	s_cbranch_execz .LBB18_424
; %bb.364:                              ;   in Loop: Header=BB18_81 Depth=1
	s_and_saveexec_b64 s[58:59], s[12:13]
	s_cbranch_execz .LBB18_423
; %bb.365:                              ;   in Loop: Header=BB18_81 Depth=1
	s_mov_b64 s[62:63], exec
	v_mbcnt_lo_u32_b32 v1, s62, 0
	v_mbcnt_hi_u32_b32 v1, s63, v1
	v_cmp_eq_u32_e32 vcc, 0, v1
	;;#ASMSTART
	s_waitcnt lgkmcnt(0) vmcnt(0)
	;;#ASMEND
	s_and_saveexec_b64 s[60:61], vcc
	s_cbranch_execz .LBB18_367
; %bb.366:                              ;   in Loop: Header=BB18_81 Depth=1
	s_bcnt1_i32_b64 vcc_lo, s[62:63]
	v_mov_b32_e32 v48, vcc_lo
	ds_add_u64 v0, v[48:49]
	s_trap 2
.LBB18_367:                             ;   in Loop: Header=BB18_81 Depth=1
	s_or_b64 exec, exec, s[60:61]
	s_trap 2
	ds_read_b64 v[4:5], v0
	v_lshl_add_u64 v[14:15], v[14:15], 0, v[50:51]
	s_waitcnt lgkmcnt(0)
	v_cmp_lt_u64_e32 vcc, v[4:5], v[14:15]
	s_and_saveexec_b64 s[60:61], vcc
	s_cbranch_execz .LBB18_422
; %bb.368:                              ;   in Loop: Header=BB18_81 Depth=1
	s_mov_b32 s72, 0
	s_mov_b64 s[62:63], 0
                                        ; implicit-def: $sgpr64_sgpr65
                                        ; implicit-def: $sgpr66_sgpr67
	s_branch .LBB18_370
.LBB18_369:                             ;   in Loop: Header=BB18_370 Depth=2
	s_or_b64 exec, exec, s[70:71]
	s_and_b64 vcc, exec, vcc
	s_or_b64 s[62:63], vcc, s[62:63]
	s_andn2_b64 vcc, s[64:65], exec
	s_and_b64 s[64:65], s[66:67], exec
	s_or_b64 s[64:65], vcc, s[64:65]
	s_andn2_b64 exec, exec, s[62:63]
	s_cbranch_execz .LBB18_420
.LBB18_370:                             ;   Parent Loop BB18_81 Depth=1
                                        ; =>  This Inner Loop Header: Depth=2
	s_add_i32 s72, s72, 1
	s_cmpk_lg_i32 s72, 0x2710
	s_cselect_b64 s[68:69], -1, 0
	s_and_b64 vcc, exec, s[68:69]
                                        ; implicit-def: $sgpr70_sgpr71
	s_cbranch_vccnz .LBB18_372
; %bb.371:                              ;   in Loop: Header=BB18_370 Depth=2
	s_trap 2
	ds_read_b64 v[4:5], v0
	s_andn2_b64 s[68:69], s[68:69], exec
	s_mov_b32 s72, 0
	s_mov_b64 s[70:71], -1
	s_waitcnt vmcnt(0) lgkmcnt(0)
	flat_load_dword v1, v[4:5] sc0 sc1
	s_waitcnt vmcnt(0) lgkmcnt(0)
	buffer_inv sc0 sc1
	v_cmp_eq_u32_e32 vcc, 0, v1
	s_and_b64 vcc, vcc, exec
	s_or_b64 s[68:69], s[68:69], vcc
.LBB18_372:                             ;   in Loop: Header=BB18_370 Depth=2
	s_andn2_b64 s[66:67], s[66:67], exec
	s_and_b64 s[70:71], s[70:71], exec
	s_mov_b64 vcc, -1
	s_or_b64 s[66:67], s[66:67], s[70:71]
	s_and_saveexec_b64 s[70:71], s[68:69]
	s_cbranch_execz .LBB18_369
; %bb.373:                              ;   in Loop: Header=BB18_370 Depth=2
	s_sleep 1
	s_trap 2
	ds_read_b64 v[4:5], v0
	s_andn2_b64 s[66:67], s[66:67], exec
	s_waitcnt lgkmcnt(0)
	v_cmp_ge_u64_e32 vcc, v[4:5], v[14:15]
	s_orn2_b64 vcc, vcc, exec
	s_branch .LBB18_369
.LBB18_374:                             ;   in Loop: Header=BB18_81 Depth=1
	s_or_b64 exec, exec, s[58:59]
	s_and_saveexec_b64 vcc, s[60:61]
	s_xor_b64 vcc, exec, vcc
	s_cbranch_execz .LBB18_376
; %bb.375:                              ;   in Loop: Header=BB18_81 Depth=1
	ds_write_b32 v0, v45
	s_trap 2
.LBB18_376:                             ;   in Loop: Header=BB18_81 Depth=1
	s_or_b64 exec, exec, s[56:57]
	;;#ASMSTART
	s_wakeup
	;;#ASMEND
.LBB18_377:                             ;   in Loop: Header=BB18_81 Depth=1
	s_or_b64 exec, exec, s[30:31]
.LBB18_378:                             ;   in Loop: Header=BB18_81 Depth=1
	s_andn2_saveexec_b64 s[28:29], s[28:29]
	s_cbranch_execz .LBB18_380
; %bb.379:                              ;   in Loop: Header=BB18_81 Depth=1
	;;#ASMSTART
	s_waitcnt lgkmcnt(0) vmcnt(0)
	;;#ASMEND
	s_barrier
.LBB18_380:                             ;   in Loop: Header=BB18_81 Depth=1
	s_or_b64 exec, exec, s[28:29]
	s_or_b64 exec, exec, s[26:27]
	v_cmp_ne_u32_e32 vcc, 0, v0
	s_and_saveexec_b64 s[26:27], vcc
	s_cbranch_execz .LBB18_384
.LBB18_381:                             ;   in Loop: Header=BB18_81 Depth=1
	s_and_saveexec_b64 s[28:29], s[10:11]
	s_cbranch_execz .LBB18_383
; %bb.382:                              ;   in Loop: Header=BB18_81 Depth=1
	v_accvgpr_read_b32 v0, a26
	v_accvgpr_read_b32 v1, a27
	flat_store_dword v[0:1], v45 sc0 sc1
.LBB18_383:                             ;   in Loop: Header=BB18_81 Depth=1
	s_or_b64 exec, exec, s[28:29]
	v_lshl_add_u64 v[38:39], v[38:39], 0, 4
	flat_store_dwordx2 v[26:27], v[38:39] sc0 sc1
.LBB18_384:                             ;   in Loop: Header=BB18_81 Depth=1
	s_or_b64 exec, exec, s[26:27]
	v_mov_b32_e32 v0, v24
.LBB18_385:                             ;   in Loop: Header=BB18_81 Depth=1
	s_or_b64 exec, exec, s[54:55]
	s_mov_b64 s[26:27], 0
	s_mov_b64 vcc, 0
	s_and_saveexec_b64 s[28:29], s[22:23]
	s_cbranch_execz .LBB18_522
; %bb.386:                              ;   in Loop: Header=BB18_81 Depth=1
	v_and_b32_e32 v1, 8, v62
	v_cmp_ne_u32_e32 vcc, 0, v1
	s_mov_b64 s[30:31], -1
	v_lshl_add_u64 v[4:5], v[38:39], 0, 4
	s_and_saveexec_b64 s[26:27], vcc
	s_cbranch_execz .LBB18_398
; %bb.387:                              ;   in Loop: Header=BB18_81 Depth=1
	v_lshl_add_u64 v[6:7], v[36:37], 0, 8
	v_lshl_add_u64 v[2:3], v[38:39], 0, 4
	v_cmp_lt_u64_e32 vcc, v[6:7], v[2:3]
	v_mov_b32_e32 v1, 1
	s_and_saveexec_b64 s[30:31], vcc
	s_cbranch_execz .LBB18_397
; %bb.388:                              ;   in Loop: Header=BB18_81 Depth=1
	s_mov_b64 s[54:55], 0
	v_mov_b32_e32 v1, 0
                                        ; implicit-def: $sgpr56_sgpr57
	s_branch .LBB18_392
.LBB18_389:                             ;   in Loop: Header=BB18_392 Depth=2
	s_or_b64 exec, exec, s[64:65]
	v_mov_b32_e32 v6, 0
	s_orn2_b64 s[62:63], s[62:63], exec
.LBB18_390:                             ;   in Loop: Header=BB18_392 Depth=2
	s_or_b64 exec, exec, s[60:61]
	s_andn2_b64 vcc, s[56:57], exec
	s_and_b64 s[56:57], s[62:63], exec
	s_or_b64 s[56:57], vcc, s[56:57]
	v_mov_b32_e32 v1, v6
.LBB18_391:                             ;   in Loop: Header=BB18_392 Depth=2
	s_or_b64 exec, exec, s[58:59]
	s_waitcnt vmcnt(0) lgkmcnt(0)
	v_lshl_add_u64 v[6:7], v[36:37], 0, 8
	v_cmp_ge_u64_e32 vcc, v[6:7], v[2:3]
	s_xor_b64 s[58:59], s[56:57], -1
	s_or_b64 vcc, s[58:59], vcc
	s_and_b64 vcc, exec, vcc
	s_or_b64 s[54:55], vcc, s[54:55]
	s_andn2_b64 exec, exec, s[54:55]
	s_cbranch_execz .LBB18_396
.LBB18_392:                             ;   Parent Loop BB18_81 Depth=1
                                        ; =>  This Inner Loop Header: Depth=2
	s_sleep 1
	flat_load_dwordx2 v[36:37], v[26:27] sc0 sc1
	v_and_b32_e32 v6, 64, v62
	v_cmp_eq_u32_e32 vcc, 0, v6
	s_andn2_b64 s[56:57], s[56:57], exec
	s_and_saveexec_b64 s[58:59], vcc
	s_cbranch_execz .LBB18_391
; %bb.393:                              ;   in Loop: Header=BB18_392 Depth=2
	v_add_u32_e32 v6, 1, v1
	v_cmp_lt_i32_e32 vcc, s77, v1
	s_mov_b64 s[62:63], -1
	s_and_saveexec_b64 s[60:61], vcc
	s_cbranch_execz .LBB18_390
; %bb.394:                              ;   in Loop: Header=BB18_392 Depth=2
	s_trap 2
	ds_read_b64 v[6:7], v0
	s_waitcnt vmcnt(0) lgkmcnt(0)
	flat_load_dword v1, v[6:7] sc0 sc1
	s_waitcnt vmcnt(0) lgkmcnt(0)
	buffer_inv sc0 sc1
	v_cmp_ne_u32_e32 vcc, 0, v1
	s_and_saveexec_b64 s[64:65], vcc
	s_cbranch_execz .LBB18_389
; %bb.395:                              ;   in Loop: Header=BB18_392 Depth=2
	v_or_b32_e32 v62, 64, v62
	s_xor_b64 s[62:63], exec, -1
	ds_write_b32 v0, v1
	s_trap 2
	s_branch .LBB18_389
.LBB18_396:                             ;   in Loop: Header=BB18_81 Depth=1
	s_or_b64 exec, exec, s[54:55]
	v_and_b32_e32 v1, 8, v62
.LBB18_397:                             ;   in Loop: Header=BB18_81 Depth=1
	s_or_b64 exec, exec, s[30:31]
	v_cmp_eq_u32_e32 vcc, 0, v1
	s_orn2_b64 s[30:31], vcc, exec
	;;#ASMSTART
	s_wakeup
	;;#ASMEND
.LBB18_398:                             ;   in Loop: Header=BB18_81 Depth=1
	s_or_b64 exec, exec, s[26:27]
	v_sub_u32_e32 v0, v31, v0
	s_xor_b64 s[26:27], s[30:31], -1
	v_min_i32_e32 v2, v24, v0
	s_and_saveexec_b64 s[30:31], s[26:27]
	s_cbranch_execz .LBB18_408
; %bb.399:                              ;   in Loop: Header=BB18_81 Depth=1
	v_and_b32_e32 v0, 0x100, v62
	v_cmp_ne_u32_e32 vcc, 0, v0
	v_and_b32_e32 v0, 7, v38
	s_mov_b64 s[26:27], -1
                                        ; implicit-def: $vgpr8_vgpr9
	s_and_saveexec_b64 s[54:55], vcc
	s_cbranch_execz .LBB18_403
; %bb.400:                              ;   in Loop: Header=BB18_81 Depth=1
	v_mad_u64_u32 v[10:11], s[26:27], v0, 24, v[40:41]
	flat_load_dword v1, v[10:11]
	v_ashrrev_i32_e32 v3, 31, v2
	flat_store_dwordx2 v[10:11], v[2:3] offset:8
                                        ; implicit-def: $vgpr8_vgpr9
	s_waitcnt vmcnt(0) lgkmcnt(0)
	v_cmp_ne_u32_e32 vcc, 1, v1
	v_cmp_eq_u32_e64 s[26:27], 1, v1
	s_and_saveexec_b64 s[56:57], s[26:27]
	s_cbranch_execz .LBB18_402
; %bb.401:                              ;   in Loop: Header=BB18_81 Depth=1
	flat_load_dword v8, v[10:11] offset:4 sc0 sc1
	s_waitcnt vmcnt(0) lgkmcnt(0)
	v_ashrrev_i32_e32 v9, 31, v8
.LBB18_402:                             ;   in Loop: Header=BB18_81 Depth=1
	s_or_b64 exec, exec, s[56:57]
	s_orn2_b64 s[26:27], vcc, exec
.LBB18_403:                             ;   in Loop: Header=BB18_81 Depth=1
	s_or_b64 exec, exec, s[54:55]
	s_and_saveexec_b64 vcc, s[26:27]
; %bb.404:                              ;   in Loop: Header=BB18_81 Depth=1
	v_mad_i64_i32 v[8:9], s[26:27], v0, v44, 0
; %bb.405:                              ;   in Loop: Header=BB18_81 Depth=1
	s_or_b64 exec, exec, vcc
	v_lshl_add_u64 v[0:1], v[58:59], 0, v[8:9]
	ds_write_b64 v0, v[0:1] offset:792
	v_and_b32_e32 v0, 0x2000, v62
	v_cmp_ne_u32_e32 vcc, 0, v0
	s_and_saveexec_b64 s[26:27], vcc
	s_cbranch_execz .LBB18_407
; %bb.406:                              ;   in Loop: Header=BB18_81 Depth=1
	ds_read_b64 v[0:1], v0 offset:584
	s_waitcnt lgkmcnt(0)
	v_lshl_add_u64 v[0:1], v[0:1], 0, 1
	ds_write_b64 v0, v[0:1] offset:584
.LBB18_407:                             ;   in Loop: Header=BB18_81 Depth=1
	s_or_b64 exec, exec, s[26:27]
	v_mov_b64_e32 v[38:39], v[4:5]
.LBB18_408:                             ;   in Loop: Header=BB18_81 Depth=1
	s_or_b64 exec, exec, s[30:31]
	s_and_saveexec_b64 s[26:27], s[4:5]
	s_cbranch_execz .LBB18_473
; %bb.409:                              ;   in Loop: Header=BB18_81 Depth=1
	s_and_saveexec_b64 vcc, s[42:43]
	s_xor_b64 s[30:31], exec, vcc
	s_cbranch_execz .LBB18_470
; %bb.410:                              ;   in Loop: Header=BB18_81 Depth=1
	s_and_saveexec_b64 s[54:55], s[12:13]
	s_cbranch_execz .LBB18_469
; %bb.411:                              ;   in Loop: Header=BB18_81 Depth=1
	s_mov_b64 s[58:59], exec
	v_mbcnt_lo_u32_b32 v0, s58, 0
	v_mbcnt_hi_u32_b32 v0, s59, v0
	v_cmp_eq_u32_e32 vcc, 0, v0
	s_waitcnt lgkmcnt(0)
	s_and_saveexec_b64 s[56:57], vcc
	s_cbranch_execz .LBB18_413
; %bb.412:                              ;   in Loop: Header=BB18_81 Depth=1
	s_bcnt1_i32_b64 vcc_lo, s[58:59]
	v_mov_b32_e32 v48, vcc_lo
	ds_add_u64 v0, v[48:49]
	s_trap 2
.LBB18_413:                             ;   in Loop: Header=BB18_81 Depth=1
	s_or_b64 exec, exec, s[56:57]
	s_trap 2
	ds_read_b64 v[0:1], v0
	v_lshl_add_u64 v[14:15], v[14:15], 0, v[50:51]
	s_waitcnt lgkmcnt(0)
	v_cmp_lt_u64_e32 vcc, v[0:1], v[14:15]
	s_and_saveexec_b64 s[56:57], vcc
	s_cbranch_execz .LBB18_468
; %bb.414:                              ;   in Loop: Header=BB18_81 Depth=1
	s_mov_b32 s68, 0
	s_mov_b64 s[58:59], 0
                                        ; implicit-def: $sgpr60_sgpr61
                                        ; implicit-def: $sgpr62_sgpr63
	s_branch .LBB18_416
.LBB18_415:                             ;   in Loop: Header=BB18_416 Depth=2
	s_or_b64 exec, exec, s[66:67]
	s_and_b64 vcc, exec, vcc
	s_or_b64 s[58:59], vcc, s[58:59]
	s_andn2_b64 vcc, s[60:61], exec
	s_and_b64 s[60:61], s[62:63], exec
	s_or_b64 s[60:61], vcc, s[60:61]
	s_andn2_b64 exec, exec, s[58:59]
	s_cbranch_execz .LBB18_466
.LBB18_416:                             ;   Parent Loop BB18_81 Depth=1
                                        ; =>  This Inner Loop Header: Depth=2
	s_add_i32 s68, s68, 1
	s_cmpk_lg_i32 s68, 0x2710
	s_cselect_b64 s[64:65], -1, 0
	s_and_b64 vcc, exec, s[64:65]
                                        ; implicit-def: $sgpr66_sgpr67
	s_cbranch_vccnz .LBB18_418
; %bb.417:                              ;   in Loop: Header=BB18_416 Depth=2
	s_trap 2
	ds_read_b64 v[0:1], v0
	s_andn2_b64 s[64:65], s[64:65], exec
	s_mov_b32 s68, 0
	s_mov_b64 s[66:67], -1
	s_waitcnt vmcnt(0) lgkmcnt(0)
	flat_load_dword v0, v[0:1] sc0 sc1
	s_waitcnt vmcnt(0) lgkmcnt(0)
	buffer_inv sc0 sc1
	v_cmp_eq_u32_e32 vcc, 0, v0
	s_and_b64 vcc, vcc, exec
	s_or_b64 s[64:65], s[64:65], vcc
.LBB18_418:                             ;   in Loop: Header=BB18_416 Depth=2
	s_andn2_b64 s[62:63], s[62:63], exec
	s_and_b64 s[66:67], s[66:67], exec
	s_mov_b64 vcc, -1
	s_or_b64 s[62:63], s[62:63], s[66:67]
	s_and_saveexec_b64 s[66:67], s[64:65]
	s_cbranch_execz .LBB18_415
; %bb.419:                              ;   in Loop: Header=BB18_416 Depth=2
	s_sleep 1
	s_trap 2
	ds_read_b64 v[0:1], v0
	s_andn2_b64 s[62:63], s[62:63], exec
	s_waitcnt lgkmcnt(0)
	v_cmp_ge_u64_e32 vcc, v[0:1], v[14:15]
	s_orn2_b64 vcc, vcc, exec
	s_branch .LBB18_415
.LBB18_420:                             ;   in Loop: Header=BB18_81 Depth=1
	s_or_b64 exec, exec, s[62:63]
	s_and_saveexec_b64 vcc, s[64:65]
	s_xor_b64 vcc, exec, vcc
	s_cbranch_execz .LBB18_422
; %bb.421:                              ;   in Loop: Header=BB18_81 Depth=1
	ds_write_b32 v0, v45
	s_trap 2
.LBB18_422:                             ;   in Loop: Header=BB18_81 Depth=1
	s_or_b64 exec, exec, s[60:61]
	;;#ASMSTART
	s_wakeup
	;;#ASMEND
.LBB18_423:                             ;   in Loop: Header=BB18_81 Depth=1
	s_or_b64 exec, exec, s[58:59]
.LBB18_424:                             ;   in Loop: Header=BB18_81 Depth=1
	s_andn2_saveexec_b64 vcc, s[56:57]
	s_cbranch_execz .LBB18_426
; %bb.425:                              ;   in Loop: Header=BB18_81 Depth=1
	;;#ASMSTART
	s_waitcnt lgkmcnt(0) vmcnt(0)
	;;#ASMEND
	s_barrier
.LBB18_426:                             ;   in Loop: Header=BB18_81 Depth=1
	s_or_b64 exec, exec, vcc
	s_or_b64 exec, exec, s[26:27]
	v_cmp_ne_u32_e32 vcc, 0, v0
	s_and_saveexec_b64 s[26:27], vcc
	s_cbranch_execz .LBB18_430
.LBB18_427:                             ;   in Loop: Header=BB18_81 Depth=1
	s_and_saveexec_b64 vcc, s[10:11]
	s_cbranch_execz .LBB18_429
; %bb.428:                              ;   in Loop: Header=BB18_81 Depth=1
	v_accvgpr_read_b32 v0, a54
	v_accvgpr_read_b32 v1, a55
	flat_store_dword v[0:1], v45 sc0 sc1
.LBB18_429:                             ;   in Loop: Header=BB18_81 Depth=1
	s_or_b64 exec, exec, vcc
	v_lshl_add_u64 v[38:39], v[38:39], 0, 4
	flat_store_dwordx2 v[26:27], v[38:39] sc0 sc1
.LBB18_430:                             ;   in Loop: Header=BB18_81 Depth=1
	s_or_b64 exec, exec, s[26:27]
	v_mov_b32_e32 v0, v2
.LBB18_431:                             ;   in Loop: Header=BB18_81 Depth=1
	s_or_b64 exec, exec, s[54:55]
	s_mov_b64 s[26:27], s[30:31]
	s_mov_b64 vcc, s[28:29]
	s_and_saveexec_b64 s[54:55], s[22:23]
	s_cbranch_execz .LBB18_536
; %bb.432:                              ;   in Loop: Header=BB18_81 Depth=1
	v_and_b32_e32 v1, 8, v62
	v_cmp_ne_u32_e32 vcc, 0, v1
	s_mov_b64 s[56:57], -1
	v_lshl_add_u64 v[4:5], v[38:39], 0, 4
	s_and_saveexec_b64 s[26:27], vcc
	s_cbranch_execz .LBB18_444
; %bb.433:                              ;   in Loop: Header=BB18_81 Depth=1
	v_lshl_add_u64 v[6:7], v[36:37], 0, 8
	v_lshl_add_u64 v[8:9], v[38:39], 0, 4
	v_cmp_lt_u64_e32 vcc, v[6:7], v[8:9]
	v_mov_b32_e32 v1, 1
	s_and_saveexec_b64 s[56:57], vcc
	s_cbranch_execz .LBB18_443
; %bb.434:                              ;   in Loop: Header=BB18_81 Depth=1
	s_mov_b64 s[58:59], 0
	v_mov_b32_e32 v1, 0
                                        ; implicit-def: $sgpr60_sgpr61
	s_branch .LBB18_438
.LBB18_435:                             ;   in Loop: Header=BB18_438 Depth=2
	s_or_b64 exec, exec, s[68:69]
	v_mov_b32_e32 v3, 0
	s_orn2_b64 s[66:67], s[66:67], exec
.LBB18_436:                             ;   in Loop: Header=BB18_438 Depth=2
	s_or_b64 exec, exec, s[64:65]
	s_andn2_b64 vcc, s[60:61], exec
	s_and_b64 s[60:61], s[66:67], exec
	s_or_b64 s[60:61], vcc, s[60:61]
	v_mov_b32_e32 v1, v3
.LBB18_437:                             ;   in Loop: Header=BB18_438 Depth=2
	s_or_b64 exec, exec, s[62:63]
	s_waitcnt vmcnt(0) lgkmcnt(0)
	v_lshl_add_u64 v[6:7], v[36:37], 0, 8
	v_cmp_ge_u64_e32 vcc, v[6:7], v[8:9]
	s_xor_b64 s[62:63], s[60:61], -1
	s_or_b64 vcc, s[62:63], vcc
	s_and_b64 vcc, exec, vcc
	s_or_b64 s[58:59], vcc, s[58:59]
	s_andn2_b64 exec, exec, s[58:59]
	s_cbranch_execz .LBB18_442
.LBB18_438:                             ;   Parent Loop BB18_81 Depth=1
                                        ; =>  This Inner Loop Header: Depth=2
	s_sleep 1
	flat_load_dwordx2 v[36:37], v[26:27] sc0 sc1
	v_and_b32_e32 v3, 64, v62
	v_cmp_eq_u32_e32 vcc, 0, v3
	s_andn2_b64 s[60:61], s[60:61], exec
	s_and_saveexec_b64 s[62:63], vcc
	s_cbranch_execz .LBB18_437
; %bb.439:                              ;   in Loop: Header=BB18_438 Depth=2
	v_add_u32_e32 v3, 1, v1
	v_cmp_lt_i32_e32 vcc, s77, v1
	s_mov_b64 s[66:67], -1
	s_and_saveexec_b64 s[64:65], vcc
	s_cbranch_execz .LBB18_436
; %bb.440:                              ;   in Loop: Header=BB18_438 Depth=2
	s_trap 2
	ds_read_b64 v[6:7], v0
	s_waitcnt vmcnt(0) lgkmcnt(0)
	flat_load_dword v1, v[6:7] sc0 sc1
	s_waitcnt vmcnt(0) lgkmcnt(0)
	buffer_inv sc0 sc1
	v_cmp_ne_u32_e32 vcc, 0, v1
	s_and_saveexec_b64 s[68:69], vcc
	s_cbranch_execz .LBB18_435
; %bb.441:                              ;   in Loop: Header=BB18_438 Depth=2
	v_or_b32_e32 v62, 64, v62
	s_xor_b64 s[66:67], exec, -1
	ds_write_b32 v0, v1
	s_trap 2
	s_branch .LBB18_435
.LBB18_442:                             ;   in Loop: Header=BB18_81 Depth=1
	s_or_b64 exec, exec, s[58:59]
	v_and_b32_e32 v1, 8, v62
.LBB18_443:                             ;   in Loop: Header=BB18_81 Depth=1
	s_or_b64 exec, exec, s[56:57]
	v_cmp_eq_u32_e32 vcc, 0, v1
	s_orn2_b64 s[56:57], vcc, exec
	;;#ASMSTART
	s_wakeup
	;;#ASMEND
.LBB18_444:                             ;   in Loop: Header=BB18_81 Depth=1
	s_or_b64 exec, exec, s[26:27]
	v_sub_u32_e32 v0, v31, v0
	s_xor_b64 s[26:27], s[56:57], -1
	v_min_i32_e32 v2, v2, v0
	s_and_saveexec_b64 s[56:57], s[26:27]
	s_cbranch_execz .LBB18_454
; %bb.445:                              ;   in Loop: Header=BB18_81 Depth=1
	v_and_b32_e32 v0, 0x100, v62
	v_cmp_ne_u32_e32 vcc, 0, v0
	v_and_b32_e32 v0, 7, v38
	s_mov_b64 s[26:27], -1
                                        ; implicit-def: $vgpr8_vgpr9
	s_and_saveexec_b64 s[58:59], vcc
	s_cbranch_execz .LBB18_449
; %bb.446:                              ;   in Loop: Header=BB18_81 Depth=1
	v_mad_u64_u32 v[10:11], s[26:27], v0, 24, v[40:41]
	flat_load_dword v1, v[10:11]
	v_ashrrev_i32_e32 v3, 31, v2
	flat_store_dwordx2 v[10:11], v[2:3] offset:8
                                        ; implicit-def: $vgpr8_vgpr9
	s_waitcnt vmcnt(0) lgkmcnt(0)
	v_cmp_ne_u32_e32 vcc, 1, v1
	v_cmp_eq_u32_e64 s[26:27], 1, v1
	s_and_saveexec_b64 s[60:61], s[26:27]
	s_cbranch_execz .LBB18_448
; %bb.447:                              ;   in Loop: Header=BB18_81 Depth=1
	flat_load_dword v8, v[10:11] offset:4 sc0 sc1
	s_waitcnt vmcnt(0) lgkmcnt(0)
	v_ashrrev_i32_e32 v9, 31, v8
.LBB18_448:                             ;   in Loop: Header=BB18_81 Depth=1
	s_or_b64 exec, exec, s[60:61]
	s_orn2_b64 s[26:27], vcc, exec
.LBB18_449:                             ;   in Loop: Header=BB18_81 Depth=1
	s_or_b64 exec, exec, s[58:59]
	s_and_saveexec_b64 vcc, s[26:27]
; %bb.450:                              ;   in Loop: Header=BB18_81 Depth=1
	v_mad_i64_i32 v[8:9], s[26:27], v0, v44, 0
; %bb.451:                              ;   in Loop: Header=BB18_81 Depth=1
	s_or_b64 exec, exec, vcc
	v_lshl_add_u64 v[0:1], v[58:59], 0, v[8:9]
	ds_write_b64 v0, v[0:1] offset:784
	v_and_b32_e32 v0, 0x2000, v62
	v_cmp_ne_u32_e32 vcc, 0, v0
	s_and_saveexec_b64 s[26:27], vcc
	s_cbranch_execz .LBB18_453
; %bb.452:                              ;   in Loop: Header=BB18_81 Depth=1
	ds_read_b64 v[0:1], v0 offset:584
	s_waitcnt lgkmcnt(0)
	v_lshl_add_u64 v[0:1], v[0:1], 0, 1
	ds_write_b64 v0, v[0:1] offset:584
.LBB18_453:                             ;   in Loop: Header=BB18_81 Depth=1
	s_or_b64 exec, exec, s[26:27]
	v_mov_b64_e32 v[38:39], v[4:5]
.LBB18_454:                             ;   in Loop: Header=BB18_81 Depth=1
	s_or_b64 exec, exec, s[56:57]
	s_and_saveexec_b64 s[26:27], s[4:5]
	s_cbranch_execz .LBB18_496
; %bb.455:                              ;   in Loop: Header=BB18_81 Depth=1
	s_and_saveexec_b64 vcc, s[42:43]
	s_xor_b64 s[56:57], exec, vcc
	s_cbranch_execz .LBB18_493
; %bb.456:                              ;   in Loop: Header=BB18_81 Depth=1
	s_and_saveexec_b64 s[58:59], s[12:13]
	s_cbranch_execz .LBB18_492
; %bb.457:                              ;   in Loop: Header=BB18_81 Depth=1
	s_mov_b64 s[62:63], exec
	v_mbcnt_lo_u32_b32 v0, s62, 0
	v_mbcnt_hi_u32_b32 v0, s63, v0
	v_cmp_eq_u32_e32 vcc, 0, v0
	s_waitcnt lgkmcnt(0)
	s_and_saveexec_b64 s[60:61], vcc
	s_cbranch_execz .LBB18_459
; %bb.458:                              ;   in Loop: Header=BB18_81 Depth=1
	s_bcnt1_i32_b64 vcc_lo, s[62:63]
	v_mov_b32_e32 v48, vcc_lo
	ds_add_u64 v0, v[48:49]
	s_trap 2
.LBB18_459:                             ;   in Loop: Header=BB18_81 Depth=1
	s_or_b64 exec, exec, s[60:61]
	s_trap 2
	ds_read_b64 v[0:1], v0
	v_lshl_add_u64 v[14:15], v[14:15], 0, v[50:51]
	s_waitcnt lgkmcnt(0)
	v_cmp_lt_u64_e32 vcc, v[0:1], v[14:15]
	s_and_saveexec_b64 s[60:61], vcc
	s_cbranch_execz .LBB18_491
; %bb.460:                              ;   in Loop: Header=BB18_81 Depth=1
	s_mov_b32 s72, 0
	s_mov_b64 s[62:63], 0
                                        ; implicit-def: $sgpr64_sgpr65
                                        ; implicit-def: $sgpr66_sgpr67
	s_branch .LBB18_462
.LBB18_461:                             ;   in Loop: Header=BB18_462 Depth=2
	s_or_b64 exec, exec, s[70:71]
	s_and_b64 vcc, exec, vcc
	s_or_b64 s[62:63], vcc, s[62:63]
	s_andn2_b64 vcc, s[64:65], exec
	s_and_b64 s[64:65], s[66:67], exec
	s_or_b64 s[64:65], vcc, s[64:65]
	s_andn2_b64 exec, exec, s[62:63]
	s_cbranch_execz .LBB18_489
.LBB18_462:                             ;   Parent Loop BB18_81 Depth=1
                                        ; =>  This Inner Loop Header: Depth=2
	s_add_i32 s72, s72, 1
	s_cmpk_lg_i32 s72, 0x2710
	s_cselect_b64 s[68:69], -1, 0
	s_and_b64 vcc, exec, s[68:69]
                                        ; implicit-def: $sgpr70_sgpr71
	s_cbranch_vccnz .LBB18_464
; %bb.463:                              ;   in Loop: Header=BB18_462 Depth=2
	s_trap 2
	ds_read_b64 v[0:1], v0
	s_andn2_b64 s[68:69], s[68:69], exec
	s_mov_b32 s72, 0
	s_mov_b64 s[70:71], -1
	s_waitcnt vmcnt(0) lgkmcnt(0)
	flat_load_dword v0, v[0:1] sc0 sc1
	s_waitcnt vmcnt(0) lgkmcnt(0)
	buffer_inv sc0 sc1
	v_cmp_eq_u32_e32 vcc, 0, v0
	s_and_b64 vcc, vcc, exec
	s_or_b64 s[68:69], s[68:69], vcc
.LBB18_464:                             ;   in Loop: Header=BB18_462 Depth=2
	s_andn2_b64 s[66:67], s[66:67], exec
	s_and_b64 s[70:71], s[70:71], exec
	s_mov_b64 vcc, -1
	s_or_b64 s[66:67], s[66:67], s[70:71]
	s_and_saveexec_b64 s[70:71], s[68:69]
	s_cbranch_execz .LBB18_461
; %bb.465:                              ;   in Loop: Header=BB18_462 Depth=2
	s_sleep 1
	s_trap 2
	ds_read_b64 v[0:1], v0
	s_andn2_b64 s[66:67], s[66:67], exec
	s_waitcnt lgkmcnt(0)
	v_cmp_ge_u64_e32 vcc, v[0:1], v[14:15]
	s_orn2_b64 vcc, vcc, exec
	s_branch .LBB18_461
.LBB18_466:                             ;   in Loop: Header=BB18_81 Depth=1
	s_or_b64 exec, exec, s[58:59]
	s_and_saveexec_b64 vcc, s[60:61]
	s_xor_b64 vcc, exec, vcc
	s_cbranch_execz .LBB18_468
; %bb.467:                              ;   in Loop: Header=BB18_81 Depth=1
	ds_write_b32 v0, v45
	s_trap 2
.LBB18_468:                             ;   in Loop: Header=BB18_81 Depth=1
	s_or_b64 exec, exec, s[56:57]
	;;#ASMSTART
	s_wakeup
	;;#ASMEND
.LBB18_469:                             ;   in Loop: Header=BB18_81 Depth=1
	s_or_b64 exec, exec, s[54:55]
.LBB18_470:                             ;   in Loop: Header=BB18_81 Depth=1
	s_andn2_saveexec_b64 vcc, s[30:31]
	s_cbranch_execz .LBB18_472
; %bb.471:                              ;   in Loop: Header=BB18_81 Depth=1
	s_waitcnt lgkmcnt(0)
	s_barrier
.LBB18_472:                             ;   in Loop: Header=BB18_81 Depth=1
	s_or_b64 exec, exec, vcc
.LBB18_473:                             ;   in Loop: Header=BB18_81 Depth=1
	s_or_b64 exec, exec, s[26:27]
	v_and_b32_e32 v0, 16, v62
	s_and_saveexec_b64 s[26:27], s[20:21]
	s_xor_b64 s[26:27], exec, s[26:27]
	s_cbranch_execz .LBB18_477
; %bb.474:                              ;   in Loop: Header=BB18_81 Depth=1
	s_trap 2
	ds_read_b32 v1, v0
	v_cmp_lt_i32_e32 vcc, 0, v2
	v_and_b32_e32 v2, 16, v62
	v_and_b32_e32 v0, 16, v62
	s_waitcnt lgkmcnt(0)
	v_readfirstlane_b32 s30, v1
	s_cmp_eq_u32 s30, 0
	s_cselect_b64 s[30:31], -1, 0
	s_and_b64 s[30:31], vcc, s[30:31]
	v_cmp_ne_u32_e32 vcc, 0, v2
	s_and_b64 s[30:31], vcc, s[30:31]
	s_and_saveexec_b64 vcc, s[30:31]
	s_cbranch_execz .LBB18_476
; %bb.475:                              ;   in Loop: Header=BB18_81 Depth=1
	v_mov_b32_e32 v0, 1
	buffer_wbl2 sc1
	s_waitcnt vmcnt(0)
	buffer_inv sc1
.LBB18_476:                             ;   in Loop: Header=BB18_81 Depth=1
	s_or_b64 exec, exec, vcc
.LBB18_477:                             ;   in Loop: Header=BB18_81 Depth=1
	s_andn2_saveexec_b64 s[26:27], s[26:27]
	s_cbranch_execz .LBB18_519
; %bb.478:                              ;   in Loop: Header=BB18_81 Depth=1
	s_and_saveexec_b64 vcc, s[42:43]
	s_xor_b64 s[30:31], exec, vcc
	s_cbranch_execz .LBB18_516
; %bb.479:                              ;   in Loop: Header=BB18_81 Depth=1
	s_and_saveexec_b64 s[54:55], s[12:13]
	s_cbranch_execz .LBB18_515
; %bb.480:                              ;   in Loop: Header=BB18_81 Depth=1
	s_mov_b64 s[58:59], exec
	v_mbcnt_lo_u32_b32 v1, s58, 0
	v_mbcnt_hi_u32_b32 v1, s59, v1
	v_cmp_eq_u32_e32 vcc, 0, v1
	;;#ASMSTART
	s_waitcnt lgkmcnt(0) vmcnt(0)
	;;#ASMEND
	s_and_saveexec_b64 s[56:57], vcc
	s_cbranch_execz .LBB18_482
; %bb.481:                              ;   in Loop: Header=BB18_81 Depth=1
	s_bcnt1_i32_b64 vcc_lo, s[58:59]
	v_mov_b32_e32 v48, vcc_lo
	ds_add_u64 v0, v[48:49]
	s_trap 2
.LBB18_482:                             ;   in Loop: Header=BB18_81 Depth=1
	s_or_b64 exec, exec, s[56:57]
	s_trap 2
	ds_read_b64 v[2:3], v0
	v_lshl_add_u64 v[14:15], v[14:15], 0, v[50:51]
	s_waitcnt lgkmcnt(0)
	v_cmp_lt_u64_e32 vcc, v[2:3], v[14:15]
	s_and_saveexec_b64 s[56:57], vcc
	s_cbranch_execz .LBB18_514
; %bb.483:                              ;   in Loop: Header=BB18_81 Depth=1
	s_mov_b32 s68, 0
	s_mov_b64 s[58:59], 0
                                        ; implicit-def: $sgpr60_sgpr61
                                        ; implicit-def: $sgpr62_sgpr63
	s_branch .LBB18_485
.LBB18_484:                             ;   in Loop: Header=BB18_485 Depth=2
	s_or_b64 exec, exec, s[66:67]
	s_and_b64 vcc, exec, vcc
	s_or_b64 s[58:59], vcc, s[58:59]
	s_andn2_b64 vcc, s[60:61], exec
	s_and_b64 s[60:61], s[62:63], exec
	s_or_b64 s[60:61], vcc, s[60:61]
	s_andn2_b64 exec, exec, s[58:59]
	s_cbranch_execz .LBB18_512
.LBB18_485:                             ;   Parent Loop BB18_81 Depth=1
                                        ; =>  This Inner Loop Header: Depth=2
	s_add_i32 s68, s68, 1
	s_cmpk_lg_i32 s68, 0x2710
	s_cselect_b64 s[64:65], -1, 0
	s_and_b64 vcc, exec, s[64:65]
                                        ; implicit-def: $sgpr66_sgpr67
	s_cbranch_vccnz .LBB18_487
; %bb.486:                              ;   in Loop: Header=BB18_485 Depth=2
	s_trap 2
	ds_read_b64 v[2:3], v0
	s_andn2_b64 s[64:65], s[64:65], exec
	s_mov_b32 s68, 0
	s_mov_b64 s[66:67], -1
	s_waitcnt vmcnt(0) lgkmcnt(0)
	flat_load_dword v1, v[2:3] sc0 sc1
	s_waitcnt vmcnt(0) lgkmcnt(0)
	buffer_inv sc0 sc1
	v_cmp_eq_u32_e32 vcc, 0, v1
	s_and_b64 vcc, vcc, exec
	s_or_b64 s[64:65], s[64:65], vcc
.LBB18_487:                             ;   in Loop: Header=BB18_485 Depth=2
	s_andn2_b64 s[62:63], s[62:63], exec
	s_and_b64 s[66:67], s[66:67], exec
	s_mov_b64 vcc, -1
	s_or_b64 s[62:63], s[62:63], s[66:67]
	s_and_saveexec_b64 s[66:67], s[64:65]
	s_cbranch_execz .LBB18_484
; %bb.488:                              ;   in Loop: Header=BB18_485 Depth=2
	s_sleep 1
	s_trap 2
	ds_read_b64 v[2:3], v0
	s_andn2_b64 s[62:63], s[62:63], exec
	s_waitcnt lgkmcnt(0)
	v_cmp_ge_u64_e32 vcc, v[2:3], v[14:15]
	s_orn2_b64 vcc, vcc, exec
	s_branch .LBB18_484
.LBB18_489:                             ;   in Loop: Header=BB18_81 Depth=1
	s_or_b64 exec, exec, s[62:63]
	s_and_saveexec_b64 vcc, s[64:65]
	s_xor_b64 vcc, exec, vcc
	s_cbranch_execz .LBB18_491
; %bb.490:                              ;   in Loop: Header=BB18_81 Depth=1
	ds_write_b32 v0, v45
	s_trap 2
.LBB18_491:                             ;   in Loop: Header=BB18_81 Depth=1
	s_or_b64 exec, exec, s[60:61]
	;;#ASMSTART
	s_wakeup
	;;#ASMEND
.LBB18_492:                             ;   in Loop: Header=BB18_81 Depth=1
	s_or_b64 exec, exec, s[58:59]
.LBB18_493:                             ;   in Loop: Header=BB18_81 Depth=1
	s_andn2_saveexec_b64 vcc, s[56:57]
	s_cbranch_execz .LBB18_495
; %bb.494:                              ;   in Loop: Header=BB18_81 Depth=1
	s_waitcnt lgkmcnt(0)
	s_barrier
.LBB18_495:                             ;   in Loop: Header=BB18_81 Depth=1
	s_or_b64 exec, exec, vcc
.LBB18_496:                             ;   in Loop: Header=BB18_81 Depth=1
	s_or_b64 exec, exec, s[26:27]
	v_and_b32_e32 v0, 16, v62
	s_and_saveexec_b64 s[26:27], s[20:21]
	s_xor_b64 s[26:27], exec, s[26:27]
	s_cbranch_execz .LBB18_500
; %bb.497:                              ;   in Loop: Header=BB18_81 Depth=1
	s_trap 2
	ds_read_b32 v1, v0
	v_cmp_lt_i32_e32 vcc, 0, v2
	v_and_b32_e32 v2, 16, v62
	v_and_b32_e32 v0, 16, v62
	s_waitcnt lgkmcnt(0)
	v_readfirstlane_b32 s56, v1
	s_cmp_eq_u32 s56, 0
	s_cselect_b64 s[56:57], -1, 0
	s_and_b64 s[56:57], vcc, s[56:57]
	v_cmp_ne_u32_e32 vcc, 0, v2
	s_and_b64 s[56:57], vcc, s[56:57]
	s_and_saveexec_b64 vcc, s[56:57]
	s_cbranch_execz .LBB18_499
; %bb.498:                              ;   in Loop: Header=BB18_81 Depth=1
	v_mov_b32_e32 v0, 1
	buffer_wbl2 sc1
	s_waitcnt vmcnt(0)
	buffer_inv sc1
.LBB18_499:                             ;   in Loop: Header=BB18_81 Depth=1
	s_or_b64 exec, exec, vcc
.LBB18_500:                             ;   in Loop: Header=BB18_81 Depth=1
	s_andn2_saveexec_b64 s[26:27], s[26:27]
	s_cbranch_execz .LBB18_533
; %bb.501:                              ;   in Loop: Header=BB18_81 Depth=1
	s_and_saveexec_b64 vcc, s[42:43]
	s_xor_b64 s[56:57], exec, vcc
	s_cbranch_execz .LBB18_530
; %bb.502:                              ;   in Loop: Header=BB18_81 Depth=1
	s_and_saveexec_b64 s[58:59], s[12:13]
	s_cbranch_execz .LBB18_529
; %bb.503:                              ;   in Loop: Header=BB18_81 Depth=1
	s_mov_b64 s[62:63], exec
	v_mbcnt_lo_u32_b32 v1, s62, 0
	v_mbcnt_hi_u32_b32 v1, s63, v1
	v_cmp_eq_u32_e32 vcc, 0, v1
	;;#ASMSTART
	s_waitcnt lgkmcnt(0) vmcnt(0)
	;;#ASMEND
	s_and_saveexec_b64 s[60:61], vcc
	s_cbranch_execz .LBB18_505
; %bb.504:                              ;   in Loop: Header=BB18_81 Depth=1
	s_bcnt1_i32_b64 vcc_lo, s[62:63]
	v_mov_b32_e32 v48, vcc_lo
	ds_add_u64 v0, v[48:49]
	s_trap 2
.LBB18_505:                             ;   in Loop: Header=BB18_81 Depth=1
	s_or_b64 exec, exec, s[60:61]
	s_trap 2
	ds_read_b64 v[2:3], v0
	v_lshl_add_u64 v[14:15], v[14:15], 0, v[50:51]
	s_waitcnt lgkmcnt(0)
	v_cmp_lt_u64_e32 vcc, v[2:3], v[14:15]
	s_and_saveexec_b64 s[60:61], vcc
	s_cbranch_execz .LBB18_528
; %bb.506:                              ;   in Loop: Header=BB18_81 Depth=1
	s_mov_b32 s72, 0
	s_mov_b64 s[62:63], 0
                                        ; implicit-def: $sgpr64_sgpr65
                                        ; implicit-def: $sgpr66_sgpr67
	s_branch .LBB18_508
.LBB18_507:                             ;   in Loop: Header=BB18_508 Depth=2
	s_or_b64 exec, exec, s[70:71]
	s_and_b64 vcc, exec, vcc
	s_or_b64 s[62:63], vcc, s[62:63]
	s_andn2_b64 vcc, s[64:65], exec
	s_and_b64 s[64:65], s[66:67], exec
	s_or_b64 s[64:65], vcc, s[64:65]
	s_andn2_b64 exec, exec, s[62:63]
	s_cbranch_execz .LBB18_526
.LBB18_508:                             ;   Parent Loop BB18_81 Depth=1
                                        ; =>  This Inner Loop Header: Depth=2
	s_add_i32 s72, s72, 1
	s_cmpk_lg_i32 s72, 0x2710
	s_cselect_b64 s[68:69], -1, 0
	s_and_b64 vcc, exec, s[68:69]
                                        ; implicit-def: $sgpr70_sgpr71
	s_cbranch_vccnz .LBB18_510
; %bb.509:                              ;   in Loop: Header=BB18_508 Depth=2
	s_trap 2
	ds_read_b64 v[2:3], v0
	s_andn2_b64 s[68:69], s[68:69], exec
	s_mov_b32 s72, 0
	s_mov_b64 s[70:71], -1
	s_waitcnt vmcnt(0) lgkmcnt(0)
	flat_load_dword v1, v[2:3] sc0 sc1
	s_waitcnt vmcnt(0) lgkmcnt(0)
	buffer_inv sc0 sc1
	v_cmp_eq_u32_e32 vcc, 0, v1
	s_and_b64 vcc, vcc, exec
	s_or_b64 s[68:69], s[68:69], vcc
.LBB18_510:                             ;   in Loop: Header=BB18_508 Depth=2
	s_andn2_b64 s[66:67], s[66:67], exec
	s_and_b64 s[70:71], s[70:71], exec
	s_mov_b64 vcc, -1
	s_or_b64 s[66:67], s[66:67], s[70:71]
	s_and_saveexec_b64 s[70:71], s[68:69]
	s_cbranch_execz .LBB18_507
; %bb.511:                              ;   in Loop: Header=BB18_508 Depth=2
	s_sleep 1
	s_trap 2
	ds_read_b64 v[2:3], v0
	s_andn2_b64 s[66:67], s[66:67], exec
	s_waitcnt lgkmcnt(0)
	v_cmp_ge_u64_e32 vcc, v[2:3], v[14:15]
	s_orn2_b64 vcc, vcc, exec
	s_branch .LBB18_507
.LBB18_512:                             ;   in Loop: Header=BB18_81 Depth=1
	s_or_b64 exec, exec, s[58:59]
	s_and_saveexec_b64 vcc, s[60:61]
	s_xor_b64 vcc, exec, vcc
	s_cbranch_execz .LBB18_514
; %bb.513:                              ;   in Loop: Header=BB18_81 Depth=1
	ds_write_b32 v0, v45
	s_trap 2
.LBB18_514:                             ;   in Loop: Header=BB18_81 Depth=1
	s_or_b64 exec, exec, s[56:57]
	;;#ASMSTART
	s_wakeup
	;;#ASMEND
.LBB18_515:                             ;   in Loop: Header=BB18_81 Depth=1
	s_or_b64 exec, exec, s[54:55]
.LBB18_516:                             ;   in Loop: Header=BB18_81 Depth=1
	s_andn2_saveexec_b64 vcc, s[30:31]
	s_cbranch_execz .LBB18_518
; %bb.517:                              ;   in Loop: Header=BB18_81 Depth=1
	;;#ASMSTART
	s_waitcnt lgkmcnt(0) vmcnt(0)
	;;#ASMEND
	s_barrier
.LBB18_518:                             ;   in Loop: Header=BB18_81 Depth=1
	s_or_b64 exec, exec, vcc
.LBB18_519:                             ;   in Loop: Header=BB18_81 Depth=1
	s_or_b64 exec, exec, s[26:27]
	v_cmp_ne_u32_e32 vcc, 0, v0
	s_mov_b64 s[26:27], 0
	s_mov_b64 s[30:31], 0
	s_and_saveexec_b64 s[54:55], vcc
	s_xor_b64 vcc, exec, s[54:55]
; %bb.520:                              ;   in Loop: Header=BB18_81 Depth=1
	s_and_b64 s[30:31], s[6:7], exec
	s_and_b64 s[26:27], s[10:11], exec
; %bb.521:                              ;   in Loop: Header=BB18_81 Depth=1
	s_or_b64 exec, exec, vcc
	s_and_b64 vcc, s[30:31], exec
	s_and_b64 s[26:27], s[26:27], exec
.LBB18_522:                             ;   in Loop: Header=BB18_81 Depth=1
	s_or_b64 exec, exec, s[28:29]
	v_accvgpr_mov_b32 a55, a27
	s_and_b64 s[28:29], vcc, exec
	s_and_b64 s[30:31], s[26:27], exec
	v_accvgpr_mov_b32 a54, a26
	s_andn2_saveexec_b64 s[52:53], s[52:53]
	s_cbranch_execnz .LBB18_89
.LBB18_523:                             ;   in Loop: Header=BB18_81 Depth=1
	s_or_b64 exec, exec, s[52:53]
	s_and_saveexec_b64 s[26:27], s[30:31]
	s_cbranch_execz .LBB18_537
.LBB18_524:                             ;   in Loop: Header=BB18_81 Depth=1
	v_accvgpr_read_b32 v0, a54
	v_accvgpr_read_b32 v1, a55
	s_or_b64 s[28:29], s[28:29], exec
	flat_store_dword v[0:1], v45 sc0 sc1
	s_or_b64 exec, exec, s[26:27]
	s_and_saveexec_b64 s[26:27], s[28:29]
	s_cbranch_execnz .LBB18_538
.LBB18_525:                             ;   in Loop: Header=BB18_81 Depth=1
	s_or_b64 exec, exec, s[26:27]
	s_andn2_b64 vcc, exec, s[48:49]
	s_cbranch_vccz .LBB18_539
	s_branch .LBB18_789
.LBB18_526:                             ;   in Loop: Header=BB18_81 Depth=1
	s_or_b64 exec, exec, s[62:63]
	s_and_saveexec_b64 vcc, s[64:65]
	s_xor_b64 vcc, exec, vcc
	s_cbranch_execz .LBB18_528
; %bb.527:                              ;   in Loop: Header=BB18_81 Depth=1
	ds_write_b32 v0, v45
	s_trap 2
.LBB18_528:                             ;   in Loop: Header=BB18_81 Depth=1
	s_or_b64 exec, exec, s[60:61]
	;;#ASMSTART
	s_wakeup
	;;#ASMEND
.LBB18_529:                             ;   in Loop: Header=BB18_81 Depth=1
	s_or_b64 exec, exec, s[58:59]
.LBB18_530:                             ;   in Loop: Header=BB18_81 Depth=1
	s_andn2_saveexec_b64 vcc, s[56:57]
	s_cbranch_execz .LBB18_532
; %bb.531:                              ;   in Loop: Header=BB18_81 Depth=1
	;;#ASMSTART
	s_waitcnt lgkmcnt(0) vmcnt(0)
	;;#ASMEND
	s_barrier
.LBB18_532:                             ;   in Loop: Header=BB18_81 Depth=1
	s_or_b64 exec, exec, vcc
.LBB18_533:                             ;   in Loop: Header=BB18_81 Depth=1
	s_or_b64 exec, exec, s[26:27]
	v_cmp_ne_u32_e32 vcc, 0, v0
	s_mov_b64 s[26:27], s[30:31]
	s_mov_b64 s[56:57], s[28:29]
	s_and_saveexec_b64 s[58:59], vcc
; %bb.534:                              ;   in Loop: Header=BB18_81 Depth=1
	s_andn2_b64 s[26:27], s[28:29], exec
	s_and_b64 vcc, s[6:7], exec
	s_or_b64 s[56:57], s[26:27], vcc
	s_andn2_b64 s[26:27], s[30:31], exec
	s_and_b64 vcc, s[10:11], exec
	s_or_b64 s[26:27], s[26:27], vcc
; %bb.535:                              ;   in Loop: Header=BB18_81 Depth=1
	s_or_b64 exec, exec, s[58:59]
	s_andn2_b64 vcc, s[28:29], exec
	s_and_b64 s[56:57], s[56:57], exec
	s_or_b64 vcc, vcc, s[56:57]
	s_andn2_b64 s[56:57], s[30:31], exec
	s_and_b64 s[26:27], s[26:27], exec
	s_or_b64 s[26:27], s[56:57], s[26:27]
.LBB18_536:                             ;   in Loop: Header=BB18_81 Depth=1
	s_or_b64 exec, exec, s[54:55]
	s_andn2_b64 s[28:29], s[28:29], exec
	s_and_b64 vcc, vcc, exec
	s_or_b64 s[28:29], s[28:29], vcc
	s_andn2_b64 vcc, s[30:31], exec
	s_and_b64 s[26:27], s[26:27], exec
	s_or_b64 s[30:31], vcc, s[26:27]
	s_or_b64 exec, exec, s[52:53]
	s_and_saveexec_b64 s[26:27], s[30:31]
	s_cbranch_execnz .LBB18_524
.LBB18_537:                             ;   in Loop: Header=BB18_81 Depth=1
	s_or_b64 exec, exec, s[26:27]
	s_and_saveexec_b64 s[26:27], s[28:29]
	s_cbranch_execz .LBB18_525
.LBB18_538:                             ;   in Loop: Header=BB18_81 Depth=1
	v_lshl_add_u64 v[38:39], v[38:39], 0, 4
	flat_store_dwordx2 v[26:27], v[38:39] sc0 sc1
	s_or_b64 exec, exec, s[26:27]
	s_andn2_b64 vcc, exec, s[48:49]
	s_cbranch_vccnz .LBB18_789
.LBB18_539:                             ;   in Loop: Header=BB18_81 Depth=1
	v_min_i32_e32 v0, v17, v31
	v_ashrrev_i32_e32 v1, 31, v0
	v_accvgpr_write_b32 a57, v1
	v_accvgpr_write_b32 a56, v0
	s_mov_b32 s68, 1
	v_mov_b32_e32 v1, 0
	v_mov_b32_e32 v0, v17
	s_and_saveexec_b64 s[52:53], s[24:25]
	s_cbranch_execnz .LBB18_613
.LBB18_540:                             ;   in Loop: Header=BB18_81 Depth=1
	s_or_b64 exec, exec, s[52:53]
	s_and_saveexec_b64 s[28:29], s[22:23]
	s_cbranch_execz .LBB18_788
.LBB18_541:                             ;   in Loop: Header=BB18_81 Depth=1
	v_and_b32_e32 v2, 12, v62
	v_cmp_ne_u32_e32 vcc, 0, v2
	s_mov_b64 s[30:31], -1
	s_and_saveexec_b64 s[26:27], vcc
	s_cbranch_execz .LBB18_553
; %bb.542:                              ;   in Loop: Header=BB18_81 Depth=1
	v_and_b32_e32 v48, 8, v62
	v_lshl_add_u64 v[4:5], v[36:37], 0, v[48:49]
	v_lshl_add_u64 v[2:3], v[38:39], 0, 4
	v_cmp_lt_u64_e32 vcc, v[4:5], v[2:3]
	v_mov_b32_e32 v4, 1
	s_and_saveexec_b64 s[30:31], vcc
	s_cbranch_execz .LBB18_552
; %bb.543:                              ;   in Loop: Header=BB18_81 Depth=1
	s_mov_b64 s[52:53], 0
	v_mov_b32_e32 v4, 0
                                        ; implicit-def: $sgpr54_sgpr55
	s_branch .LBB18_547
.LBB18_544:                             ;   in Loop: Header=BB18_547 Depth=2
	s_or_b64 exec, exec, s[62:63]
	v_mov_b32_e32 v5, 0
	s_orn2_b64 s[60:61], s[60:61], exec
.LBB18_545:                             ;   in Loop: Header=BB18_547 Depth=2
	s_or_b64 exec, exec, s[58:59]
	s_andn2_b64 vcc, s[54:55], exec
	s_and_b64 s[54:55], s[60:61], exec
	s_or_b64 s[54:55], vcc, s[54:55]
	v_mov_b32_e32 v4, v5
.LBB18_546:                             ;   in Loop: Header=BB18_547 Depth=2
	s_or_b64 exec, exec, s[56:57]
	s_waitcnt vmcnt(0) lgkmcnt(0)
	v_lshl_add_u64 v[6:7], v[36:37], 0, v[48:49]
	v_cmp_ge_u64_e32 vcc, v[6:7], v[2:3]
	s_xor_b64 s[56:57], s[54:55], -1
	s_or_b64 vcc, s[56:57], vcc
	s_and_b64 vcc, exec, vcc
	s_or_b64 s[52:53], vcc, s[52:53]
	s_andn2_b64 exec, exec, s[52:53]
	s_cbranch_execz .LBB18_551
.LBB18_547:                             ;   Parent Loop BB18_81 Depth=1
                                        ; =>  This Inner Loop Header: Depth=2
	s_sleep 1
	flat_load_dwordx2 v[36:37], v[26:27] sc0 sc1
	v_and_b32_e32 v5, 64, v62
	v_cmp_eq_u32_e32 vcc, 0, v5
	s_andn2_b64 s[54:55], s[54:55], exec
	s_and_saveexec_b64 s[56:57], vcc
	s_cbranch_execz .LBB18_546
; %bb.548:                              ;   in Loop: Header=BB18_547 Depth=2
	v_add_u32_e32 v5, 1, v4
	v_cmp_lt_i32_e32 vcc, s77, v4
	s_mov_b64 s[60:61], -1
	s_and_saveexec_b64 s[58:59], vcc
	s_cbranch_execz .LBB18_545
; %bb.549:                              ;   in Loop: Header=BB18_547 Depth=2
	s_trap 2
	ds_read_b64 v[4:5], v0
	s_waitcnt vmcnt(0) lgkmcnt(0)
	flat_load_dword v4, v[4:5] sc0 sc1
	s_waitcnt vmcnt(0) lgkmcnt(0)
	buffer_inv sc0 sc1
	v_cmp_ne_u32_e32 vcc, 0, v4
	s_and_saveexec_b64 s[62:63], vcc
	s_cbranch_execz .LBB18_544
; %bb.550:                              ;   in Loop: Header=BB18_547 Depth=2
	v_or_b32_e32 v62, 64, v62
	s_xor_b64 s[60:61], exec, -1
	ds_write_b32 v0, v4
	s_trap 2
	s_branch .LBB18_544
.LBB18_551:                             ;   in Loop: Header=BB18_81 Depth=1
	s_or_b64 exec, exec, s[52:53]
	v_and_b32_e32 v4, 12, v62
.LBB18_552:                             ;   in Loop: Header=BB18_81 Depth=1
	s_or_b64 exec, exec, s[30:31]
	v_cmp_eq_u32_e32 vcc, 0, v4
	s_orn2_b64 s[30:31], vcc, exec
	;;#ASMSTART
	s_wakeup
	;;#ASMEND
.LBB18_553:                             ;   in Loop: Header=BB18_81 Depth=1
	s_or_b64 exec, exec, s[26:27]
	v_sub_u32_e32 v1, v31, v1
	s_xor_b64 s[26:27], s[30:31], -1
	v_min_i32_e32 v2, v0, v1
	s_and_saveexec_b64 s[30:31], s[26:27]
	s_cbranch_execz .LBB18_577
; %bb.554:                              ;   in Loop: Header=BB18_81 Depth=1
	v_and_b32_e32 v0, 0x108, v62
	v_cmp_ne_u32_e32 vcc, s78, v0
	v_and_b32_e32 v4, 7, v38
	s_and_saveexec_b64 s[26:27], vcc
	s_xor_b64 s[26:27], exec, s[26:27]
	s_andn2_saveexec_b64 s[26:27], s[26:27]
	s_cbranch_execz .LBB18_556
; %bb.555:                              ;   in Loop: Header=BB18_81 Depth=1
	v_mad_u64_u32 v[0:1], vcc, v4, 24, v[40:41]
	v_ashrrev_i32_e32 v3, 31, v2
	flat_store_dwordx2 v[0:1], v[2:3] offset:8
.LBB18_556:                             ;   in Loop: Header=BB18_81 Depth=1
	s_or_b64 exec, exec, s[26:27]
	v_and_b32_e32 v0, 0x100, v62
	v_cmp_ne_u32_e32 vcc, 0, v0
	s_mov_b64 s[26:27], -1
                                        ; implicit-def: $vgpr8_vgpr9
	s_and_saveexec_b64 s[52:53], vcc
	s_cbranch_execz .LBB18_560
; %bb.557:                              ;   in Loop: Header=BB18_81 Depth=1
	v_mad_u64_u32 v[10:11], s[26:27], v4, 24, v[40:41]
	v_mov_b32_e32 v0, v11
	v_mad_u64_u32 v[0:1], s[26:27], v49, 24, v[0:1]
	v_mov_b32_e32 v11, v0
	flat_load_dword v0, v[10:11]
                                        ; implicit-def: $vgpr8_vgpr9
	s_waitcnt vmcnt(0) lgkmcnt(0)
	v_cmp_ne_u32_e32 vcc, 1, v0
	v_cmp_eq_u32_e64 s[26:27], 1, v0
	s_and_saveexec_b64 s[54:55], s[26:27]
	s_cbranch_execz .LBB18_559
; %bb.558:                              ;   in Loop: Header=BB18_81 Depth=1
	flat_load_dword v8, v[10:11] offset:4 sc0 sc1
	s_waitcnt vmcnt(0) lgkmcnt(0)
	v_ashrrev_i32_e32 v9, 31, v8
.LBB18_559:                             ;   in Loop: Header=BB18_81 Depth=1
	s_or_b64 exec, exec, s[54:55]
	s_orn2_b64 s[26:27], vcc, exec
.LBB18_560:                             ;   in Loop: Header=BB18_81 Depth=1
	s_or_b64 exec, exec, s[52:53]
	s_and_saveexec_b64 vcc, s[26:27]
; %bb.561:                              ;   in Loop: Header=BB18_81 Depth=1
	v_mul_lo_u32 v0, v49, v44
	v_mul_lo_u32 v1, v4, v43
	v_mad_u64_u32 v[8:9], s[26:27], v4, v44, 0
	v_add3_u32 v9, v9, v1, v0
; %bb.562:                              ;   in Loop: Header=BB18_81 Depth=1
	s_or_b64 exec, exec, vcc
	v_lshl_add_u64 v[0:1], v[58:59], 0, v[8:9]
	s_trap 2
	ds_write_b64 v0, v[0:1]
	v_and_b32_e32 v0, 0x2000, v62
	v_cmp_ne_u32_e32 vcc, 0, v0
	s_and_saveexec_b64 s[26:27], vcc
	s_cbranch_execz .LBB18_564
; %bb.563:                              ;   in Loop: Header=BB18_81 Depth=1
	ds_read_b64 v[0:1], v0 offset:584
	s_waitcnt lgkmcnt(0)
	v_lshl_add_u64 v[0:1], v[0:1], 0, 1
	ds_write_b64 v0, v[0:1] offset:584
.LBB18_564:                             ;   in Loop: Header=BB18_81 Depth=1
	s_or_b64 exec, exec, s[26:27]
	v_lshl_add_u64 v[38:39], v[38:39], 0, 4
	s_or_b64 exec, exec, s[30:31]
	s_and_saveexec_b64 s[26:27], s[4:5]
	s_cbranch_execnz .LBB18_578
.LBB18_565:                             ;   in Loop: Header=BB18_81 Depth=1
	s_or_b64 exec, exec, s[26:27]
                                        ; implicit-def: $vgpr0
	s_and_saveexec_b64 s[26:27], s[50:51]
	s_xor_b64 s[26:27], exec, s[26:27]
	s_cbranch_execz .LBB18_603
.LBB18_566:                             ;   in Loop: Header=BB18_81 Depth=1
	s_and_saveexec_b64 vcc, s[42:43]
	s_xor_b64 s[30:31], exec, vcc
	s_cbranch_execz .LBB18_593
; %bb.567:                              ;   in Loop: Header=BB18_81 Depth=1
	s_and_saveexec_b64 s[52:53], s[12:13]
	s_cbranch_execz .LBB18_592
; %bb.568:                              ;   in Loop: Header=BB18_81 Depth=1
	s_mov_b64 s[56:57], exec
	v_mbcnt_lo_u32_b32 v0, s56, 0
	v_mbcnt_hi_u32_b32 v0, s57, v0
	v_cmp_eq_u32_e32 vcc, 0, v0
	;;#ASMSTART
	s_waitcnt lgkmcnt(0) vmcnt(0)
	;;#ASMEND
	s_and_saveexec_b64 s[54:55], vcc
	s_cbranch_execz .LBB18_570
; %bb.569:                              ;   in Loop: Header=BB18_81 Depth=1
	s_bcnt1_i32_b64 vcc_lo, s[56:57]
	v_mov_b32_e32 v48, vcc_lo
	ds_add_u64 v0, v[48:49]
	s_trap 2
.LBB18_570:                             ;   in Loop: Header=BB18_81 Depth=1
	s_or_b64 exec, exec, s[54:55]
	s_trap 2
	ds_read_b64 v[0:1], v0
	v_lshl_add_u64 v[14:15], v[14:15], 0, v[50:51]
	s_waitcnt lgkmcnt(0)
	v_cmp_lt_u64_e32 vcc, v[0:1], v[14:15]
	s_and_saveexec_b64 s[54:55], vcc
	s_cbranch_execz .LBB18_591
; %bb.571:                              ;   in Loop: Header=BB18_81 Depth=1
	s_mov_b32 s66, 0
	s_mov_b64 s[56:57], 0
                                        ; implicit-def: $sgpr58_sgpr59
                                        ; implicit-def: $sgpr60_sgpr61
	s_branch .LBB18_573
.LBB18_572:                             ;   in Loop: Header=BB18_573 Depth=2
	s_or_b64 exec, exec, s[64:65]
	s_and_b64 vcc, exec, vcc
	s_or_b64 s[56:57], vcc, s[56:57]
	s_andn2_b64 vcc, s[58:59], exec
	s_and_b64 s[58:59], s[60:61], exec
	s_or_b64 s[58:59], vcc, s[58:59]
	s_andn2_b64 exec, exec, s[56:57]
	s_cbranch_execz .LBB18_589
.LBB18_573:                             ;   Parent Loop BB18_81 Depth=1
                                        ; =>  This Inner Loop Header: Depth=2
	s_add_i32 s66, s66, 1
	s_cmpk_lg_i32 s66, 0x2710
	s_cselect_b64 s[62:63], -1, 0
	s_and_b64 vcc, exec, s[62:63]
                                        ; implicit-def: $sgpr64_sgpr65
	s_cbranch_vccnz .LBB18_575
; %bb.574:                              ;   in Loop: Header=BB18_573 Depth=2
	s_trap 2
	ds_read_b64 v[0:1], v0
	s_andn2_b64 s[62:63], s[62:63], exec
	s_mov_b32 s66, 0
	s_mov_b64 s[64:65], -1
	s_waitcnt vmcnt(0) lgkmcnt(0)
	flat_load_dword v0, v[0:1] sc0 sc1
	s_waitcnt vmcnt(0) lgkmcnt(0)
	buffer_inv sc0 sc1
	v_cmp_eq_u32_e32 vcc, 0, v0
	s_and_b64 vcc, vcc, exec
	s_or_b64 s[62:63], s[62:63], vcc
.LBB18_575:                             ;   in Loop: Header=BB18_573 Depth=2
	s_andn2_b64 s[60:61], s[60:61], exec
	s_and_b64 s[64:65], s[64:65], exec
	s_mov_b64 vcc, -1
	s_or_b64 s[60:61], s[60:61], s[64:65]
	s_and_saveexec_b64 s[64:65], s[62:63]
	s_cbranch_execz .LBB18_572
; %bb.576:                              ;   in Loop: Header=BB18_573 Depth=2
	s_sleep 1
	s_trap 2
	ds_read_b64 v[0:1], v0
	s_andn2_b64 s[60:61], s[60:61], exec
	s_waitcnt lgkmcnt(0)
	v_cmp_ge_u64_e32 vcc, v[0:1], v[14:15]
	s_orn2_b64 vcc, vcc, exec
	s_branch .LBB18_572
.LBB18_577:                             ;   in Loop: Header=BB18_81 Depth=1
	s_or_b64 exec, exec, s[30:31]
	s_and_saveexec_b64 s[26:27], s[4:5]
	s_cbranch_execz .LBB18_565
.LBB18_578:                             ;   in Loop: Header=BB18_81 Depth=1
	s_and_saveexec_b64 vcc, s[42:43]
	s_xor_b64 s[30:31], exec, vcc
	s_cbranch_execz .LBB18_600
; %bb.579:                              ;   in Loop: Header=BB18_81 Depth=1
	s_and_saveexec_b64 s[52:53], s[12:13]
	s_cbranch_execz .LBB18_599
; %bb.580:                              ;   in Loop: Header=BB18_81 Depth=1
	s_mov_b64 s[56:57], exec
	v_mbcnt_lo_u32_b32 v0, s56, 0
	v_mbcnt_hi_u32_b32 v0, s57, v0
	v_cmp_eq_u32_e32 vcc, 0, v0
	s_waitcnt lgkmcnt(0)
	s_and_saveexec_b64 s[54:55], vcc
	s_cbranch_execz .LBB18_582
; %bb.581:                              ;   in Loop: Header=BB18_81 Depth=1
	s_bcnt1_i32_b64 vcc_lo, s[56:57]
	v_mov_b32_e32 v48, vcc_lo
	ds_add_u64 v0, v[48:49]
	s_trap 2
.LBB18_582:                             ;   in Loop: Header=BB18_81 Depth=1
	s_or_b64 exec, exec, s[54:55]
	s_trap 2
	ds_read_b64 v[0:1], v0
	v_lshl_add_u64 v[14:15], v[14:15], 0, v[50:51]
	s_waitcnt lgkmcnt(0)
	v_cmp_lt_u64_e32 vcc, v[0:1], v[14:15]
	s_and_saveexec_b64 s[54:55], vcc
	s_cbranch_execz .LBB18_598
; %bb.583:                              ;   in Loop: Header=BB18_81 Depth=1
	s_mov_b32 s66, 0
	s_mov_b64 s[56:57], 0
                                        ; implicit-def: $sgpr58_sgpr59
                                        ; implicit-def: $sgpr60_sgpr61
	s_branch .LBB18_585
.LBB18_584:                             ;   in Loop: Header=BB18_585 Depth=2
	s_or_b64 exec, exec, s[64:65]
	s_and_b64 vcc, exec, vcc
	s_or_b64 s[56:57], vcc, s[56:57]
	s_andn2_b64 vcc, s[58:59], exec
	s_and_b64 s[58:59], s[60:61], exec
	s_or_b64 s[58:59], vcc, s[58:59]
	s_andn2_b64 exec, exec, s[56:57]
	s_cbranch_execz .LBB18_596
.LBB18_585:                             ;   Parent Loop BB18_81 Depth=1
                                        ; =>  This Inner Loop Header: Depth=2
	s_add_i32 s66, s66, 1
	s_cmpk_lg_i32 s66, 0x2710
	s_cselect_b64 s[62:63], -1, 0
	s_and_b64 vcc, exec, s[62:63]
                                        ; implicit-def: $sgpr64_sgpr65
	s_cbranch_vccnz .LBB18_587
; %bb.586:                              ;   in Loop: Header=BB18_585 Depth=2
	s_trap 2
	ds_read_b64 v[0:1], v0
	s_andn2_b64 s[62:63], s[62:63], exec
	s_mov_b32 s66, 0
	s_mov_b64 s[64:65], -1
	s_waitcnt vmcnt(0) lgkmcnt(0)
	flat_load_dword v0, v[0:1] sc0 sc1
	s_waitcnt vmcnt(0) lgkmcnt(0)
	buffer_inv sc0 sc1
	v_cmp_eq_u32_e32 vcc, 0, v0
	s_and_b64 vcc, vcc, exec
	s_or_b64 s[62:63], s[62:63], vcc
.LBB18_587:                             ;   in Loop: Header=BB18_585 Depth=2
	s_andn2_b64 s[60:61], s[60:61], exec
	s_and_b64 s[64:65], s[64:65], exec
	s_mov_b64 vcc, -1
	s_or_b64 s[60:61], s[60:61], s[64:65]
	s_and_saveexec_b64 s[64:65], s[62:63]
	s_cbranch_execz .LBB18_584
; %bb.588:                              ;   in Loop: Header=BB18_585 Depth=2
	s_sleep 1
	s_trap 2
	ds_read_b64 v[0:1], v0
	s_andn2_b64 s[60:61], s[60:61], exec
	s_waitcnt lgkmcnt(0)
	v_cmp_ge_u64_e32 vcc, v[0:1], v[14:15]
	s_orn2_b64 vcc, vcc, exec
	s_branch .LBB18_584
.LBB18_589:                             ;   in Loop: Header=BB18_81 Depth=1
	s_or_b64 exec, exec, s[56:57]
	s_and_saveexec_b64 vcc, s[58:59]
	s_xor_b64 vcc, exec, vcc
	s_cbranch_execz .LBB18_591
; %bb.590:                              ;   in Loop: Header=BB18_81 Depth=1
	ds_write_b32 v0, v45
	s_trap 2
.LBB18_591:                             ;   in Loop: Header=BB18_81 Depth=1
	s_or_b64 exec, exec, s[54:55]
	;;#ASMSTART
	s_wakeup
	;;#ASMEND
.LBB18_592:                             ;   in Loop: Header=BB18_81 Depth=1
	s_or_b64 exec, exec, s[52:53]
.LBB18_593:                             ;   in Loop: Header=BB18_81 Depth=1
	s_andn2_saveexec_b64 vcc, s[30:31]
	s_cbranch_execz .LBB18_595
; %bb.594:                              ;   in Loop: Header=BB18_81 Depth=1
	;;#ASMSTART
	s_waitcnt lgkmcnt(0) vmcnt(0)
	;;#ASMEND
	s_barrier
.LBB18_595:                             ;   in Loop: Header=BB18_81 Depth=1
	s_or_b64 exec, exec, vcc
	v_and_b32_e32 v0, 16, v62
                                        ; implicit-def: $vgpr2
	s_andn2_saveexec_b64 s[26:27], s[26:27]
	s_cbranch_execz .LBB18_607
	s_branch .LBB18_604
.LBB18_596:                             ;   in Loop: Header=BB18_81 Depth=1
	s_or_b64 exec, exec, s[56:57]
	s_and_saveexec_b64 vcc, s[58:59]
	s_xor_b64 vcc, exec, vcc
	s_cbranch_execz .LBB18_598
; %bb.597:                              ;   in Loop: Header=BB18_81 Depth=1
	ds_write_b32 v0, v45
	s_trap 2
.LBB18_598:                             ;   in Loop: Header=BB18_81 Depth=1
	s_or_b64 exec, exec, s[54:55]
	;;#ASMSTART
	s_wakeup
	;;#ASMEND
.LBB18_599:                             ;   in Loop: Header=BB18_81 Depth=1
	s_or_b64 exec, exec, s[52:53]
.LBB18_600:                             ;   in Loop: Header=BB18_81 Depth=1
	s_andn2_saveexec_b64 vcc, s[30:31]
	s_cbranch_execz .LBB18_602
; %bb.601:                              ;   in Loop: Header=BB18_81 Depth=1
	s_waitcnt lgkmcnt(0)
	s_barrier
.LBB18_602:                             ;   in Loop: Header=BB18_81 Depth=1
	s_or_b64 exec, exec, vcc
	s_or_b64 exec, exec, s[26:27]
                                        ; implicit-def: $vgpr0
	s_and_saveexec_b64 s[26:27], s[50:51]
	s_xor_b64 s[26:27], exec, s[26:27]
	s_cbranch_execnz .LBB18_566
.LBB18_603:                             ;   in Loop: Header=BB18_81 Depth=1
	s_andn2_saveexec_b64 s[26:27], s[26:27]
	s_cbranch_execz .LBB18_607
.LBB18_604:                             ;   in Loop: Header=BB18_81 Depth=1
	s_trap 2
	ds_read_b32 v1, v0
	v_cmp_lt_i32_e32 vcc, 0, v2
	v_and_b32_e32 v2, 16, v62
	v_and_b32_e32 v0, 16, v62
	s_waitcnt lgkmcnt(0)
	v_readfirstlane_b32 s30, v1
	s_cmp_eq_u32 s30, 0
	s_cselect_b64 s[30:31], -1, 0
	s_and_b64 s[30:31], vcc, s[30:31]
	v_cmp_ne_u32_e32 vcc, 0, v2
	s_and_b64 s[30:31], vcc, s[30:31]
	s_and_saveexec_b64 vcc, s[30:31]
	s_cbranch_execz .LBB18_606
; %bb.605:                              ;   in Loop: Header=BB18_81 Depth=1
	v_mov_b32_e32 v0, 1
	buffer_wbl2 sc1
	s_waitcnt vmcnt(0)
	buffer_inv sc1
.LBB18_606:                             ;   in Loop: Header=BB18_81 Depth=1
	s_or_b64 exec, exec, vcc
.LBB18_607:                             ;   in Loop: Header=BB18_81 Depth=1
	s_or_b64 exec, exec, s[26:27]
	v_cmp_ne_u32_e32 vcc, 0, v0
	s_xor_b64 s[26:27], s[6:7], -1
	s_and_b64 vcc, vcc, s[26:27]
	s_and_saveexec_b64 s[26:27], vcc
	s_cbranch_execz .LBB18_609
; %bb.608:                              ;   in Loop: Header=BB18_81 Depth=1
	v_accvgpr_read_b32 v0, a54
	v_accvgpr_read_b32 v1, a55
	flat_store_dword v[0:1], v45 sc0 sc1
.LBB18_609:                             ;   in Loop: Header=BB18_81 Depth=1
	s_or_b64 exec, exec, s[26:27]
	v_and_b32_e32 v0, 48, v62
	v_cmp_ne_u32_e32 vcc, 0, v0
	s_and_saveexec_b64 s[26:27], vcc
	s_cbranch_execz .LBB18_611
; %bb.610:                              ;   in Loop: Header=BB18_81 Depth=1
	v_lshl_add_u64 v[38:39], v[38:39], 0, 4
	flat_store_dwordx2 v[26:27], v[38:39] sc0 sc1
.LBB18_611:                             ;   in Loop: Header=BB18_81 Depth=1
	s_or_b64 exec, exec, s[26:27]
	s_or_b64 exec, exec, s[28:29]
	s_add_i32 s26, s68, 1
	s_cmp_eq_u32 s68, s80
	s_cbranch_scc1 .LBB18_789
.LBB18_612:                             ;   in Loop: Header=BB18_81 Depth=1
	s_mov_b32 s68, s26
	v_mov_b32_e32 v1, 0
	v_mov_b32_e32 v0, v17
	s_and_saveexec_b64 s[52:53], s[24:25]
	s_cbranch_execz .LBB18_540
.LBB18_613:                             ;   in Loop: Header=BB18_81 Depth=1
	s_and_saveexec_b64 s[26:27], s[0:1]
	s_cbranch_execz .LBB18_615
; %bb.614:                              ;   in Loop: Header=BB18_81 Depth=1
	s_sub_i32 s28, s74, s68
	s_ashr_i32 s29, s28, 31
	s_lshl_b64 s[28:29], s[28:29], 2
	v_lshl_add_u64 v[0:1], v[52:53], 0, s[28:29]
	flat_load_dword v4, v[0:1]
	s_trap 2
	ds_read_b128 v[0:3], v0
	v_accvgpr_read_b32 v8, a52
	v_accvgpr_read_b32 v9, a53
	s_waitcnt lgkmcnt(0)
	v_cmp_ne_u64_e32 vcc, 0, v[2:3]
	s_waitcnt vmcnt(0)
	v_ashrrev_i32_e32 v6, 31, v4
	v_mul_lo_u32 v7, v33, v4
	v_mad_u64_u32 v[4:5], s[28:29], v32, v4, v[8:9]
	v_mul_lo_u32 v6, v32, v6
	v_add3_u32 v5, v7, v5, v6
	v_lshl_add_u64 v[0:1], v[0:1], 0, v[4:5]
	v_lshl_add_u64 v[4:5], v[2:3], 0, v[4:5]
	ds_write_b64 v0, v[0:1]
	v_cndmask_b32_e32 v1, 0, v5, vcc
	v_cndmask_b32_e32 v0, 0, v4, vcc
	ds_write_b64 v0, v[0:1]
.LBB18_615:                             ;   in Loop: Header=BB18_81 Depth=1
	s_or_b64 exec, exec, s[26:27]
	v_and_b32_e32 v0, 12, v62
	v_cmp_ne_u32_e32 vcc, 0, v0
	s_mov_b64 s[28:29], -1
	s_and_saveexec_b64 s[26:27], vcc
	s_cbranch_execz .LBB18_625
; %bb.616:                              ;   in Loop: Header=BB18_81 Depth=1
	v_and_b32_e32 v48, 8, v62
	v_lshl_add_u64 v[0:1], v[36:37], 0, v[48:49]
	v_lshl_add_u64 v[2:3], v[38:39], 0, 4
	v_cmp_lt_u64_e32 vcc, v[0:1], v[2:3]
	v_mov_b32_e32 v0, 1
	s_and_saveexec_b64 s[28:29], vcc
	s_cbranch_execz .LBB18_638
; %bb.617:                              ;   in Loop: Header=BB18_81 Depth=1
	s_mov_b64 s[30:31], 0
	v_mov_b32_e32 v0, 0
                                        ; implicit-def: $sgpr54_sgpr55
	s_branch .LBB18_621
.LBB18_618:                             ;   in Loop: Header=BB18_621 Depth=2
	s_or_b64 exec, exec, s[62:63]
	v_mov_b32_e32 v1, 0
	s_orn2_b64 s[60:61], s[60:61], exec
.LBB18_619:                             ;   in Loop: Header=BB18_621 Depth=2
	s_or_b64 exec, exec, s[58:59]
	s_andn2_b64 vcc, s[54:55], exec
	s_and_b64 s[54:55], s[60:61], exec
	s_or_b64 s[54:55], vcc, s[54:55]
	v_mov_b32_e32 v0, v1
.LBB18_620:                             ;   in Loop: Header=BB18_621 Depth=2
	s_or_b64 exec, exec, s[56:57]
	s_waitcnt vmcnt(0) lgkmcnt(0)
	v_lshl_add_u64 v[4:5], v[36:37], 0, v[48:49]
	v_cmp_ge_u64_e32 vcc, v[4:5], v[2:3]
	s_xor_b64 s[56:57], s[54:55], -1
	s_or_b64 vcc, s[56:57], vcc
	s_and_b64 vcc, exec, vcc
	s_or_b64 s[30:31], vcc, s[30:31]
	s_andn2_b64 exec, exec, s[30:31]
	s_cbranch_execz .LBB18_637
.LBB18_621:                             ;   Parent Loop BB18_81 Depth=1
                                        ; =>  This Inner Loop Header: Depth=2
	s_sleep 1
	flat_load_dwordx2 v[36:37], v[26:27] sc0 sc1
	v_and_b32_e32 v1, 64, v62
	v_cmp_eq_u32_e32 vcc, 0, v1
	s_andn2_b64 s[54:55], s[54:55], exec
	s_and_saveexec_b64 s[56:57], vcc
	s_cbranch_execz .LBB18_620
; %bb.622:                              ;   in Loop: Header=BB18_621 Depth=2
	v_add_u32_e32 v1, 1, v0
	v_cmp_lt_i32_e32 vcc, s77, v0
	s_mov_b64 s[60:61], -1
	s_and_saveexec_b64 s[58:59], vcc
	s_cbranch_execz .LBB18_619
; %bb.623:                              ;   in Loop: Header=BB18_621 Depth=2
	s_trap 2
	ds_read_b64 v[0:1], v0
	s_waitcnt vmcnt(0) lgkmcnt(0)
	flat_load_dword v0, v[0:1] sc0 sc1
	s_waitcnt vmcnt(0) lgkmcnt(0)
	buffer_inv sc0 sc1
	v_cmp_ne_u32_e32 vcc, 0, v0
	s_and_saveexec_b64 s[62:63], vcc
	s_cbranch_execz .LBB18_618
; %bb.624:                              ;   in Loop: Header=BB18_621 Depth=2
	v_or_b32_e32 v62, 64, v62
	s_xor_b64 s[60:61], exec, -1
	ds_write_b32 v0, v0
	s_trap 2
	s_branch .LBB18_618
.LBB18_625:                             ;   in Loop: Header=BB18_81 Depth=1
	s_or_b64 exec, exec, s[26:27]
	s_xor_b64 s[26:27], s[28:29], -1
	s_and_saveexec_b64 s[28:29], s[26:27]
	s_cbranch_execz .LBB18_639
.LBB18_626:                             ;   in Loop: Header=BB18_81 Depth=1
	v_and_b32_e32 v0, 0x108, v62
	v_cmp_ne_u32_e32 vcc, s78, v0
	v_and_b32_e32 v2, 7, v38
	s_and_saveexec_b64 s[26:27], vcc
	s_xor_b64 s[26:27], exec, s[26:27]
	s_andn2_saveexec_b64 s[26:27], s[26:27]
	s_cbranch_execz .LBB18_628
; %bb.627:                              ;   in Loop: Header=BB18_81 Depth=1
	v_mad_u64_u32 v[0:1], vcc, v2, 24, v[40:41]
	flat_store_dwordx2 v[0:1], a[56:57] offset:8
.LBB18_628:                             ;   in Loop: Header=BB18_81 Depth=1
	s_or_b64 exec, exec, s[26:27]
	v_and_b32_e32 v0, 0x100, v62
	v_cmp_ne_u32_e32 vcc, 0, v0
	s_mov_b64 s[26:27], -1
                                        ; implicit-def: $vgpr4_vgpr5
	s_and_saveexec_b64 s[30:31], vcc
	s_cbranch_execz .LBB18_632
; %bb.629:                              ;   in Loop: Header=BB18_81 Depth=1
	v_mad_u64_u32 v[8:9], s[26:27], v2, 24, v[40:41]
	v_mov_b32_e32 v0, v9
	v_mad_u64_u32 v[0:1], s[26:27], v49, 24, v[0:1]
	v_mov_b32_e32 v9, v0
	flat_load_dword v0, v[8:9]
                                        ; implicit-def: $vgpr4_vgpr5
	s_waitcnt vmcnt(0) lgkmcnt(0)
	v_cmp_ne_u32_e32 vcc, 1, v0
	v_cmp_eq_u32_e64 s[26:27], 1, v0
	s_and_saveexec_b64 s[54:55], s[26:27]
	s_cbranch_execz .LBB18_631
; %bb.630:                              ;   in Loop: Header=BB18_81 Depth=1
	flat_load_dword v4, v[8:9] offset:4 sc0 sc1
	s_waitcnt vmcnt(0) lgkmcnt(0)
	v_ashrrev_i32_e32 v5, 31, v4
.LBB18_631:                             ;   in Loop: Header=BB18_81 Depth=1
	s_or_b64 exec, exec, s[54:55]
	s_orn2_b64 s[26:27], vcc, exec
.LBB18_632:                             ;   in Loop: Header=BB18_81 Depth=1
	s_or_b64 exec, exec, s[30:31]
	s_and_saveexec_b64 vcc, s[26:27]
; %bb.633:                              ;   in Loop: Header=BB18_81 Depth=1
	v_mul_lo_u32 v0, v49, v44
	v_mul_lo_u32 v1, v2, v43
	v_mad_u64_u32 v[4:5], s[26:27], v2, v44, 0
	v_add3_u32 v5, v5, v1, v0
; %bb.634:                              ;   in Loop: Header=BB18_81 Depth=1
	s_or_b64 exec, exec, vcc
	v_lshl_add_u64 v[0:1], v[58:59], 0, v[4:5]
	s_trap 2
	ds_write_b64 v0, v[0:1]
	v_and_b32_e32 v0, 0x2000, v62
	v_cmp_ne_u32_e32 vcc, 0, v0
	s_and_saveexec_b64 s[26:27], vcc
	s_cbranch_execz .LBB18_636
; %bb.635:                              ;   in Loop: Header=BB18_81 Depth=1
	ds_read_b64 v[0:1], v0 offset:584
	s_waitcnt lgkmcnt(0)
	v_lshl_add_u64 v[0:1], v[0:1], 0, 1
	ds_write_b64 v0, v[0:1] offset:584
.LBB18_636:                             ;   in Loop: Header=BB18_81 Depth=1
	s_or_b64 exec, exec, s[26:27]
	v_lshl_add_u64 v[38:39], v[38:39], 0, 4
	s_or_b64 exec, exec, s[28:29]
	s_and_saveexec_b64 s[26:27], s[4:5]
	s_cbranch_execz .LBB18_658
	s_branch .LBB18_640
.LBB18_637:                             ;   in Loop: Header=BB18_81 Depth=1
	s_or_b64 exec, exec, s[30:31]
	v_and_b32_e32 v0, 12, v62
.LBB18_638:                             ;   in Loop: Header=BB18_81 Depth=1
	s_or_b64 exec, exec, s[28:29]
	v_cmp_eq_u32_e32 vcc, 0, v0
	s_orn2_b64 s[28:29], vcc, exec
	;;#ASMSTART
	s_wakeup
	;;#ASMEND
	s_or_b64 exec, exec, s[26:27]
	s_xor_b64 s[26:27], s[28:29], -1
	s_and_saveexec_b64 s[28:29], s[26:27]
	s_cbranch_execnz .LBB18_626
.LBB18_639:                             ;   in Loop: Header=BB18_81 Depth=1
	s_or_b64 exec, exec, s[28:29]
	s_and_saveexec_b64 s[26:27], s[4:5]
	s_cbranch_execz .LBB18_658
.LBB18_640:                             ;   in Loop: Header=BB18_81 Depth=1
	s_and_saveexec_b64 s[28:29], s[42:43]
	s_xor_b64 s[28:29], exec, s[28:29]
	s_cbranch_execz .LBB18_655
; %bb.641:                              ;   in Loop: Header=BB18_81 Depth=1
	s_and_saveexec_b64 s[30:31], s[12:13]
	s_cbranch_execz .LBB18_654
; %bb.642:                              ;   in Loop: Header=BB18_81 Depth=1
	s_mov_b64 s[56:57], exec
	v_mbcnt_lo_u32_b32 v0, s56, 0
	v_mbcnt_hi_u32_b32 v0, s57, v0
	v_cmp_eq_u32_e32 vcc, 0, v0
	s_waitcnt lgkmcnt(0)
	s_and_saveexec_b64 s[54:55], vcc
	s_cbranch_execz .LBB18_644
; %bb.643:                              ;   in Loop: Header=BB18_81 Depth=1
	s_bcnt1_i32_b64 vcc_lo, s[56:57]
	v_mov_b32_e32 v48, vcc_lo
	ds_add_u64 v0, v[48:49]
	s_trap 2
.LBB18_644:                             ;   in Loop: Header=BB18_81 Depth=1
	s_or_b64 exec, exec, s[54:55]
	s_trap 2
	ds_read_b64 v[0:1], v0
	v_lshl_add_u64 v[14:15], v[14:15], 0, v[50:51]
	s_waitcnt lgkmcnt(0)
	v_cmp_lt_u64_e32 vcc, v[0:1], v[14:15]
	s_and_saveexec_b64 s[54:55], vcc
	s_cbranch_execz .LBB18_653
; %bb.645:                              ;   in Loop: Header=BB18_81 Depth=1
	s_mov_b32 s66, 0
	s_mov_b64 s[56:57], 0
                                        ; implicit-def: $sgpr58_sgpr59
                                        ; implicit-def: $sgpr60_sgpr61
	s_branch .LBB18_647
.LBB18_646:                             ;   in Loop: Header=BB18_647 Depth=2
	s_or_b64 exec, exec, s[64:65]
	s_and_b64 vcc, exec, vcc
	s_or_b64 s[56:57], vcc, s[56:57]
	s_andn2_b64 vcc, s[58:59], exec
	s_and_b64 s[58:59], s[60:61], exec
	s_or_b64 s[58:59], vcc, s[58:59]
	s_andn2_b64 exec, exec, s[56:57]
	s_cbranch_execz .LBB18_651
.LBB18_647:                             ;   Parent Loop BB18_81 Depth=1
                                        ; =>  This Inner Loop Header: Depth=2
	s_add_i32 s66, s66, 1
	s_cmpk_lg_i32 s66, 0x2710
	s_cselect_b64 s[62:63], -1, 0
	s_and_b64 vcc, exec, s[62:63]
                                        ; implicit-def: $sgpr64_sgpr65
	s_cbranch_vccnz .LBB18_649
; %bb.648:                              ;   in Loop: Header=BB18_647 Depth=2
	s_trap 2
	ds_read_b64 v[0:1], v0
	s_andn2_b64 s[62:63], s[62:63], exec
	s_mov_b32 s66, 0
	s_mov_b64 s[64:65], -1
	s_waitcnt vmcnt(0) lgkmcnt(0)
	flat_load_dword v0, v[0:1] sc0 sc1
	s_waitcnt vmcnt(0) lgkmcnt(0)
	buffer_inv sc0 sc1
	v_cmp_eq_u32_e32 vcc, 0, v0
	s_and_b64 vcc, vcc, exec
	s_or_b64 s[62:63], s[62:63], vcc
.LBB18_649:                             ;   in Loop: Header=BB18_647 Depth=2
	s_andn2_b64 s[60:61], s[60:61], exec
	s_and_b64 s[64:65], s[64:65], exec
	s_mov_b64 vcc, -1
	s_or_b64 s[60:61], s[60:61], s[64:65]
	s_and_saveexec_b64 s[64:65], s[62:63]
	s_cbranch_execz .LBB18_646
; %bb.650:                              ;   in Loop: Header=BB18_647 Depth=2
	s_sleep 1
	s_trap 2
	ds_read_b64 v[0:1], v0
	s_andn2_b64 s[60:61], s[60:61], exec
	s_waitcnt lgkmcnt(0)
	v_cmp_ge_u64_e32 vcc, v[0:1], v[14:15]
	s_orn2_b64 vcc, vcc, exec
	s_branch .LBB18_646
.LBB18_651:                             ;   in Loop: Header=BB18_81 Depth=1
	s_or_b64 exec, exec, s[56:57]
	s_and_saveexec_b64 vcc, s[58:59]
	s_xor_b64 vcc, exec, vcc
	s_cbranch_execz .LBB18_653
; %bb.652:                              ;   in Loop: Header=BB18_81 Depth=1
	ds_write_b32 v0, v45
	s_trap 2
.LBB18_653:                             ;   in Loop: Header=BB18_81 Depth=1
	s_or_b64 exec, exec, s[54:55]
	;;#ASMSTART
	s_wakeup
	;;#ASMEND
.LBB18_654:                             ;   in Loop: Header=BB18_81 Depth=1
	s_or_b64 exec, exec, s[30:31]
.LBB18_655:                             ;   in Loop: Header=BB18_81 Depth=1
	s_andn2_saveexec_b64 s[28:29], s[28:29]
	s_cbranch_execz .LBB18_657
; %bb.656:                              ;   in Loop: Header=BB18_81 Depth=1
	s_waitcnt lgkmcnt(0)
	s_barrier
.LBB18_657:                             ;   in Loop: Header=BB18_81 Depth=1
	s_or_b64 exec, exec, s[28:29]
.LBB18_658:                             ;   in Loop: Header=BB18_81 Depth=1
	s_or_b64 exec, exec, s[26:27]
	s_trap 2
	ds_read_b32 v0, v0
	v_and_b32_e32 v1, 0x4000, v62
	v_cmp_ne_u32_e32 vcc, 0, v1
	s_xor_b64 s[26:27], s[2:3], -1
	s_and_b64 s[28:29], s[26:27], vcc
	s_and_saveexec_b64 s[26:27], s[28:29]
	s_cbranch_execz .LBB18_677
; %bb.659:                              ;   in Loop: Header=BB18_81 Depth=1
	s_and_saveexec_b64 s[28:29], s[42:43]
	s_xor_b64 s[28:29], exec, s[28:29]
	s_cbranch_execz .LBB18_674
; %bb.660:                              ;   in Loop: Header=BB18_81 Depth=1
	s_and_saveexec_b64 s[30:31], s[12:13]
	s_cbranch_execz .LBB18_673
; %bb.661:                              ;   in Loop: Header=BB18_81 Depth=1
	s_mov_b64 s[56:57], exec
	v_mbcnt_lo_u32_b32 v1, s56, 0
	v_mbcnt_hi_u32_b32 v1, s57, v1
	v_cmp_eq_u32_e32 vcc, 0, v1
	s_waitcnt lgkmcnt(0)
	s_and_saveexec_b64 s[54:55], vcc
	s_cbranch_execz .LBB18_663
; %bb.662:                              ;   in Loop: Header=BB18_81 Depth=1
	s_bcnt1_i32_b64 vcc_lo, s[56:57]
	v_mov_b32_e32 v48, vcc_lo
	ds_add_u64 v0, v[48:49]
	s_trap 2
.LBB18_663:                             ;   in Loop: Header=BB18_81 Depth=1
	s_or_b64 exec, exec, s[54:55]
	s_trap 2
	ds_read_b64 v[2:3], v0
	v_lshl_add_u64 v[14:15], v[14:15], 0, v[50:51]
	s_waitcnt lgkmcnt(0)
	v_cmp_lt_u64_e32 vcc, v[2:3], v[14:15]
	s_and_saveexec_b64 s[54:55], vcc
	s_cbranch_execz .LBB18_672
; %bb.664:                              ;   in Loop: Header=BB18_81 Depth=1
	s_mov_b32 s66, 0
	s_mov_b64 s[56:57], 0
                                        ; implicit-def: $sgpr58_sgpr59
                                        ; implicit-def: $sgpr60_sgpr61
	s_branch .LBB18_666
.LBB18_665:                             ;   in Loop: Header=BB18_666 Depth=2
	s_or_b64 exec, exec, s[64:65]
	s_and_b64 vcc, exec, vcc
	s_or_b64 s[56:57], vcc, s[56:57]
	s_andn2_b64 vcc, s[58:59], exec
	s_and_b64 s[58:59], s[60:61], exec
	s_or_b64 s[58:59], vcc, s[58:59]
	s_andn2_b64 exec, exec, s[56:57]
	s_cbranch_execz .LBB18_670
.LBB18_666:                             ;   Parent Loop BB18_81 Depth=1
                                        ; =>  This Inner Loop Header: Depth=2
	s_add_i32 s66, s66, 1
	s_cmpk_lg_i32 s66, 0x2710
	s_cselect_b64 s[62:63], -1, 0
	s_and_b64 vcc, exec, s[62:63]
                                        ; implicit-def: $sgpr64_sgpr65
	s_cbranch_vccnz .LBB18_668
; %bb.667:                              ;   in Loop: Header=BB18_666 Depth=2
	s_trap 2
	ds_read_b64 v[2:3], v0
	s_andn2_b64 s[62:63], s[62:63], exec
	s_mov_b32 s66, 0
	s_mov_b64 s[64:65], -1
	s_waitcnt vmcnt(0) lgkmcnt(0)
	flat_load_dword v1, v[2:3] sc0 sc1
	s_waitcnt vmcnt(0) lgkmcnt(0)
	buffer_inv sc0 sc1
	v_cmp_eq_u32_e32 vcc, 0, v1
	s_and_b64 vcc, vcc, exec
	s_or_b64 s[62:63], s[62:63], vcc
.LBB18_668:                             ;   in Loop: Header=BB18_666 Depth=2
	s_andn2_b64 s[60:61], s[60:61], exec
	s_and_b64 s[64:65], s[64:65], exec
	s_mov_b64 vcc, -1
	s_or_b64 s[60:61], s[60:61], s[64:65]
	s_and_saveexec_b64 s[64:65], s[62:63]
	s_cbranch_execz .LBB18_665
; %bb.669:                              ;   in Loop: Header=BB18_666 Depth=2
	s_sleep 1
	s_trap 2
	ds_read_b64 v[2:3], v0
	s_andn2_b64 s[60:61], s[60:61], exec
	s_waitcnt lgkmcnt(0)
	v_cmp_ge_u64_e32 vcc, v[2:3], v[14:15]
	s_orn2_b64 vcc, vcc, exec
	s_branch .LBB18_665
.LBB18_670:                             ;   in Loop: Header=BB18_81 Depth=1
	s_or_b64 exec, exec, s[56:57]
	s_and_saveexec_b64 vcc, s[58:59]
	s_xor_b64 vcc, exec, vcc
	s_cbranch_execz .LBB18_672
; %bb.671:                              ;   in Loop: Header=BB18_81 Depth=1
	ds_write_b32 v0, v45
	s_trap 2
.LBB18_672:                             ;   in Loop: Header=BB18_81 Depth=1
	s_or_b64 exec, exec, s[54:55]
	;;#ASMSTART
	s_wakeup
	;;#ASMEND
.LBB18_673:                             ;   in Loop: Header=BB18_81 Depth=1
	s_or_b64 exec, exec, s[30:31]
.LBB18_674:                             ;   in Loop: Header=BB18_81 Depth=1
	s_andn2_saveexec_b64 s[28:29], s[28:29]
	s_cbranch_execz .LBB18_676
; %bb.675:                              ;   in Loop: Header=BB18_81 Depth=1
	s_waitcnt lgkmcnt(0)
	s_barrier
.LBB18_676:                             ;   in Loop: Header=BB18_81 Depth=1
	s_or_b64 exec, exec, s[28:29]
.LBB18_677:                             ;   in Loop: Header=BB18_81 Depth=1
	s_or_b64 exec, exec, s[26:27]
	s_trap 2
	s_waitcnt lgkmcnt(0)
	ds_read_b64 v[2:3], v0
	s_waitcnt lgkmcnt(0)
	v_readfirstlane_b32 s26, v2
	v_readfirstlane_b32 s27, v3
	s_cmp_eq_u64 s[26:27], 0
	s_cselect_b64 s[26:27], -1, 0
	s_or_b64 s[28:29], s[26:27], s[26:27]
	s_mov_b64 s[26:27], 0
	s_and_b64 vcc, exec, s[28:29]
	s_cbranch_vccnz .LBB18_685
; %bb.678:                              ;   in Loop: Header=BB18_81 Depth=1
	s_trap 2
	ds_read_b64 v[2:3], v0
	v_cmp_eq_u32_e64 s[26:27], 0, v0
	v_accvgpr_read_b32 v0, a56
	v_accvgpr_read_b32 v1, a57
	v_cndmask_b32_e64 v48, 0, v0, s[26:27]
	s_waitcnt lgkmcnt(0)
	v_cmp_ne_u64_e32 vcc, 0, v[2:3]
	s_cbranch_vccz .LBB18_690
; %bb.679:                              ;   in Loop: Header=BB18_81 Depth=1
	s_mov_b64 s[28:29], -1
	s_and_saveexec_b64 s[26:27], s[18:19]
	s_cbranch_execz .LBB18_681
; %bb.680:                              ;   in Loop: Header=BB18_81 Depth=1
	ds_read_b32 v0, v0 offset:720
	s_waitcnt lgkmcnt(0)
	v_and_b32_e32 v0, 15, v0
	v_cmp_eq_u32_e32 vcc, 0, v0
	s_orn2_b64 s[28:29], vcc, exec
.LBB18_681:                             ;   in Loop: Header=BB18_81 Depth=1
	s_or_b64 exec, exec, s[26:27]
	s_and_saveexec_b64 s[26:27], s[16:17]
	s_cbranch_execz .LBB18_683
; %bb.682:                              ;   in Loop: Header=BB18_81 Depth=1
	ds_read_b32 v0, v0 offset:784
	s_waitcnt lgkmcnt(0)
	v_and_b32_e32 v0, 15, v0
	v_cmp_eq_u32_e32 vcc, 0, v0
	s_and_b64 vcc, s[28:29], vcc
	s_andn2_b64 s[28:29], s[28:29], exec
	s_and_b64 vcc, vcc, exec
	s_or_b64 s[28:29], s[28:29], vcc
.LBB18_683:                             ;   in Loop: Header=BB18_81 Depth=1
	s_or_b64 exec, exec, s[26:27]
	s_xor_b64 s[28:29], s[28:29], -1
	v_cndmask_b32_e64 v0, 0, 1, s[28:29]
	s_mov_b64 s[26:27], -1
	;;#ASMSTART
	;;#ASMEND
	v_mov_b32_e32 v8, 0
	v_cmp_ne_u32_e32 vcc, 0, v0
	v_mov_b32_e32 v9, v48
	v_mov_b32_e32 v10, v61
	;; [unrolled: 1-line block ×3, first 2 shown]
	s_cbranch_vccz .LBB18_691
; %bb.684:                              ;   in Loop: Header=BB18_81 Depth=1
	s_and_saveexec_b64 s[30:31], s[26:27]
	s_cbranch_execnz .LBB18_706
	s_branch .LBB18_716
.LBB18_685:                             ;   in Loop: Header=BB18_81 Depth=1
	s_and_saveexec_b64 s[28:29], s[4:5]
	s_cbranch_execnz .LBB18_746
.LBB18_686:                             ;   in Loop: Header=BB18_81 Depth=1
	s_or_b64 exec, exec, s[28:29]
                                        ; implicit-def: $vgpr0
	s_and_saveexec_b64 s[28:29], s[20:21]
	s_xor_b64 s[28:29], exec, s[28:29]
	s_cbranch_execz .LBB18_764
.LBB18_687:                             ;   in Loop: Header=BB18_81 Depth=1
	v_and_b32_e32 v1, 16, v62
	v_cmp_ne_u32_e32 vcc, 0, v1
	v_and_b32_e32 v0, 16, v62
	s_and_b64 vcc, vcc, s[26:27]
	s_and_saveexec_b64 s[26:27], vcc
	s_cbranch_execz .LBB18_689
; %bb.688:                              ;   in Loop: Header=BB18_81 Depth=1
	v_mov_b32_e32 v0, 1
	buffer_wbl2 sc1
	s_waitcnt vmcnt(0) lgkmcnt(0)
	buffer_inv sc1
.LBB18_689:                             ;   in Loop: Header=BB18_81 Depth=1
	s_or_b64 exec, exec, s[26:27]
	s_andn2_saveexec_b64 s[26:27], s[28:29]
	s_cbranch_execz .LBB18_783
	s_branch .LBB18_765
.LBB18_690:                             ;   in Loop: Header=BB18_81 Depth=1
	s_cbranch_execnz .LBB18_717
	s_branch .LBB18_745
.LBB18_691:                             ;   in Loop: Header=BB18_81 Depth=1
	v_ashrrev_i32_e32 v0, 31, v48
	v_lshrrev_b32_e32 v0, 20, v0
	v_add_u32_e32 v0, v48, v0
	v_ashrrev_i32_e32 v0, 12, v0
	v_sub_u32_e32 v1, v0, v30
	v_cmp_lt_i32_e32 vcc, 0, v1
	s_and_saveexec_b64 s[26:27], vcc
	s_cbranch_execz .LBB18_695
; %bb.692:                              ;   in Loop: Header=BB18_81 Depth=1
	s_trap 2
	ds_read_b64 v[2:3], v0
	ds_read_b128 v[4:7], v0
	v_accvgpr_read_b32 v8, a48
	v_accvgpr_read_b32 v9, a49
	s_mov_b64 s[28:29], 0
	s_waitcnt lgkmcnt(0)
	v_lshl_add_u64 v[2:3], v[2:3], 0, v[8:9]
	v_lshl_add_u64 v[4:5], v[4:5], 0, v[8:9]
	;; [unrolled: 1-line block ×3, first 2 shown]
.LBB18_693:                             ;   Parent Loop BB18_81 Depth=1
                                        ; =>  This Inner Loop Header: Depth=2
	global_load_dwordx4 v[10:13], v[2:3], off nt
	global_load_dwordx4 v[16:19], v[2:3], off offset:1024 nt
	global_load_dwordx4 v[20:23], v[2:3], off offset:2048 nt
	;; [unrolled: 1-line block ×3, first 2 shown]
	v_sub_u32_e32 v1, v1, v50
	v_cmp_gt_i32_e32 vcc, 1, v1
	v_lshl_add_u64 v[2:3], v[2:3], 0, v[46:47]
	s_or_b64 s[28:29], vcc, s[28:29]
	s_waitcnt vmcnt(0)
	global_store_dwordx4 v[4:5], v[10:13], off nt
	global_store_dwordx4 v[4:5], v[16:19], off offset:1024 nt
	global_store_dwordx4 v[4:5], v[20:23], off offset:2048 nt
	global_store_dwordx4 v[4:5], v[28:31], off offset:3072 nt
	global_store_dwordx4 v[8:9], v[10:13], off nt
	global_store_dwordx4 v[8:9], v[16:19], off offset:1024 nt
	global_store_dwordx4 v[8:9], v[20:23], off offset:2048 nt
	;; [unrolled: 1-line block ×3, first 2 shown]
	v_lshl_add_u64 v[4:5], v[4:5], 0, v[46:47]
	v_lshl_add_u64 v[8:9], v[8:9], 0, v[46:47]
	s_andn2_b64 exec, exec, s[28:29]
	s_cbranch_execnz .LBB18_693
; %bb.694:                              ;   in Loop: Header=BB18_81 Depth=1
	s_or_b64 exec, exec, s[28:29]
	scratch_load_dwordx2 v[12:13], off, s33 offset:168 ; 8-byte Folded Reload
	v_accvgpr_read_b32 v28, a36
	v_accvgpr_read_b32 v22, a42
	v_accvgpr_read_b32 v20, a44
	v_accvgpr_read_b32 v18, a46
	v_accvgpr_read_b32 v29, a37
	v_accvgpr_read_b32 v30, a40
	v_accvgpr_read_b32 v23, a43
	v_accvgpr_read_b32 v21, a45
	v_accvgpr_read_b32 v19, a47
	v_accvgpr_read_b32 v31, a50
	v_accvgpr_read_b32 v17, a51
.LBB18_695:                             ;   in Loop: Header=BB18_81 Depth=1
	s_or_b64 exec, exec, s[26:27]
	v_lshlrev_b32_e32 v0, 12, v0
	v_cmp_ne_u32_e32 vcc, v48, v0
	s_mov_b64 s[26:27], 0
	v_mov_b32_e32 v8, 0
                                        ; implicit-def: $vgpr9
                                        ; implicit-def: $vgpr10
                                        ; implicit-def: $vgpr2
	s_and_saveexec_b64 s[54:55], vcc
	s_cbranch_execz .LBB18_705
; %bb.696:                              ;   in Loop: Header=BB18_81 Depth=1
	v_lshlrev_b32_e32 v1, 6, v1
	v_accvgpr_read_b32 v2, a41
	v_sub_u32_e32 v1, v2, v1
	v_sub_u32_e32 v3, v48, v0
	v_ashrrev_i32_e32 v2, 31, v1
	v_lshrrev_b32_e32 v2, 26, v2
	v_ashrrev_i32_e32 v5, 31, v3
	v_add_u32_e32 v2, v1, v2
	v_lshrrev_b32_e32 v5, 22, v5
	v_ashrrev_i32_e32 v4, 6, v2
	v_and_b32_e32 v2, 0xffffffc0, v2
	v_add_u32_e32 v5, v3, v5
	v_sub_u32_e32 v1, v1, v2
	v_and_b32_e32 v7, 0xfffffc00, v5
	v_lshlrev_b32_e32 v2, 4, v1
	s_waitcnt vmcnt(0)
	v_sub_u32_e32 v12, v3, v7
	v_lshl_add_u32 v2, v4, 10, v2
	v_ashrrev_i32_e32 v6, 10, v5
	v_cmp_lt_i32_e64 s[26:27], 15, v12
	v_sub_u32_e32 v10, v3, v2
	s_nop 0
	v_addc_co_u32_e64 v3, vcc, 0, v6, s[26:27]
	v_sub_u32_e32 v11, v3, v4
	v_cmp_lt_i32_e32 vcc, 15, v10
	s_and_saveexec_b64 s[56:57], vcc
	s_cbranch_execz .LBB18_702
; %bb.697:                              ;   in Loop: Header=BB18_81 Depth=1
	s_trap 2
	ds_read_b64 v[4:5], v0
	ds_read_b128 v[20:23], v0
	v_add_u32_e32 v2, v2, v0
	v_ashrrev_i32_e32 v3, 31, v2
	s_mov_b64 s[58:59], 0
	s_waitcnt lgkmcnt(1)
	v_lshl_add_u64 v[18:19], v[4:5], 0, v[2:3]
	s_waitcnt lgkmcnt(0)
	v_lshl_add_u64 v[54:55], v[20:21], 0, v[2:3]
	v_lshl_add_u64 v[8:9], v[22:23], 0, v[2:3]
.LBB18_698:                             ;   Parent Loop BB18_81 Depth=1
                                        ; =>  This Loop Header: Depth=2
                                        ;       Child Loop BB18_699 Depth 3
	global_load_dwordx4 v[2:5], v[18:19], off nt
	s_mov_b64 s[62:63], -1
	s_mov_b64 s[60:61], 0
	s_waitcnt vmcnt(0)
.LBB18_699:                             ;   Parent Loop BB18_81 Depth=1
                                        ;     Parent Loop BB18_698 Depth=2
                                        ; =>    This Inner Loop Header: Depth=3
	s_cmp_eq_u32 s60, 0
	s_cselect_b64 s[28:29], -1, 0
	s_cmp_eq_u32 s60, 1
	s_cselect_b64 s[30:31], -1, 0
	v_cndmask_b32_e64 v6, 0, 1, s[62:63]
	v_cndmask_b32_e64 v17, v55, v9, s[30:31]
	;; [unrolled: 1-line block ×3, first 2 shown]
	v_cmp_ne_u32_e32 vcc, 1, v6
	global_store_dwordx4 v[16:17], v[2:5], off nt
	v_lshl_add_u64 v[16:17], v[16:17], 0, s[44:45]
	s_mov_b64 s[62:63], 0
	s_mov_b64 s[60:61], 1
	s_and_b64 vcc, exec, vcc
	v_cndmask_b32_e64 v9, v9, v17, s[30:31]
	v_cndmask_b32_e64 v8, v8, v16, s[30:31]
	;; [unrolled: 1-line block ×4, first 2 shown]
	s_cbranch_vccz .LBB18_699
; %bb.700:                              ;   in Loop: Header=BB18_698 Depth=2
	v_accvgpr_read_b32 v2, a46
	v_sub_u32_e32 v10, v10, v60
	v_accvgpr_read_b32 v3, a47
	v_cmp_gt_i32_e32 vcc, 16, v10
	v_lshl_add_u64 v[54:55], v[54:55], 0, v[28:29]
	v_lshl_add_u64 v[8:9], v[8:9], 0, v[28:29]
	;; [unrolled: 1-line block ×3, first 2 shown]
	s_or_b64 s[58:59], vcc, s[58:59]
	v_sub_u32_e32 v11, v11, v50
	s_andn2_b64 exec, exec, s[58:59]
	s_cbranch_execnz .LBB18_698
; %bb.701:                              ;   in Loop: Header=BB18_81 Depth=1
	s_or_b64 exec, exec, s[58:59]
	v_accvgpr_read_b32 v55, a35
	v_accvgpr_read_b32 v22, a42
	v_accvgpr_read_b32 v20, a44
	v_accvgpr_read_b32 v18, a46
	v_accvgpr_read_b32 v54, a34
	v_accvgpr_read_b32 v23, a43
	v_accvgpr_read_b32 v21, a45
	v_accvgpr_read_b32 v19, a47
	v_accvgpr_read_b32 v17, a51
.LBB18_702:                             ;   in Loop: Header=BB18_81 Depth=1
	s_or_b64 exec, exec, s[56:57]
	v_and_b32_e32 v3, 15, v48
	v_cndmask_b32_e64 v9, v12, v3, s[26:27]
	v_cmp_ne_u32_e32 vcc, 0, v9
	s_mov_b64 s[28:29], 0
	v_mov_b32_e32 v8, 0
                                        ; implicit-def: $vgpr10
                                        ; implicit-def: $vgpr2
	s_and_saveexec_b64 s[30:31], vcc
	s_cbranch_execz .LBB18_704
; %bb.703:                              ;   in Loop: Header=BB18_81 Depth=1
	v_sub_u32_e32 v2, v12, v3
	v_cndmask_b32_e64 v2, 0, v2, s[26:27]
	v_cmp_lt_i32_e32 vcc, 0, v11
	v_add3_u32 v8, v7, v0, v2
	s_mov_b64 s[28:29], exec
	v_cndmask_b32_e32 v0, 0, v50, vcc
	v_sub_u32_e32 v0, v0, v11
	v_lshl_add_u32 v10, v0, 6, v1
	v_ashrrev_i32_e32 v0, 31, v10
	v_lshrrev_b32_e32 v0, 26, v0
	v_add_u32_e32 v0, v10, v0
	v_ashrrev_i32_e32 v2, 6, v0
.LBB18_704:                             ;   in Loop: Header=BB18_81 Depth=1
	s_or_b64 exec, exec, s[30:31]
	scratch_load_dwordx2 v[12:13], off, s33 offset:168 ; 8-byte Folded Reload
	s_and_b64 s[26:27], s[28:29], exec
.LBB18_705:                             ;   in Loop: Header=BB18_81 Depth=1
	s_or_b64 exec, exec, s[54:55]
	s_and_saveexec_b64 s[30:31], s[26:27]
	s_cbranch_execz .LBB18_716
.LBB18_706:                             ;   in Loop: Header=BB18_81 Depth=1
	v_ashrrev_i32_e32 v0, 31, v9
	v_lshrrev_b32_e32 v0, 21, v0
	v_add_u32_e32 v0, v9, v0
	v_ashrrev_i32_e32 v17, 11, v0
	v_sub_u32_e32 v11, v17, v2
	v_ashrrev_i32_e32 v0, 31, v10
	v_cmp_lt_i32_e32 vcc, 0, v11
	v_lshrrev_b32_e32 v1, 26, v0
	s_and_saveexec_b64 s[26:27], vcc
	s_cbranch_execz .LBB18_710
; %bb.707:                              ;   in Loop: Header=BB18_81 Depth=1
	v_add_u32_e32 v0, v10, v1
	s_trap 2
	v_accvgpr_write_b32 a58, v1
	v_and_b32_e32 v3, 0xffffffc0, v0
	ds_read_b64 v[0:1], v0
	v_sub_u32_e32 v3, v10, v3
	v_lshlrev_b32_e32 v2, 11, v2
	s_waitcnt vmcnt(0)
	v_add3_u32 v12, v8, v3, v2
	v_ashrrev_i32_e32 v13, 31, v12
	s_waitcnt lgkmcnt(0)
	ds_read_b128 v[4:7], v0
	v_lshl_add_u64 v[0:1], v[0:1], 0, s[46:47]
	v_lshl_add_u64 v[54:55], v[0:1], 0, v[12:13]
	s_mov_b64 s[28:29], 0
	s_waitcnt lgkmcnt(0)
	v_lshl_add_u64 v[2:3], v[4:5], 0, v[12:13]
	v_lshl_add_u64 v[4:5], v[6:7], 0, v[12:13]
.LBB18_708:                             ;   Parent Loop BB18_81 Depth=1
                                        ; =>  This Inner Loop Header: Depth=2
	v_add_co_u32_e32 v18, vcc, 0xfffff840, v54
	flat_load_ubyte v1, v[54:55] nt
	s_nop 0
	v_addc_co_u32_e32 v19, vcc, -1, v55, vcc
	v_add_co_u32_e32 v6, vcc, 0xfffff880, v54
	flat_load_ubyte v18, v[18:19] nt
	s_nop 0
	v_addc_co_u32_e32 v7, vcc, -1, v55, vcc
	;; [unrolled: 4-line block ×31, first 2 shown]
	flat_load_ubyte v60, v[24:25] nt
	v_sub_u32_e32 v11, v11, v50
	v_cmp_gt_i32_e32 vcc, 1, v11
	s_or_b64 s[28:29], vcc, s[28:29]
	v_lshl_add_u64 v[54:55], v[54:55], 0, v[56:57]
	s_waitcnt vmcnt(0) lgkmcnt(0)
	flat_store_byte v[2:3], v1 offset:1984 nt
	flat_store_byte v[2:3], v18 nt
	flat_store_byte v[2:3], v19 offset:64 nt
	flat_store_byte v[2:3], v0 offset:128 nt
	flat_store_byte v[2:3], v7 offset:192 nt
	flat_store_byte v[2:3], v42 offset:256 nt
	flat_store_byte v[2:3], v43 offset:320 nt
	flat_store_byte v[2:3], v28 offset:384 nt
	flat_store_byte v[2:3], v12 offset:448 nt
	flat_store_byte v[2:3], v13 offset:512 nt
	flat_store_byte v[2:3], v34 offset:576 nt
	flat_store_byte v[2:3], v35 offset:640 nt
	flat_store_byte v[2:3], v32 offset:704 nt
	flat_store_byte v[2:3], v33 offset:768 nt
	flat_store_byte v[2:3], v44 offset:832 nt
	flat_store_byte v[2:3], v45 offset:896 nt
	flat_store_byte v[2:3], v29 offset:960 nt
	flat_store_byte v[2:3], v52 offset:1024 nt
	flat_store_byte v[2:3], v53 offset:1088 nt
	flat_store_byte v[2:3], v40 offset:1152 nt
	flat_store_byte v[2:3], v41 offset:1216 nt
	flat_store_byte v[2:3], v30 offset:1280 nt
	flat_store_byte v[2:3], v31 offset:1344 nt
	flat_store_byte v[2:3], v22 offset:1408 nt
	flat_store_byte v[2:3], v23 offset:1472 nt
	flat_store_byte v[2:3], v20 offset:1536 nt
	flat_store_byte v[2:3], v21 offset:1600 nt
	flat_store_byte v[2:3], v58 offset:1664 nt
	flat_store_byte v[2:3], v59 offset:1728 nt
	flat_store_byte v[2:3], v6 offset:1792 nt
	flat_store_byte v[2:3], v16 offset:1856 nt
	flat_store_byte v[2:3], v60 offset:1920 nt
	flat_store_byte v[4:5], v18 nt
	flat_store_byte v[4:5], v19 offset:64 nt
	flat_store_byte v[4:5], v0 offset:128 nt
	;; [unrolled: 1-line block ×31, first 2 shown]
	v_lshl_add_u64 v[2:3], v[2:3], 0, v[56:57]
	v_lshl_add_u64 v[4:5], v[4:5], 0, v[56:57]
	s_andn2_b64 exec, exec, s[28:29]
	s_cbranch_execnz .LBB18_708
; %bb.709:                              ;   in Loop: Header=BB18_81 Depth=1
	s_or_b64 exec, exec, s[28:29]
	scratch_load_dwordx2 v[12:13], off, s33 offset:168 ; 8-byte Folded Reload
	v_accvgpr_read_b32 v35, a3
	v_accvgpr_read_b32 v53, a7
	v_accvgpr_read_b32 v33, a15
	v_accvgpr_read_b32 v41, a21
	v_accvgpr_read_b32 v59, a25
	v_accvgpr_mov_b32 a55, a27
	v_accvgpr_read_b32 v55, a35
	v_accvgpr_read_b32 v28, a36
	;; [unrolled: 1-line block ×12, first 2 shown]
	v_accvgpr_mov_b32 a54, a26
	v_accvgpr_read_b32 v43, a23
	v_accvgpr_read_b32 v42, a28
	v_mov_b32_e32 v45, 1
	v_accvgpr_read_b32 v60, a29
	v_accvgpr_read_b32 v54, a34
	;; [unrolled: 1-line block ×9, first 2 shown]
.LBB18_710:                             ;   in Loop: Header=BB18_81 Depth=1
	s_or_b64 exec, exec, s[26:27]
	v_lshlrev_b32_e32 v0, 11, v17
	v_cmp_ne_u32_e32 vcc, v9, v0
	s_and_b64 s[26:27], exec, vcc
	v_accvgpr_read_b32 v17, a51
	s_mov_b64 exec, s[26:27]
	s_cbranch_execz .LBB18_716
; %bb.711:                              ;   in Loop: Header=BB18_81 Depth=1
	v_add_u32_e32 v1, v10, v1
	v_and_b32_e32 v1, 0xffffffc0, v1
	v_sub_u32_e32 v1, v10, v1
	v_lshlrev_b32_e32 v2, 6, v11
	v_sub_u32_e32 v1, v1, v2
	v_add_u32_e32 v1, v0, v1
	v_sub_u32_e32 v0, v9, v1
	v_cmp_lt_i32_e32 vcc, 0, v0
	s_and_b64 exec, exec, vcc
	s_cbranch_execz .LBB18_716
; %bb.712:                              ;   in Loop: Header=BB18_81 Depth=1
	s_trap 2
	ds_read_b64 v[2:3], v0
	ds_read_b128 v[4:7], v0
	v_add_u32_e32 v8, v1, v8
	v_ashrrev_i32_e32 v9, 31, v8
	s_mov_b64 s[54:55], 0
	s_waitcnt lgkmcnt(0)
	v_lshl_add_u64 v[2:3], v[2:3], 0, v[8:9]
	v_lshl_add_u64 v[4:5], v[4:5], 0, v[8:9]
	;; [unrolled: 1-line block ×3, first 2 shown]
.LBB18_713:                             ;   Parent Loop BB18_81 Depth=1
                                        ; =>  This Loop Header: Depth=2
                                        ;       Child Loop BB18_714 Depth 3
	flat_load_ubyte v1, v[2:3] nt
	s_mov_b64 s[56:57], -1
	s_mov_b64 s[58:59], 0
	s_waitcnt vmcnt(0)
.LBB18_714:                             ;   Parent Loop BB18_81 Depth=1
                                        ;     Parent Loop BB18_713 Depth=2
                                        ; =>    This Inner Loop Header: Depth=3
	s_cmp_eq_u32 s58, 1
	s_cselect_b64 vcc, -1, 0
	v_cndmask_b32_e32 v7, v5, v9, vcc
	s_cmp_eq_u32 s58, 0
	v_cndmask_b32_e32 v6, v4, v8, vcc
	s_waitcnt lgkmcnt(0)
	flat_store_byte v[6:7], v1 nt
	v_lshl_add_u64 v[6:7], v[6:7], 0, 64
	s_cselect_b64 s[26:27], -1, 0
	s_and_b64 s[28:29], exec, s[56:57]
	s_mov_b64 s[58:59], 1
	s_mov_b64 s[56:57], 0
	v_cndmask_b32_e32 v9, v9, v7, vcc
	v_cndmask_b32_e32 v8, v8, v6, vcc
	v_cndmask_b32_e64 v5, v5, v7, s[26:27]
	v_cndmask_b32_e64 v4, v4, v6, s[26:27]
	s_mov_b64 vcc, s[28:29]
	s_cbranch_vccnz .LBB18_714
; %bb.715:                              ;   in Loop: Header=BB18_713 Depth=2
	v_sub_u32_e32 v0, v0, v42
	v_cmp_gt_i32_e32 vcc, 1, v0
	v_lshl_add_u64 v[4:5], v[4:5], 0, v[54:55]
	v_lshl_add_u64 v[8:9], v[8:9], 0, v[54:55]
	s_or_b64 s[54:55], vcc, s[54:55]
	v_lshl_add_u64 v[2:3], v[22:23], 0, v[2:3]
	s_andn2_b64 exec, exec, s[54:55]
	s_cbranch_execnz .LBB18_713
.LBB18_716:                             ;   in Loop: Header=BB18_81 Depth=1
	s_or_b64 exec, exec, s[30:31]
	s_branch .LBB18_745
.LBB18_717:                             ;   in Loop: Header=BB18_81 Depth=1
	s_mov_b64 s[26:27], -1
	s_and_saveexec_b64 s[28:29], s[18:19]
	s_cbranch_execz .LBB18_719
; %bb.718:                              ;   in Loop: Header=BB18_81 Depth=1
	ds_read_b32 v0, v0 offset:720
	s_waitcnt lgkmcnt(0)
	v_and_b32_e32 v0, 15, v0
	v_cmp_eq_u32_e32 vcc, 0, v0
	s_orn2_b64 s[26:27], vcc, exec
.LBB18_719:                             ;   in Loop: Header=BB18_81 Depth=1
	s_or_b64 exec, exec, s[28:29]
	s_and_saveexec_b64 s[28:29], s[14:15]
	s_cbranch_execz .LBB18_721
; %bb.720:                              ;   in Loop: Header=BB18_81 Depth=1
	ds_read_b32 v0, v0 offset:784
	s_waitcnt lgkmcnt(0)
	v_and_b32_e32 v0, 15, v0
	v_cmp_eq_u32_e32 vcc, 0, v0
	s_and_b64 vcc, s[26:27], vcc
	s_andn2_b64 s[26:27], s[26:27], exec
	s_and_b64 vcc, vcc, exec
	s_or_b64 s[26:27], s[26:27], vcc
.LBB18_721:                             ;   in Loop: Header=BB18_81 Depth=1
	s_or_b64 exec, exec, s[28:29]
	s_xor_b64 s[26:27], s[26:27], -1
	v_cndmask_b32_e64 v0, 0, 1, s[26:27]
	;;#ASMSTART
	;;#ASMEND
	s_mov_b64 s[30:31], -1
	v_cmp_ne_u32_e32 vcc, 0, v0
	v_mov_b32_e32 v1, 0
	v_mov_b32_e32 v16, v48
	;; [unrolled: 1-line block ×4, first 2 shown]
	s_cbranch_vccz .LBB18_723
; %bb.722:                              ;   in Loop: Header=BB18_81 Depth=1
	s_and_saveexec_b64 s[26:27], s[30:31]
	s_cbranch_execnz .LBB18_736
	s_branch .LBB18_744
.LBB18_723:                             ;   in Loop: Header=BB18_81 Depth=1
	v_ashrrev_i32_e32 v0, 31, v48
	v_lshrrev_b32_e32 v0, 19, v0
	v_add_u32_e32 v0, v48, v0
	v_ashrrev_i32_e32 v0, 13, v0
	v_sub_u32_e32 v7, v0, v30
	v_cmp_lt_i32_e32 vcc, 0, v7
	s_and_saveexec_b64 s[28:29], vcc
	s_cbranch_execz .LBB18_727
; %bb.724:                              ;   in Loop: Header=BB18_81 Depth=1
	s_trap 2
	ds_read_b64 v[2:3], v0
	s_mov_b64 s[30:31], 0
	v_mov_b64_e32 v[24:25], v[20:21]
	s_waitcnt lgkmcnt(0)
	v_mov_b64_e32 v[4:5], v[2:3]
.LBB18_725:                             ;   Parent Loop BB18_81 Depth=1
                                        ; =>  This Inner Loop Header: Depth=2
	scratch_load_dwordx2 v[8:9], off, s33 offset:168 ; 8-byte Folded Reload
	v_sub_u32_e32 v7, v7, v50
	v_cmp_gt_i32_e64 s[26:27], 1, v7
	s_or_b64 s[30:31], s[26:27], s[30:31]
	s_waitcnt vmcnt(0)
	v_lshl_add_u64 v[12:13], v[8:9], 0, v[4:5]
	global_load_dwordx4 v[8:11], v[12:13], off nt
	global_load_dwordx4 v[16:19], v[12:13], off offset:1024 nt
	global_load_dwordx4 v[20:23], v[12:13], off offset:2048 nt
	;; [unrolled: 1-line block ×3, first 2 shown]
	v_add_co_u32_e32 v12, vcc, 0x1000, v12
	v_lshl_add_u64 v[4:5], v[4:5], 0, v[24:25]
	s_nop 0
	v_addc_co_u32_e32 v13, vcc, 0, v13, vcc
	global_load_dwordx4 v[32:35], v[12:13], off nt
	global_load_dwordx4 v[52:55], v[12:13], off offset:1024 nt
	global_load_dwordx4 v[40:43], v[12:13], off offset:2048 nt
	;; [unrolled: 1-line block ×3, first 2 shown]
	s_nop 0
	scratch_load_dwordx2 v[12:13], off, s33 offset:168 ; 8-byte Folded Reload
	s_waitcnt vmcnt(0)
	v_lshl_add_u64 v[12:13], v[12:13], 0, v[2:3]
	v_add_co_u32_e32 v44, vcc, 0x1000, v12
	global_store_dwordx4 v[12:13], v[8:11], off nt
	global_store_dwordx4 v[12:13], v[16:19], off offset:1024 nt
	global_store_dwordx4 v[12:13], v[20:23], off offset:2048 nt
	;; [unrolled: 1-line block ×3, first 2 shown]
	v_addc_co_u32_e32 v45, vcc, 0, v13, vcc
	scratch_load_dwordx2 v[12:13], off, s33 offset:168 ; 8-byte Folded Reload
	v_lshl_add_u64 v[2:3], v[2:3], 0, v[24:25]
	global_store_dwordx4 v[44:45], v[32:35], off nt
	global_store_dwordx4 v[44:45], v[52:55], off offset:1024 nt
	global_store_dwordx4 v[44:45], v[40:43], off offset:2048 nt
	;; [unrolled: 1-line block ×3, first 2 shown]
	s_andn2_b64 exec, exec, s[30:31]
	s_cbranch_execnz .LBB18_725
; %bb.726:                              ;   in Loop: Header=BB18_81 Depth=1
	s_or_b64 exec, exec, s[30:31]
	v_accvgpr_read_b32 v35, a3
	v_accvgpr_read_b32 v53, a7
	v_accvgpr_read_b32 v33, a15
	v_accvgpr_read_b32 v41, a21
	v_accvgpr_read_b32 v59, a25
	v_accvgpr_read_b32 v55, a35
	v_accvgpr_read_b32 v28, a36
	v_accvgpr_read_b32 v22, a42
	v_accvgpr_read_b32 v18, a46
	v_accvgpr_read_b32 v34, a2
	v_accvgpr_read_b32 v61, a4
	v_accvgpr_read_b32 v52, a6
	v_accvgpr_read_b32 v32, a14
	v_accvgpr_read_b32 v40, a20
	v_accvgpr_read_b32 v44, a22
	v_accvgpr_read_b32 v58, a24
	v_accvgpr_read_b32 v43, a23
	v_accvgpr_read_b32 v42, a28
	v_mov_b32_e32 v45, 1
	v_accvgpr_read_b32 v60, a29
	v_accvgpr_read_b32 v54, a34
	;; [unrolled: 1-line block ×5, first 2 shown]
	v_mov_b64_e32 v[20:21], v[24:25]
	v_accvgpr_read_b32 v19, a47
	v_accvgpr_read_b32 v31, a50
	;; [unrolled: 1-line block ×3, first 2 shown]
.LBB18_727:                             ;   in Loop: Header=BB18_81 Depth=1
	s_or_b64 exec, exec, s[28:29]
	v_lshlrev_b32_e32 v6, 13, v0
	v_cmp_ne_u32_e32 vcc, v48, v6
	s_mov_b64 s[30:31], 0
	v_mov_b32_e32 v1, 0
                                        ; implicit-def: $vgpr16
                                        ; implicit-def: $vgpr0
                                        ; implicit-def: $vgpr4
	s_and_saveexec_b64 s[28:29], vcc
	s_cbranch_execz .LBB18_735
; %bb.728:                              ;   in Loop: Header=BB18_81 Depth=1
	v_lshlrev_b32_e32 v0, 6, v7
	v_accvgpr_read_b32 v1, a41
	v_sub_u32_e32 v0, v1, v0
	v_sub_u32_e32 v2, v48, v6
	v_ashrrev_i32_e32 v1, 31, v0
	v_lshrrev_b32_e32 v1, 26, v1
	v_ashrrev_i32_e32 v4, 31, v2
	v_add_u32_e32 v1, v0, v1
	v_lshrrev_b32_e32 v4, 22, v4
	v_ashrrev_i32_e32 v3, 6, v1
	v_and_b32_e32 v1, 0xffffffc0, v1
	v_add_u32_e32 v4, v2, v4
	v_sub_u32_e32 v7, v0, v1
	v_and_b32_e32 v8, 0xfffffc00, v4
	v_lshlrev_b32_e32 v0, 4, v7
	v_sub_u32_e32 v10, v2, v8
	v_lshl_add_u32 v1, v3, 10, v0
	v_ashrrev_i32_e32 v5, 10, v4
	v_cmp_lt_i32_e32 vcc, 15, v10
	v_sub_u32_e32 v0, v2, v1
	s_nop 0
	v_addc_co_u32_e64 v2, s[26:27], 0, v5, vcc
	v_sub_u32_e32 v9, v2, v3
	v_cmp_lt_i32_e64 s[26:27], 15, v0
	s_and_saveexec_b64 s[30:31], s[26:27]
	s_cbranch_execz .LBB18_732
; %bb.729:                              ;   in Loop: Header=BB18_81 Depth=1
	s_trap 2
	ds_read_b64 v[2:3], v0
	v_add_u32_e32 v4, v1, v6
	v_ashrrev_i32_e32 v5, 31, v4
	s_mov_b64 s[54:55], 0
	v_mov_b64_e32 v[24:25], v[18:19]
.LBB18_730:                             ;   Parent Loop BB18_81 Depth=1
                                        ; =>  This Inner Loop Header: Depth=2
	s_waitcnt vmcnt(0) lgkmcnt(0)
	v_lshl_add_u64 v[12:13], v[2:3], 0, v[4:5]
	global_load_dwordx4 v[16:19], v[12:13], off nt
	v_sub_u32_e32 v0, v0, v60
	v_cmp_gt_i32_e64 s[26:27], 16, v0
	v_sub_u32_e32 v9, v9, v50
	v_lshl_add_u64 v[4:5], v[4:5], 0, v[24:25]
	s_or_b64 s[54:55], s[26:27], s[54:55]
	s_waitcnt vmcnt(0)
	global_store_dwordx4 v[12:13], v[16:19], off nt
	s_andn2_b64 exec, exec, s[54:55]
	s_cbranch_execnz .LBB18_730
; %bb.731:                              ;   in Loop: Header=BB18_81 Depth=1
	s_or_b64 exec, exec, s[54:55]
	scratch_load_dwordx2 v[12:13], off, s33 offset:168 ; 8-byte Folded Reload
	v_mov_b64_e32 v[18:19], v[24:25]
	v_accvgpr_read_b32 v17, a51
.LBB18_732:                             ;   in Loop: Header=BB18_81 Depth=1
	s_or_b64 exec, exec, s[30:31]
	v_and_b32_e32 v2, 15, v48
	v_cndmask_b32_e32 v16, v10, v2, vcc
	v_cmp_ne_u32_e64 s[26:27], 0, v16
	s_mov_b64 s[30:31], 0
	v_mov_b32_e32 v1, 0
                                        ; implicit-def: $vgpr0
                                        ; implicit-def: $vgpr4
	s_and_saveexec_b64 s[54:55], s[26:27]
	s_cbranch_execz .LBB18_734
; %bb.733:                              ;   in Loop: Header=BB18_81 Depth=1
	v_sub_u32_e32 v0, v10, v2
	v_cndmask_b32_e32 v0, 0, v0, vcc
	v_cmp_lt_i32_e32 vcc, 0, v9
	v_add3_u32 v1, v8, v6, v0
	s_mov_b64 s[30:31], exec
	v_cndmask_b32_e32 v0, 0, v50, vcc
	v_sub_u32_e32 v0, v0, v9
	v_lshl_add_u32 v0, v0, 6, v7
	v_ashrrev_i32_e32 v2, 31, v0
	v_lshrrev_b32_e32 v2, 26, v2
	v_add_u32_e32 v2, v0, v2
	v_ashrrev_i32_e32 v4, 6, v2
.LBB18_734:                             ;   in Loop: Header=BB18_81 Depth=1
	s_or_b64 exec, exec, s[54:55]
	s_and_b64 s[30:31], s[30:31], exec
.LBB18_735:                             ;   in Loop: Header=BB18_81 Depth=1
	s_or_b64 exec, exec, s[28:29]
	s_and_saveexec_b64 s[26:27], s[30:31]
	s_cbranch_execz .LBB18_744
.LBB18_736:                             ;   in Loop: Header=BB18_81 Depth=1
	v_ashrrev_i32_e32 v2, 31, v16
	v_lshrrev_b32_e32 v2, 21, v2
	v_add_u32_e32 v2, v16, v2
	s_waitcnt vmcnt(0)
	v_ashrrev_i32_e32 v12, 11, v2
	v_sub_u32_e32 v7, v12, v4
	v_cmp_lt_i32_e32 vcc, 0, v7
	s_and_saveexec_b64 s[28:29], vcc
	s_cbranch_execz .LBB18_740
; %bb.737:                              ;   in Loop: Header=BB18_81 Depth=1
	v_ashrrev_i32_e32 v5, 31, v0
	s_trap 2
	ds_read_b64 v[2:3], v0
	v_lshrrev_b32_e32 v5, 26, v5
	v_add_u32_e32 v5, v0, v5
	v_and_b32_e32 v5, 0xffffffc0, v5
	v_sub_u32_e32 v5, v0, v5
	v_lshlrev_b32_e32 v4, 11, v4
	v_add3_u32 v4, v1, v5, v4
	v_ashrrev_i32_e32 v5, 31, v4
	s_mov_b64 s[30:31], 0
	s_waitcnt lgkmcnt(0)
	v_mov_b64_e32 v[8:9], v[2:3]
.LBB18_738:                             ;   Parent Loop BB18_81 Depth=1
                                        ; =>  This Inner Loop Header: Depth=2
	v_lshl_add_u64 v[10:11], v[4:5], 0, v[8:9]
	flat_load_ubyte v6, v[10:11] nt
	flat_load_ubyte v13, v[10:11] offset:64 nt
	flat_load_ubyte v17, v[10:11] offset:128 nt
	;; [unrolled: 1-line block ×31, first 2 shown]
	v_sub_u32_e32 v7, v7, v50
	v_cmp_gt_i32_e32 vcc, 1, v7
	v_lshl_add_u64 v[10:11], v[4:5], 0, v[2:3]
	v_lshl_add_u64 v[8:9], v[8:9], 0, v[56:57]
	;; [unrolled: 1-line block ×3, first 2 shown]
	s_or_b64 s[30:31], vcc, s[30:31]
	s_waitcnt vmcnt(0) lgkmcnt(0)
	flat_store_byte v[10:11], v6 nt
	flat_store_byte v[10:11], v13 offset:64 nt
	flat_store_byte v[10:11], v17 offset:128 nt
	;; [unrolled: 1-line block ×31, first 2 shown]
	s_andn2_b64 exec, exec, s[30:31]
	s_cbranch_execnz .LBB18_738
; %bb.739:                              ;   in Loop: Header=BB18_81 Depth=1
	s_or_b64 exec, exec, s[30:31]
	v_accvgpr_read_b32 v35, a3
	v_accvgpr_read_b32 v53, a7
	;; [unrolled: 1-line block ×5, first 2 shown]
	v_accvgpr_mov_b32 a55, a27
	v_accvgpr_read_b32 v55, a35
	v_accvgpr_read_b32 v28, a36
	;; [unrolled: 1-line block ×11, first 2 shown]
	v_accvgpr_mov_b32 a54, a26
	v_accvgpr_read_b32 v43, a23
	v_accvgpr_read_b32 v42, a28
	v_mov_b32_e32 v45, 1
	v_accvgpr_read_b32 v60, a29
	v_accvgpr_read_b32 v54, a34
	;; [unrolled: 1-line block ×9, first 2 shown]
.LBB18_740:                             ;   in Loop: Header=BB18_81 Depth=1
	s_or_b64 exec, exec, s[28:29]
	v_lshlrev_b32_e32 v2, 11, v12
	scratch_load_dwordx2 v[12:13], off, s33 offset:168 ; 8-byte Folded Reload
	v_cmp_ne_u32_e32 vcc, v16, v2
	s_and_b64 s[28:29], exec, vcc
	s_mov_b64 exec, s[28:29]
	s_cbranch_execz .LBB18_744
; %bb.741:                              ;   in Loop: Header=BB18_81 Depth=1
	v_ashrrev_i32_e32 v3, 31, v0
	v_lshrrev_b32_e32 v3, 26, v3
	v_add_u32_e32 v3, v0, v3
	v_and_b32_e32 v3, 0xffffffc0, v3
	v_sub_u32_e32 v0, v0, v3
	v_lshlrev_b32_e32 v3, 6, v7
	v_sub_u32_e32 v0, v0, v3
	v_add_u32_e32 v4, v2, v0
	v_sub_u32_e32 v0, v16, v4
	v_cmp_lt_i32_e32 vcc, 0, v0
	s_and_b64 exec, exec, vcc
	s_cbranch_execz .LBB18_744
; %bb.742:                              ;   in Loop: Header=BB18_81 Depth=1
	s_trap 2
	ds_read_b64 v[2:3], v0
	v_add_u32_e32 v4, v4, v1
	v_ashrrev_i32_e32 v5, 31, v4
	s_mov_b64 s[28:29], 0
.LBB18_743:                             ;   Parent Loop BB18_81 Depth=1
                                        ; =>  This Inner Loop Header: Depth=2
	s_waitcnt lgkmcnt(0)
	v_lshl_add_u64 v[6:7], v[2:3], 0, v[4:5]
	flat_load_ubyte v1, v[6:7] nt
	v_sub_u32_e32 v0, v0, v42
	v_cmp_gt_i32_e32 vcc, 1, v0
	v_lshl_add_u64 v[4:5], v[4:5], 0, v[22:23]
	s_or_b64 s[28:29], vcc, s[28:29]
	s_waitcnt vmcnt(0) lgkmcnt(0)
	flat_store_byte v[6:7], v1 nt
	s_andn2_b64 exec, exec, s[28:29]
	s_cbranch_execnz .LBB18_743
.LBB18_744:                             ;   in Loop: Header=BB18_81 Depth=1
	s_or_b64 exec, exec, s[26:27]
.LBB18_745:                             ;   in Loop: Header=BB18_81 Depth=1
	v_cmp_lt_i32_e64 s[26:27], 0, v48
	s_and_saveexec_b64 s[28:29], s[4:5]
	s_cbranch_execz .LBB18_686
.LBB18_746:                             ;   in Loop: Header=BB18_81 Depth=1
	s_and_saveexec_b64 vcc, s[42:43]
	s_xor_b64 s[30:31], exec, vcc
	s_cbranch_execz .LBB18_761
; %bb.747:                              ;   in Loop: Header=BB18_81 Depth=1
	s_and_saveexec_b64 s[54:55], s[12:13]
	s_cbranch_execz .LBB18_760
; %bb.748:                              ;   in Loop: Header=BB18_81 Depth=1
	s_mov_b64 s[58:59], exec
	v_mbcnt_lo_u32_b32 v0, s58, 0
	v_mbcnt_hi_u32_b32 v0, s59, v0
	v_cmp_eq_u32_e32 vcc, 0, v0
	s_waitcnt lgkmcnt(0)
	s_and_saveexec_b64 s[56:57], vcc
	s_cbranch_execz .LBB18_750
; %bb.749:                              ;   in Loop: Header=BB18_81 Depth=1
	s_bcnt1_i32_b64 vcc_lo, s[58:59]
	v_mov_b32_e32 v48, vcc_lo
	ds_add_u64 v0, v[48:49]
	s_trap 2
.LBB18_750:                             ;   in Loop: Header=BB18_81 Depth=1
	s_or_b64 exec, exec, s[56:57]
	s_trap 2
	ds_read_b64 v[0:1], v0
	v_lshl_add_u64 v[14:15], v[14:15], 0, v[50:51]
	s_waitcnt lgkmcnt(0)
	v_cmp_lt_u64_e32 vcc, v[0:1], v[14:15]
	s_and_saveexec_b64 s[56:57], vcc
	s_cbranch_execz .LBB18_759
; %bb.751:                              ;   in Loop: Header=BB18_81 Depth=1
	s_mov_b32 s69, 0
	s_mov_b64 s[58:59], 0
                                        ; implicit-def: $sgpr60_sgpr61
                                        ; implicit-def: $sgpr62_sgpr63
	s_branch .LBB18_753
.LBB18_752:                             ;   in Loop: Header=BB18_753 Depth=2
	s_or_b64 exec, exec, s[66:67]
	s_and_b64 vcc, exec, vcc
	s_or_b64 s[58:59], vcc, s[58:59]
	s_andn2_b64 vcc, s[60:61], exec
	s_and_b64 s[60:61], s[62:63], exec
	s_or_b64 s[60:61], vcc, s[60:61]
	s_andn2_b64 exec, exec, s[58:59]
	s_cbranch_execz .LBB18_757
.LBB18_753:                             ;   Parent Loop BB18_81 Depth=1
                                        ; =>  This Inner Loop Header: Depth=2
	s_add_i32 s69, s69, 1
	s_cmpk_lg_i32 s69, 0x2710
	s_cselect_b64 s[64:65], -1, 0
	s_and_b64 vcc, exec, s[64:65]
                                        ; implicit-def: $sgpr66_sgpr67
	s_cbranch_vccnz .LBB18_755
; %bb.754:                              ;   in Loop: Header=BB18_753 Depth=2
	s_trap 2
	ds_read_b64 v[0:1], v0
	s_andn2_b64 s[64:65], s[64:65], exec
	s_mov_b32 s69, 0
	s_mov_b64 s[66:67], -1
	s_waitcnt vmcnt(0) lgkmcnt(0)
	flat_load_dword v0, v[0:1] sc0 sc1
	s_waitcnt vmcnt(0) lgkmcnt(0)
	buffer_inv sc0 sc1
	v_cmp_eq_u32_e32 vcc, 0, v0
	s_and_b64 vcc, vcc, exec
	s_or_b64 s[64:65], s[64:65], vcc
.LBB18_755:                             ;   in Loop: Header=BB18_753 Depth=2
	s_andn2_b64 s[62:63], s[62:63], exec
	s_and_b64 s[66:67], s[66:67], exec
	s_mov_b64 vcc, -1
	s_or_b64 s[62:63], s[62:63], s[66:67]
	s_and_saveexec_b64 s[66:67], s[64:65]
	s_cbranch_execz .LBB18_752
; %bb.756:                              ;   in Loop: Header=BB18_753 Depth=2
	s_sleep 1
	s_trap 2
	ds_read_b64 v[0:1], v0
	s_andn2_b64 s[62:63], s[62:63], exec
	s_waitcnt lgkmcnt(0)
	v_cmp_ge_u64_e32 vcc, v[0:1], v[14:15]
	s_orn2_b64 vcc, vcc, exec
	s_branch .LBB18_752
.LBB18_757:                             ;   in Loop: Header=BB18_81 Depth=1
	s_or_b64 exec, exec, s[58:59]
	s_and_saveexec_b64 vcc, s[60:61]
	s_xor_b64 vcc, exec, vcc
	s_cbranch_execz .LBB18_759
; %bb.758:                              ;   in Loop: Header=BB18_81 Depth=1
	ds_write_b32 v0, v45
	s_trap 2
.LBB18_759:                             ;   in Loop: Header=BB18_81 Depth=1
	s_or_b64 exec, exec, s[56:57]
	;;#ASMSTART
	s_wakeup
	;;#ASMEND
.LBB18_760:                             ;   in Loop: Header=BB18_81 Depth=1
	s_or_b64 exec, exec, s[54:55]
.LBB18_761:                             ;   in Loop: Header=BB18_81 Depth=1
	s_andn2_saveexec_b64 vcc, s[30:31]
	s_cbranch_execz .LBB18_763
; %bb.762:                              ;   in Loop: Header=BB18_81 Depth=1
	s_waitcnt lgkmcnt(0)
	s_barrier
.LBB18_763:                             ;   in Loop: Header=BB18_81 Depth=1
	s_or_b64 exec, exec, vcc
	s_or_b64 exec, exec, s[28:29]
                                        ; implicit-def: $vgpr0
	s_and_saveexec_b64 s[28:29], s[20:21]
	s_xor_b64 s[28:29], exec, s[28:29]
	s_cbranch_execnz .LBB18_687
.LBB18_764:                             ;   in Loop: Header=BB18_81 Depth=1
	s_andn2_saveexec_b64 s[26:27], s[28:29]
	s_cbranch_execz .LBB18_783
.LBB18_765:                             ;   in Loop: Header=BB18_81 Depth=1
	s_and_saveexec_b64 s[28:29], s[42:43]
	s_xor_b64 s[28:29], exec, s[28:29]
	s_cbranch_execz .LBB18_780
; %bb.766:                              ;   in Loop: Header=BB18_81 Depth=1
	s_and_saveexec_b64 s[30:31], s[12:13]
	s_cbranch_execz .LBB18_779
; %bb.767:                              ;   in Loop: Header=BB18_81 Depth=1
	s_mov_b64 s[56:57], exec
	v_mbcnt_lo_u32_b32 v0, s56, 0
	v_mbcnt_hi_u32_b32 v0, s57, v0
	v_cmp_eq_u32_e32 vcc, 0, v0
	;;#ASMSTART
	s_waitcnt lgkmcnt(0) vmcnt(0)
	;;#ASMEND
	s_and_saveexec_b64 s[54:55], vcc
	s_cbranch_execz .LBB18_769
; %bb.768:                              ;   in Loop: Header=BB18_81 Depth=1
	s_bcnt1_i32_b64 vcc_lo, s[56:57]
	v_mov_b32_e32 v48, vcc_lo
	ds_add_u64 v0, v[48:49]
	s_trap 2
.LBB18_769:                             ;   in Loop: Header=BB18_81 Depth=1
	s_or_b64 exec, exec, s[54:55]
	s_trap 2
	ds_read_b64 v[0:1], v0
	v_lshl_add_u64 v[14:15], v[14:15], 0, v[50:51]
	s_waitcnt lgkmcnt(0)
	v_cmp_lt_u64_e32 vcc, v[0:1], v[14:15]
	s_and_saveexec_b64 s[54:55], vcc
	s_cbranch_execz .LBB18_778
; %bb.770:                              ;   in Loop: Header=BB18_81 Depth=1
	s_mov_b32 s66, 0
	s_mov_b64 s[56:57], 0
                                        ; implicit-def: $sgpr58_sgpr59
                                        ; implicit-def: $sgpr60_sgpr61
	s_branch .LBB18_772
.LBB18_771:                             ;   in Loop: Header=BB18_772 Depth=2
	s_or_b64 exec, exec, s[64:65]
	s_and_b64 vcc, exec, vcc
	s_or_b64 s[56:57], vcc, s[56:57]
	s_andn2_b64 vcc, s[58:59], exec
	s_and_b64 s[58:59], s[60:61], exec
	s_or_b64 s[58:59], vcc, s[58:59]
	s_andn2_b64 exec, exec, s[56:57]
	s_cbranch_execz .LBB18_776
.LBB18_772:                             ;   Parent Loop BB18_81 Depth=1
                                        ; =>  This Inner Loop Header: Depth=2
	s_add_i32 s66, s66, 1
	s_cmpk_lg_i32 s66, 0x2710
	s_cselect_b64 s[62:63], -1, 0
	s_and_b64 vcc, exec, s[62:63]
                                        ; implicit-def: $sgpr64_sgpr65
	s_cbranch_vccnz .LBB18_774
; %bb.773:                              ;   in Loop: Header=BB18_772 Depth=2
	s_trap 2
	ds_read_b64 v[0:1], v0
	s_andn2_b64 s[62:63], s[62:63], exec
	s_mov_b32 s66, 0
	s_mov_b64 s[64:65], -1
	s_waitcnt vmcnt(0) lgkmcnt(0)
	flat_load_dword v0, v[0:1] sc0 sc1
	s_waitcnt vmcnt(0) lgkmcnt(0)
	buffer_inv sc0 sc1
	v_cmp_eq_u32_e32 vcc, 0, v0
	s_and_b64 vcc, vcc, exec
	s_or_b64 s[62:63], s[62:63], vcc
.LBB18_774:                             ;   in Loop: Header=BB18_772 Depth=2
	s_andn2_b64 s[60:61], s[60:61], exec
	s_and_b64 s[64:65], s[64:65], exec
	s_mov_b64 vcc, -1
	s_or_b64 s[60:61], s[60:61], s[64:65]
	s_and_saveexec_b64 s[64:65], s[62:63]
	s_cbranch_execz .LBB18_771
; %bb.775:                              ;   in Loop: Header=BB18_772 Depth=2
	s_sleep 1
	s_trap 2
	ds_read_b64 v[0:1], v0
	s_andn2_b64 s[60:61], s[60:61], exec
	s_waitcnt lgkmcnt(0)
	v_cmp_ge_u64_e32 vcc, v[0:1], v[14:15]
	s_orn2_b64 vcc, vcc, exec
	s_branch .LBB18_771
.LBB18_776:                             ;   in Loop: Header=BB18_81 Depth=1
	s_or_b64 exec, exec, s[56:57]
	s_and_saveexec_b64 vcc, s[58:59]
	s_xor_b64 vcc, exec, vcc
	s_cbranch_execz .LBB18_778
; %bb.777:                              ;   in Loop: Header=BB18_81 Depth=1
	ds_write_b32 v0, v45
	s_trap 2
.LBB18_778:                             ;   in Loop: Header=BB18_81 Depth=1
	s_or_b64 exec, exec, s[54:55]
	;;#ASMSTART
	s_wakeup
	;;#ASMEND
.LBB18_779:                             ;   in Loop: Header=BB18_81 Depth=1
	s_or_b64 exec, exec, s[30:31]
.LBB18_780:                             ;   in Loop: Header=BB18_81 Depth=1
	s_andn2_saveexec_b64 s[28:29], s[28:29]
	s_cbranch_execz .LBB18_782
; %bb.781:                              ;   in Loop: Header=BB18_81 Depth=1
	;;#ASMSTART
	s_waitcnt lgkmcnt(0) vmcnt(0)
	;;#ASMEND
	s_barrier
.LBB18_782:                             ;   in Loop: Header=BB18_81 Depth=1
	s_or_b64 exec, exec, s[28:29]
	v_and_b32_e32 v0, 16, v62
.LBB18_783:                             ;   in Loop: Header=BB18_81 Depth=1
	s_or_b64 exec, exec, s[26:27]
	v_cmp_ne_u32_e32 vcc, 0, v0
	s_xor_b64 s[26:27], s[6:7], -1
	s_and_b64 s[28:29], vcc, s[26:27]
	s_and_saveexec_b64 s[26:27], s[28:29]
	s_cbranch_execz .LBB18_785
; %bb.784:                              ;   in Loop: Header=BB18_81 Depth=1
	v_accvgpr_read_b32 v0, a54
	v_accvgpr_read_b32 v1, a55
	flat_store_dword v[0:1], v45 sc0 sc1
.LBB18_785:                             ;   in Loop: Header=BB18_81 Depth=1
	s_or_b64 exec, exec, s[26:27]
	v_and_b32_e32 v0, 48, v62
	v_cmp_ne_u32_e32 vcc, 0, v0
	s_and_saveexec_b64 s[26:27], vcc
	s_cbranch_execz .LBB18_787
; %bb.786:                              ;   in Loop: Header=BB18_81 Depth=1
	v_lshl_add_u64 v[38:39], v[38:39], 0, 4
	flat_store_dwordx2 v[26:27], v[38:39] sc0 sc1
.LBB18_787:                             ;   in Loop: Header=BB18_81 Depth=1
	s_or_b64 exec, exec, s[26:27]
	v_accvgpr_read_b32 v2, a56
	v_mov_b32_e32 v0, v2
	v_mov_b32_e32 v1, v2
	v_accvgpr_read_b32 v3, a57
	s_or_b64 exec, exec, s[52:53]
	s_and_saveexec_b64 s[28:29], s[22:23]
	s_cbranch_execnz .LBB18_541
.LBB18_788:                             ;   in Loop: Header=BB18_81 Depth=1
	s_or_b64 exec, exec, s[28:29]
	s_add_i32 s26, s68, 1
	s_cmp_eq_u32 s68, s80
	s_cbranch_scc0 .LBB18_612
.LBB18_789:                             ;   in Loop: Header=BB18_81 Depth=1
	v_mov_b32_e32 v8, 0
	s_and_saveexec_b64 s[26:27], s[24:25]
	s_cbranch_execz .LBB18_926
; %bb.790:                              ;   in Loop: Header=BB18_81 Depth=1
	s_and_saveexec_b64 s[24:25], s[0:1]
	s_cbranch_execz .LBB18_792
; %bb.791:                              ;   in Loop: Header=BB18_81 Depth=1
	flat_load_dword v6, v[52:53] offset:4
	s_trap 2
	ds_read_b128 v[0:3], v0
	v_accvgpr_read_b32 v4, a52
	v_accvgpr_read_b32 v5, a53
	s_waitcnt lgkmcnt(0)
	v_cmp_ne_u64_e32 vcc, 0, v[2:3]
	s_waitcnt vmcnt(0)
	v_ashrrev_i32_e32 v7, 31, v6
	v_mad_u64_u32 v[4:5], s[28:29], v32, v6, v[4:5]
	v_mul_lo_u32 v6, v33, v6
	v_mul_lo_u32 v7, v32, v7
	v_add3_u32 v5, v6, v5, v7
	v_lshl_add_u64 v[0:1], v[0:1], 0, v[4:5]
	v_lshl_add_u64 v[4:5], v[2:3], 0, v[4:5]
	ds_write_b64 v0, v[0:1]
	v_cndmask_b32_e32 v1, 0, v5, vcc
	v_cndmask_b32_e32 v0, 0, v4, vcc
	ds_write_b64 v0, v[0:1]
.LBB18_792:                             ;   in Loop: Header=BB18_81 Depth=1
	s_or_b64 exec, exec, s[24:25]
	v_and_b32_e32 v0, 4, v62
	v_cmp_ne_u32_e32 vcc, 0, v0
	s_mov_b64 s[28:29], -1
	s_and_saveexec_b64 s[24:25], vcc
	s_cbranch_execz .LBB18_802
; %bb.793:                              ;   in Loop: Header=BB18_81 Depth=1
	v_lshl_add_u64 v[2:3], v[38:39], 0, 4
	v_cmp_lt_u64_e32 vcc, v[36:37], v[2:3]
	v_mov_b32_e32 v0, 1
	s_and_saveexec_b64 s[28:29], vcc
	s_cbranch_execz .LBB18_813
; %bb.794:                              ;   in Loop: Header=BB18_81 Depth=1
	s_mov_b64 s[30:31], 0
	v_mov_b32_e32 v0, 0
                                        ; implicit-def: $sgpr52_sgpr53
	s_branch .LBB18_798
.LBB18_795:                             ;   in Loop: Header=BB18_798 Depth=2
	s_or_b64 exec, exec, s[60:61]
	v_mov_b32_e32 v1, 0
	s_orn2_b64 s[58:59], s[58:59], exec
.LBB18_796:                             ;   in Loop: Header=BB18_798 Depth=2
	s_or_b64 exec, exec, s[56:57]
	s_andn2_b64 vcc, s[52:53], exec
	s_and_b64 s[52:53], s[58:59], exec
	s_or_b64 s[52:53], vcc, s[52:53]
	v_mov_b32_e32 v0, v1
.LBB18_797:                             ;   in Loop: Header=BB18_798 Depth=2
	s_or_b64 exec, exec, s[54:55]
	s_waitcnt vmcnt(0) lgkmcnt(0)
	v_cmp_ge_u64_e32 vcc, v[36:37], v[2:3]
	s_xor_b64 s[54:55], s[52:53], -1
	s_or_b64 vcc, s[54:55], vcc
	s_and_b64 vcc, exec, vcc
	s_or_b64 s[30:31], vcc, s[30:31]
	s_andn2_b64 exec, exec, s[30:31]
	s_cbranch_execz .LBB18_812
.LBB18_798:                             ;   Parent Loop BB18_81 Depth=1
                                        ; =>  This Inner Loop Header: Depth=2
	s_sleep 1
	flat_load_dwordx2 v[36:37], v[26:27] sc0 sc1
	v_and_b32_e32 v1, 64, v62
	v_cmp_eq_u32_e32 vcc, 0, v1
	s_andn2_b64 s[52:53], s[52:53], exec
	s_and_saveexec_b64 s[54:55], vcc
	s_cbranch_execz .LBB18_797
; %bb.799:                              ;   in Loop: Header=BB18_798 Depth=2
	v_add_u32_e32 v1, 1, v0
	v_cmp_lt_i32_e32 vcc, s77, v0
	s_mov_b64 s[58:59], -1
	s_and_saveexec_b64 s[56:57], vcc
	s_cbranch_execz .LBB18_796
; %bb.800:                              ;   in Loop: Header=BB18_798 Depth=2
	s_trap 2
	ds_read_b64 v[0:1], v0
	s_waitcnt vmcnt(0) lgkmcnt(0)
	flat_load_dword v0, v[0:1] sc0 sc1
	s_waitcnt vmcnt(0) lgkmcnt(0)
	buffer_inv sc0 sc1
	v_cmp_ne_u32_e32 vcc, 0, v0
	s_and_saveexec_b64 s[60:61], vcc
	s_cbranch_execz .LBB18_795
; %bb.801:                              ;   in Loop: Header=BB18_798 Depth=2
	v_or_b32_e32 v62, 64, v62
	s_xor_b64 s[58:59], exec, -1
	ds_write_b32 v0, v0
	s_trap 2
	s_branch .LBB18_795
.LBB18_802:                             ;   in Loop: Header=BB18_81 Depth=1
	s_or_b64 exec, exec, s[24:25]
	s_xor_b64 s[24:25], s[28:29], -1
	s_and_saveexec_b64 s[28:29], s[24:25]
	s_cbranch_execz .LBB18_814
.LBB18_803:                             ;   in Loop: Header=BB18_81 Depth=1
	v_and_b32_e32 v0, 0x100, v62
	v_cmp_ne_u32_e32 vcc, 0, v0
	v_and_b32_e32 v0, 7, v38
	s_mov_b64 s[24:25], -1
                                        ; implicit-def: $vgpr2_vgpr3
	s_and_saveexec_b64 s[30:31], vcc
	s_cbranch_execz .LBB18_807
; %bb.804:                              ;   in Loop: Header=BB18_81 Depth=1
	v_mad_u64_u32 v[4:5], s[24:25], v0, 24, v[40:41]
	flat_load_dword v1, v[4:5]
                                        ; implicit-def: $vgpr2_vgpr3
	s_waitcnt vmcnt(0) lgkmcnt(0)
	v_cmp_ne_u32_e32 vcc, 1, v1
	v_cmp_eq_u32_e64 s[24:25], 1, v1
	s_and_saveexec_b64 s[52:53], s[24:25]
	s_cbranch_execz .LBB18_806
; %bb.805:                              ;   in Loop: Header=BB18_81 Depth=1
	flat_load_dword v2, v[4:5] offset:4 sc0 sc1
	s_waitcnt vmcnt(0) lgkmcnt(0)
	v_ashrrev_i32_e32 v3, 31, v2
.LBB18_806:                             ;   in Loop: Header=BB18_81 Depth=1
	s_or_b64 exec, exec, s[52:53]
	s_orn2_b64 s[24:25], vcc, exec
.LBB18_807:                             ;   in Loop: Header=BB18_81 Depth=1
	s_or_b64 exec, exec, s[30:31]
	s_and_saveexec_b64 vcc, s[24:25]
; %bb.808:                              ;   in Loop: Header=BB18_81 Depth=1
	v_mad_i64_i32 v[2:3], s[24:25], v0, v44, 0
; %bb.809:                              ;   in Loop: Header=BB18_81 Depth=1
	s_or_b64 exec, exec, vcc
	v_lshl_add_u64 v[0:1], v[58:59], 0, v[2:3]
	ds_write_b64 v0, v[0:1] offset:720
	v_and_b32_e32 v0, 0x2000, v62
	v_cmp_ne_u32_e32 vcc, 0, v0
	s_and_saveexec_b64 s[24:25], vcc
	s_cbranch_execz .LBB18_811
; %bb.810:                              ;   in Loop: Header=BB18_81 Depth=1
	ds_read_b64 v[0:1], v0 offset:584
	s_waitcnt lgkmcnt(0)
	v_lshl_add_u64 v[0:1], v[0:1], 0, 1
	ds_write_b64 v0, v[0:1] offset:584
.LBB18_811:                             ;   in Loop: Header=BB18_81 Depth=1
	s_or_b64 exec, exec, s[24:25]
	v_lshl_add_u64 v[38:39], v[38:39], 0, 4
	s_or_b64 exec, exec, s[28:29]
	s_and_saveexec_b64 s[24:25], s[4:5]
	s_cbranch_execz .LBB18_833
	s_branch .LBB18_815
.LBB18_812:                             ;   in Loop: Header=BB18_81 Depth=1
	s_or_b64 exec, exec, s[30:31]
	v_and_b32_e32 v0, 4, v62
.LBB18_813:                             ;   in Loop: Header=BB18_81 Depth=1
	s_or_b64 exec, exec, s[28:29]
	v_cmp_eq_u32_e32 vcc, 0, v0
	s_orn2_b64 s[28:29], vcc, exec
	;;#ASMSTART
	s_wakeup
	;;#ASMEND
	s_or_b64 exec, exec, s[24:25]
	s_xor_b64 s[24:25], s[28:29], -1
	s_and_saveexec_b64 s[28:29], s[24:25]
	s_cbranch_execnz .LBB18_803
.LBB18_814:                             ;   in Loop: Header=BB18_81 Depth=1
	s_or_b64 exec, exec, s[28:29]
	s_and_saveexec_b64 s[24:25], s[4:5]
	s_cbranch_execz .LBB18_833
.LBB18_815:                             ;   in Loop: Header=BB18_81 Depth=1
	s_and_saveexec_b64 s[28:29], s[42:43]
	s_xor_b64 s[28:29], exec, s[28:29]
	s_cbranch_execz .LBB18_830
; %bb.816:                              ;   in Loop: Header=BB18_81 Depth=1
	s_and_saveexec_b64 s[30:31], s[12:13]
	s_cbranch_execz .LBB18_829
; %bb.817:                              ;   in Loop: Header=BB18_81 Depth=1
	s_mov_b64 s[54:55], exec
	v_mbcnt_lo_u32_b32 v0, s54, 0
	v_mbcnt_hi_u32_b32 v0, s55, v0
	v_cmp_eq_u32_e32 vcc, 0, v0
	s_waitcnt lgkmcnt(0)
	s_and_saveexec_b64 s[52:53], vcc
	s_cbranch_execz .LBB18_819
; %bb.818:                              ;   in Loop: Header=BB18_81 Depth=1
	s_bcnt1_i32_b64 vcc_lo, s[54:55]
	v_mov_b32_e32 v48, vcc_lo
	ds_add_u64 v0, v[48:49]
	s_trap 2
.LBB18_819:                             ;   in Loop: Header=BB18_81 Depth=1
	s_or_b64 exec, exec, s[52:53]
	s_trap 2
	ds_read_b64 v[0:1], v0
	v_lshl_add_u64 v[14:15], v[14:15], 0, v[50:51]
	s_waitcnt lgkmcnt(0)
	v_cmp_lt_u64_e32 vcc, v[0:1], v[14:15]
	s_and_saveexec_b64 s[52:53], vcc
	s_cbranch_execz .LBB18_828
; %bb.820:                              ;   in Loop: Header=BB18_81 Depth=1
	s_mov_b32 s64, 0
	s_mov_b64 s[54:55], 0
                                        ; implicit-def: $sgpr56_sgpr57
                                        ; implicit-def: $sgpr58_sgpr59
	s_branch .LBB18_822
.LBB18_821:                             ;   in Loop: Header=BB18_822 Depth=2
	s_or_b64 exec, exec, s[62:63]
	s_and_b64 vcc, exec, vcc
	s_or_b64 s[54:55], vcc, s[54:55]
	s_andn2_b64 vcc, s[56:57], exec
	s_and_b64 s[56:57], s[58:59], exec
	s_or_b64 s[56:57], vcc, s[56:57]
	s_andn2_b64 exec, exec, s[54:55]
	s_cbranch_execz .LBB18_826
.LBB18_822:                             ;   Parent Loop BB18_81 Depth=1
                                        ; =>  This Inner Loop Header: Depth=2
	s_add_i32 s64, s64, 1
	s_cmpk_lg_i32 s64, 0x2710
	s_cselect_b64 s[60:61], -1, 0
	s_and_b64 vcc, exec, s[60:61]
                                        ; implicit-def: $sgpr62_sgpr63
	s_cbranch_vccnz .LBB18_824
; %bb.823:                              ;   in Loop: Header=BB18_822 Depth=2
	s_trap 2
	ds_read_b64 v[0:1], v0
	s_andn2_b64 s[60:61], s[60:61], exec
	s_mov_b32 s64, 0
	s_mov_b64 s[62:63], -1
	s_waitcnt vmcnt(0) lgkmcnt(0)
	flat_load_dword v0, v[0:1] sc0 sc1
	s_waitcnt vmcnt(0) lgkmcnt(0)
	buffer_inv sc0 sc1
	v_cmp_eq_u32_e32 vcc, 0, v0
	s_and_b64 vcc, vcc, exec
	s_or_b64 s[60:61], s[60:61], vcc
.LBB18_824:                             ;   in Loop: Header=BB18_822 Depth=2
	s_andn2_b64 s[58:59], s[58:59], exec
	s_and_b64 s[62:63], s[62:63], exec
	s_mov_b64 vcc, -1
	s_or_b64 s[58:59], s[58:59], s[62:63]
	s_and_saveexec_b64 s[62:63], s[60:61]
	s_cbranch_execz .LBB18_821
; %bb.825:                              ;   in Loop: Header=BB18_822 Depth=2
	s_sleep 1
	s_trap 2
	ds_read_b64 v[0:1], v0
	s_andn2_b64 s[58:59], s[58:59], exec
	s_waitcnt lgkmcnt(0)
	v_cmp_ge_u64_e32 vcc, v[0:1], v[14:15]
	s_orn2_b64 vcc, vcc, exec
	s_branch .LBB18_821
.LBB18_826:                             ;   in Loop: Header=BB18_81 Depth=1
	s_or_b64 exec, exec, s[54:55]
	s_and_saveexec_b64 vcc, s[56:57]
	s_xor_b64 vcc, exec, vcc
	s_cbranch_execz .LBB18_828
; %bb.827:                              ;   in Loop: Header=BB18_81 Depth=1
	ds_write_b32 v0, v45
	s_trap 2
.LBB18_828:                             ;   in Loop: Header=BB18_81 Depth=1
	s_or_b64 exec, exec, s[52:53]
	;;#ASMSTART
	s_wakeup
	;;#ASMEND
.LBB18_829:                             ;   in Loop: Header=BB18_81 Depth=1
	s_or_b64 exec, exec, s[30:31]
.LBB18_830:                             ;   in Loop: Header=BB18_81 Depth=1
	s_andn2_saveexec_b64 s[28:29], s[28:29]
	s_cbranch_execz .LBB18_832
; %bb.831:                              ;   in Loop: Header=BB18_81 Depth=1
	s_waitcnt lgkmcnt(0)
	s_barrier
.LBB18_832:                             ;   in Loop: Header=BB18_81 Depth=1
	s_or_b64 exec, exec, s[28:29]
.LBB18_833:                             ;   in Loop: Header=BB18_81 Depth=1
	s_or_b64 exec, exec, s[24:25]
	s_trap 2
	ds_read_b32 v0, v0
	v_and_b32_e32 v1, 0x4000, v62
	v_cmp_ne_u32_e32 vcc, 0, v1
	s_xor_b64 s[24:25], s[2:3], -1
	s_and_b64 s[28:29], s[24:25], vcc
	s_and_saveexec_b64 s[24:25], s[28:29]
	s_cbranch_execz .LBB18_852
; %bb.834:                              ;   in Loop: Header=BB18_81 Depth=1
	s_and_saveexec_b64 s[28:29], s[42:43]
	s_xor_b64 s[28:29], exec, s[28:29]
	s_cbranch_execz .LBB18_849
; %bb.835:                              ;   in Loop: Header=BB18_81 Depth=1
	s_and_saveexec_b64 s[30:31], s[12:13]
	s_cbranch_execz .LBB18_848
; %bb.836:                              ;   in Loop: Header=BB18_81 Depth=1
	s_mov_b64 s[54:55], exec
	v_mbcnt_lo_u32_b32 v1, s54, 0
	v_mbcnt_hi_u32_b32 v1, s55, v1
	v_cmp_eq_u32_e32 vcc, 0, v1
	s_waitcnt lgkmcnt(0)
	s_and_saveexec_b64 s[52:53], vcc
	s_cbranch_execz .LBB18_838
; %bb.837:                              ;   in Loop: Header=BB18_81 Depth=1
	s_bcnt1_i32_b64 vcc_lo, s[54:55]
	v_mov_b32_e32 v48, vcc_lo
	ds_add_u64 v0, v[48:49]
	s_trap 2
.LBB18_838:                             ;   in Loop: Header=BB18_81 Depth=1
	s_or_b64 exec, exec, s[52:53]
	s_trap 2
	ds_read_b64 v[2:3], v0
	v_lshl_add_u64 v[14:15], v[14:15], 0, v[50:51]
	s_waitcnt lgkmcnt(0)
	v_cmp_lt_u64_e32 vcc, v[2:3], v[14:15]
	s_and_saveexec_b64 s[52:53], vcc
	s_cbranch_execz .LBB18_847
; %bb.839:                              ;   in Loop: Header=BB18_81 Depth=1
	s_mov_b32 s64, 0
	s_mov_b64 s[54:55], 0
                                        ; implicit-def: $sgpr56_sgpr57
                                        ; implicit-def: $sgpr58_sgpr59
	s_branch .LBB18_841
.LBB18_840:                             ;   in Loop: Header=BB18_841 Depth=2
	s_or_b64 exec, exec, s[62:63]
	s_and_b64 vcc, exec, vcc
	s_or_b64 s[54:55], vcc, s[54:55]
	s_andn2_b64 vcc, s[56:57], exec
	s_and_b64 s[56:57], s[58:59], exec
	s_or_b64 s[56:57], vcc, s[56:57]
	s_andn2_b64 exec, exec, s[54:55]
	s_cbranch_execz .LBB18_845
.LBB18_841:                             ;   Parent Loop BB18_81 Depth=1
                                        ; =>  This Inner Loop Header: Depth=2
	s_add_i32 s64, s64, 1
	s_cmpk_lg_i32 s64, 0x2710
	s_cselect_b64 s[60:61], -1, 0
	s_and_b64 vcc, exec, s[60:61]
                                        ; implicit-def: $sgpr62_sgpr63
	s_cbranch_vccnz .LBB18_843
; %bb.842:                              ;   in Loop: Header=BB18_841 Depth=2
	s_trap 2
	ds_read_b64 v[2:3], v0
	s_andn2_b64 s[60:61], s[60:61], exec
	s_mov_b32 s64, 0
	s_mov_b64 s[62:63], -1
	s_waitcnt vmcnt(0) lgkmcnt(0)
	flat_load_dword v1, v[2:3] sc0 sc1
	s_waitcnt vmcnt(0) lgkmcnt(0)
	buffer_inv sc0 sc1
	v_cmp_eq_u32_e32 vcc, 0, v1
	s_and_b64 vcc, vcc, exec
	s_or_b64 s[60:61], s[60:61], vcc
.LBB18_843:                             ;   in Loop: Header=BB18_841 Depth=2
	s_andn2_b64 s[58:59], s[58:59], exec
	s_and_b64 s[62:63], s[62:63], exec
	s_mov_b64 vcc, -1
	s_or_b64 s[58:59], s[58:59], s[62:63]
	s_and_saveexec_b64 s[62:63], s[60:61]
	s_cbranch_execz .LBB18_840
; %bb.844:                              ;   in Loop: Header=BB18_841 Depth=2
	s_sleep 1
	s_trap 2
	ds_read_b64 v[2:3], v0
	s_andn2_b64 s[58:59], s[58:59], exec
	s_waitcnt lgkmcnt(0)
	v_cmp_ge_u64_e32 vcc, v[2:3], v[14:15]
	s_orn2_b64 vcc, vcc, exec
	s_branch .LBB18_840
.LBB18_845:                             ;   in Loop: Header=BB18_81 Depth=1
	s_or_b64 exec, exec, s[54:55]
	s_and_saveexec_b64 vcc, s[56:57]
	s_xor_b64 vcc, exec, vcc
	s_cbranch_execz .LBB18_847
; %bb.846:                              ;   in Loop: Header=BB18_81 Depth=1
	ds_write_b32 v0, v45
	s_trap 2
.LBB18_847:                             ;   in Loop: Header=BB18_81 Depth=1
	s_or_b64 exec, exec, s[52:53]
	;;#ASMSTART
	s_wakeup
	;;#ASMEND
.LBB18_848:                             ;   in Loop: Header=BB18_81 Depth=1
	s_or_b64 exec, exec, s[30:31]
.LBB18_849:                             ;   in Loop: Header=BB18_81 Depth=1
	s_andn2_saveexec_b64 s[28:29], s[28:29]
	s_cbranch_execz .LBB18_851
; %bb.850:                              ;   in Loop: Header=BB18_81 Depth=1
	s_waitcnt lgkmcnt(0)
	s_barrier
.LBB18_851:                             ;   in Loop: Header=BB18_81 Depth=1
	s_or_b64 exec, exec, s[28:29]
.LBB18_852:                             ;   in Loop: Header=BB18_81 Depth=1
	s_or_b64 exec, exec, s[24:25]
	s_trap 2
	s_waitcnt lgkmcnt(0)
	ds_read_b64 v[2:3], v0
	v_min_i32_e32 v17, v17, v31
	s_waitcnt lgkmcnt(0)
	v_readfirstlane_b32 s24, v2
	v_readfirstlane_b32 s25, v3
	s_cmp_eq_u64 s[24:25], 0
	s_cselect_b64 s[24:25], -1, 0
	s_or_b64 s[28:29], s[24:25], s[24:25]
	s_mov_b64 s[24:25], 0
	s_and_b64 vcc, exec, s[28:29]
	s_cbranch_vccnz .LBB18_859
; %bb.853:                              ;   in Loop: Header=BB18_81 Depth=1
	s_mov_b64 s[24:25], -1
	s_and_saveexec_b64 s[28:29], s[18:19]
	s_cbranch_execz .LBB18_855
; %bb.854:                              ;   in Loop: Header=BB18_81 Depth=1
	ds_read_b32 v1, v0 offset:720
	s_waitcnt lgkmcnt(0)
	v_and_b32_e32 v1, 15, v1
	v_cmp_eq_u32_e32 vcc, 0, v1
	s_orn2_b64 s[24:25], vcc, exec
.LBB18_855:                             ;   in Loop: Header=BB18_81 Depth=1
	s_or_b64 exec, exec, s[28:29]
	s_and_saveexec_b64 s[28:29], s[14:15]
	s_cbranch_execz .LBB18_857
; %bb.856:                              ;   in Loop: Header=BB18_81 Depth=1
	ds_read_b32 v1, v0 offset:784
	s_waitcnt lgkmcnt(0)
	v_and_b32_e32 v1, 15, v1
	v_cmp_eq_u32_e32 vcc, 0, v1
	s_and_b64 vcc, s[24:25], vcc
	s_andn2_b64 s[24:25], s[24:25], exec
	s_and_b64 vcc, vcc, exec
	s_or_b64 s[24:25], s[24:25], vcc
.LBB18_857:                             ;   in Loop: Header=BB18_81 Depth=1
	s_or_b64 exec, exec, s[28:29]
	s_xor_b64 s[24:25], s[24:25], -1
	v_cmp_eq_u32_e32 vcc, 0, v0
	v_cndmask_b32_e64 v0, 0, 1, s[24:25]
	;;#ASMSTART
	;;#ASMEND
	v_mov_b32_e32 v1, 0
	v_cndmask_b32_e32 v48, 0, v17, vcc
	v_accvgpr_write_b32 a51, v17
	s_mov_b64 s[30:31], -1
	v_cmp_ne_u32_e32 vcc, 0, v0
	v_mov_b32_e32 v17, v48
	v_mov_b32_e32 v0, v61
	;; [unrolled: 1-line block ×3, first 2 shown]
	s_cbranch_vccz .LBB18_871
; %bb.858:                              ;   in Loop: Header=BB18_81 Depth=1
	s_and_saveexec_b64 s[24:25], s[30:31]
	s_cbranch_execnz .LBB18_884
	s_branch .LBB18_892
.LBB18_859:                             ;   in Loop: Header=BB18_81 Depth=1
	s_and_saveexec_b64 s[28:29], s[4:5]
	s_cbranch_execz .LBB18_893
.LBB18_860:                             ;   in Loop: Header=BB18_81 Depth=1
	s_and_saveexec_b64 vcc, s[42:43]
	s_xor_b64 s[30:31], exec, vcc
	s_cbranch_execz .LBB18_901
; %bb.861:                              ;   in Loop: Header=BB18_81 Depth=1
	s_and_saveexec_b64 s[52:53], s[12:13]
	s_cbranch_execz .LBB18_900
; %bb.862:                              ;   in Loop: Header=BB18_81 Depth=1
	s_mov_b64 s[56:57], exec
	v_mbcnt_lo_u32_b32 v0, s56, 0
	v_mbcnt_hi_u32_b32 v0, s57, v0
	v_cmp_eq_u32_e32 vcc, 0, v0
	s_waitcnt lgkmcnt(0)
	s_and_saveexec_b64 s[54:55], vcc
	s_cbranch_execz .LBB18_864
; %bb.863:                              ;   in Loop: Header=BB18_81 Depth=1
	s_bcnt1_i32_b64 vcc_lo, s[56:57]
	v_mov_b32_e32 v48, vcc_lo
	ds_add_u64 v0, v[48:49]
	s_trap 2
.LBB18_864:                             ;   in Loop: Header=BB18_81 Depth=1
	s_or_b64 exec, exec, s[54:55]
	s_trap 2
	ds_read_b64 v[0:1], v0
	v_lshl_add_u64 v[14:15], v[14:15], 0, v[50:51]
	s_waitcnt lgkmcnt(0)
	v_cmp_lt_u64_e32 vcc, v[0:1], v[14:15]
	s_and_saveexec_b64 s[54:55], vcc
	s_cbranch_execz .LBB18_899
; %bb.865:                              ;   in Loop: Header=BB18_81 Depth=1
	s_mov_b32 s66, 0
	s_mov_b64 s[56:57], 0
                                        ; implicit-def: $sgpr58_sgpr59
                                        ; implicit-def: $sgpr60_sgpr61
	s_branch .LBB18_867
.LBB18_866:                             ;   in Loop: Header=BB18_867 Depth=2
	s_or_b64 exec, exec, s[64:65]
	s_and_b64 vcc, exec, vcc
	s_or_b64 s[56:57], vcc, s[56:57]
	s_andn2_b64 vcc, s[58:59], exec
	s_and_b64 s[58:59], s[60:61], exec
	s_or_b64 s[58:59], vcc, s[58:59]
	s_andn2_b64 exec, exec, s[56:57]
	s_cbranch_execz .LBB18_897
.LBB18_867:                             ;   Parent Loop BB18_81 Depth=1
                                        ; =>  This Inner Loop Header: Depth=2
	s_add_i32 s66, s66, 1
	s_cmpk_lg_i32 s66, 0x2710
	s_cselect_b64 s[62:63], -1, 0
	s_and_b64 vcc, exec, s[62:63]
                                        ; implicit-def: $sgpr64_sgpr65
	s_cbranch_vccnz .LBB18_869
; %bb.868:                              ;   in Loop: Header=BB18_867 Depth=2
	s_trap 2
	ds_read_b64 v[0:1], v0
	s_andn2_b64 s[62:63], s[62:63], exec
	s_mov_b32 s66, 0
	s_mov_b64 s[64:65], -1
	s_waitcnt vmcnt(0) lgkmcnt(0)
	flat_load_dword v0, v[0:1] sc0 sc1
	s_waitcnt vmcnt(0) lgkmcnt(0)
	buffer_inv sc0 sc1
	v_cmp_eq_u32_e32 vcc, 0, v0
	s_and_b64 vcc, vcc, exec
	s_or_b64 s[62:63], s[62:63], vcc
.LBB18_869:                             ;   in Loop: Header=BB18_867 Depth=2
	s_andn2_b64 s[60:61], s[60:61], exec
	s_and_b64 s[64:65], s[64:65], exec
	s_mov_b64 vcc, -1
	s_or_b64 s[60:61], s[60:61], s[64:65]
	s_and_saveexec_b64 s[64:65], s[62:63]
	s_cbranch_execz .LBB18_866
; %bb.870:                              ;   in Loop: Header=BB18_867 Depth=2
	s_sleep 1
	s_trap 2
	ds_read_b64 v[0:1], v0
	s_andn2_b64 s[60:61], s[60:61], exec
	s_waitcnt lgkmcnt(0)
	v_cmp_ge_u64_e32 vcc, v[0:1], v[14:15]
	s_orn2_b64 vcc, vcc, exec
	s_branch .LBB18_866
.LBB18_871:                             ;   in Loop: Header=BB18_81 Depth=1
	v_ashrrev_i32_e32 v0, 31, v48
	v_lshrrev_b32_e32 v0, 19, v0
	v_add_u32_e32 v0, v48, v0
	v_ashrrev_i32_e32 v6, 13, v0
	v_sub_u32_e32 v7, v6, v30
	v_cmp_lt_i32_e32 vcc, 0, v7
	s_and_saveexec_b64 s[28:29], vcc
	s_cbranch_execz .LBB18_875
; %bb.872:                              ;   in Loop: Header=BB18_81 Depth=1
	s_trap 2
	ds_read_b64 v[2:3], v0
	scratch_load_dwordx2 v[0:1], off, s33 offset:168 ; 8-byte Folded Reload
	s_mov_b64 s[30:31], 0
	v_mov_b64_e32 v[16:17], v[20:21]
	s_waitcnt lgkmcnt(0)
	v_mov_b64_e32 v[4:5], v[2:3]
.LBB18_873:                             ;   Parent Loop BB18_81 Depth=1
                                        ; =>  This Inner Loop Header: Depth=2
	s_waitcnt vmcnt(0)
	v_lshl_add_u64 v[12:13], v[0:1], 0, v[4:5]
	global_load_dwordx4 v[8:11], v[12:13], off nt
	global_load_dwordx4 v[18:21], v[12:13], off offset:1024 nt
	global_load_dwordx4 v[22:25], v[12:13], off offset:2048 nt
	;; [unrolled: 1-line block ×3, first 2 shown]
	v_add_co_u32_e32 v12, vcc, 0x1000, v12
	v_sub_u32_e32 v7, v7, v50
	s_nop 0
	v_addc_co_u32_e32 v13, vcc, 0, v13, vcc
	global_load_dwordx4 v[32:35], v[12:13], off nt
	global_load_dwordx4 v[52:55], v[12:13], off offset:1024 nt
	global_load_dwordx4 v[40:43], v[12:13], off offset:2048 nt
	;; [unrolled: 1-line block ×3, first 2 shown]
	v_lshl_add_u64 v[12:13], v[0:1], 0, v[2:3]
	v_cmp_gt_i32_e64 s[24:25], 1, v7
	v_lshl_add_u64 v[4:5], v[4:5], 0, v[16:17]
	v_lshl_add_u64 v[2:3], v[2:3], 0, v[16:17]
	v_add_co_u32_e32 v44, vcc, 0x1000, v12
	s_or_b64 s[30:31], s[24:25], s[30:31]
	s_nop 0
	v_addc_co_u32_e32 v45, vcc, 0, v13, vcc
	s_waitcnt vmcnt(7)
	global_store_dwordx4 v[12:13], v[8:11], off nt
	s_waitcnt vmcnt(7)
	global_store_dwordx4 v[12:13], v[18:21], off offset:1024 nt
	s_waitcnt vmcnt(7)
	global_store_dwordx4 v[12:13], v[22:25], off offset:2048 nt
	;; [unrolled: 2-line block ×3, first 2 shown]
	s_waitcnt vmcnt(7)
	global_store_dwordx4 v[44:45], v[32:35], off nt
	s_waitcnt vmcnt(7)
	global_store_dwordx4 v[44:45], v[52:55], off offset:1024 nt
	s_waitcnt vmcnt(7)
	global_store_dwordx4 v[44:45], v[40:43], off offset:2048 nt
	;; [unrolled: 2-line block ×3, first 2 shown]
	s_andn2_b64 exec, exec, s[30:31]
	s_cbranch_execnz .LBB18_873
; %bb.874:                              ;   in Loop: Header=BB18_81 Depth=1
	s_or_b64 exec, exec, s[30:31]
	v_accvgpr_read_b32 v35, a3
	v_accvgpr_read_b32 v53, a7
	;; [unrolled: 1-line block ×5, first 2 shown]
	v_accvgpr_mov_b32 a55, a27
	v_accvgpr_read_b32 v55, a35
	v_accvgpr_read_b32 v28, a36
	;; [unrolled: 1-line block ×11, first 2 shown]
	v_accvgpr_mov_b32 a54, a26
	v_accvgpr_read_b32 v43, a23
	v_accvgpr_read_b32 v42, a28
	v_mov_b32_e32 v45, 1
	v_accvgpr_read_b32 v60, a29
	v_accvgpr_read_b32 v54, a34
	v_accvgpr_read_b32 v29, a37
	v_accvgpr_read_b32 v30, a40
	v_accvgpr_read_b32 v23, a43
	v_mov_b64_e32 v[20:21], v[16:17]
	v_accvgpr_read_b32 v19, a47
	v_accvgpr_read_b32 v31, a50
.LBB18_875:                             ;   in Loop: Header=BB18_81 Depth=1
	s_or_b64 exec, exec, s[28:29]
	v_lshlrev_b32_e32 v6, 13, v6
	v_cmp_ne_u32_e32 vcc, v48, v6
	s_mov_b64 s[30:31], 0
	v_mov_b32_e32 v1, 0
                                        ; implicit-def: $vgpr17
                                        ; implicit-def: $vgpr0
                                        ; implicit-def: $vgpr4
	s_and_saveexec_b64 s[28:29], vcc
	s_cbranch_execz .LBB18_883
; %bb.876:                              ;   in Loop: Header=BB18_81 Depth=1
	v_lshlrev_b32_e32 v0, 6, v7
	v_accvgpr_read_b32 v1, a41
	v_sub_u32_e32 v0, v1, v0
	v_sub_u32_e32 v2, v48, v6
	v_ashrrev_i32_e32 v1, 31, v0
	v_lshrrev_b32_e32 v1, 26, v1
	v_ashrrev_i32_e32 v4, 31, v2
	v_add_u32_e32 v1, v0, v1
	v_lshrrev_b32_e32 v4, 22, v4
	v_ashrrev_i32_e32 v3, 6, v1
	v_and_b32_e32 v1, 0xffffffc0, v1
	v_add_u32_e32 v4, v2, v4
	v_sub_u32_e32 v7, v0, v1
	v_and_b32_e32 v8, 0xfffffc00, v4
	v_lshlrev_b32_e32 v0, 4, v7
	v_sub_u32_e32 v10, v2, v8
	v_lshl_add_u32 v1, v3, 10, v0
	v_ashrrev_i32_e32 v5, 10, v4
	v_cmp_lt_i32_e32 vcc, 15, v10
	v_sub_u32_e32 v0, v2, v1
	s_nop 0
	v_addc_co_u32_e64 v2, s[24:25], 0, v5, vcc
	v_sub_u32_e32 v9, v2, v3
	v_cmp_lt_i32_e64 s[24:25], 15, v0
	s_and_saveexec_b64 s[30:31], s[24:25]
	s_cbranch_execz .LBB18_880
; %bb.877:                              ;   in Loop: Header=BB18_81 Depth=1
	s_trap 2
	ds_read_b64 v[2:3], v0
	v_add_u32_e32 v4, v1, v6
	v_ashrrev_i32_e32 v5, 31, v4
	s_mov_b64 s[52:53], 0
	v_mov_b64_e32 v[16:17], v[18:19]
.LBB18_878:                             ;   Parent Loop BB18_81 Depth=1
                                        ; =>  This Inner Loop Header: Depth=2
	s_waitcnt vmcnt(0) lgkmcnt(0)
	v_lshl_add_u64 v[12:13], v[2:3], 0, v[4:5]
	global_load_dwordx4 v[18:21], v[12:13], off nt
	v_sub_u32_e32 v0, v0, v60
	v_cmp_gt_i32_e64 s[24:25], 16, v0
	v_sub_u32_e32 v9, v9, v50
	v_lshl_add_u64 v[4:5], v[4:5], 0, v[16:17]
	s_or_b64 s[52:53], s[24:25], s[52:53]
	s_waitcnt vmcnt(0)
	global_store_dwordx4 v[12:13], v[18:21], off nt
	s_andn2_b64 exec, exec, s[52:53]
	s_cbranch_execnz .LBB18_878
; %bb.879:                              ;   in Loop: Header=BB18_81 Depth=1
	s_or_b64 exec, exec, s[52:53]
	v_accvgpr_read_b32 v20, a44
	v_accvgpr_read_b32 v21, a45
	v_mov_b64_e32 v[18:19], v[16:17]
.LBB18_880:                             ;   in Loop: Header=BB18_81 Depth=1
	s_or_b64 exec, exec, s[30:31]
	v_and_b32_e32 v2, 15, v48
	v_cndmask_b32_e32 v17, v10, v2, vcc
	v_cmp_ne_u32_e64 s[24:25], 0, v17
	s_mov_b64 s[30:31], 0
	v_mov_b32_e32 v1, 0
                                        ; implicit-def: $vgpr0
                                        ; implicit-def: $vgpr4
	s_and_saveexec_b64 s[52:53], s[24:25]
	s_cbranch_execz .LBB18_882
; %bb.881:                              ;   in Loop: Header=BB18_81 Depth=1
	v_sub_u32_e32 v0, v10, v2
	v_cndmask_b32_e32 v0, 0, v0, vcc
	v_cmp_lt_i32_e32 vcc, 0, v9
	v_add3_u32 v1, v8, v6, v0
	s_mov_b64 s[30:31], exec
	v_cndmask_b32_e32 v0, 0, v50, vcc
	v_sub_u32_e32 v0, v0, v9
	v_lshl_add_u32 v0, v0, 6, v7
	v_ashrrev_i32_e32 v2, 31, v0
	v_lshrrev_b32_e32 v2, 26, v2
	v_add_u32_e32 v2, v0, v2
	v_ashrrev_i32_e32 v4, 6, v2
.LBB18_882:                             ;   in Loop: Header=BB18_81 Depth=1
	s_or_b64 exec, exec, s[52:53]
	s_and_b64 s[30:31], s[30:31], exec
.LBB18_883:                             ;   in Loop: Header=BB18_81 Depth=1
	s_or_b64 exec, exec, s[28:29]
	s_and_saveexec_b64 s[24:25], s[30:31]
	s_cbranch_execz .LBB18_892
.LBB18_884:                             ;   in Loop: Header=BB18_81 Depth=1
	v_ashrrev_i32_e32 v2, 31, v17
	v_lshrrev_b32_e32 v2, 21, v2
	v_add_u32_e32 v2, v17, v2
	s_waitcnt vmcnt(0)
	v_ashrrev_i32_e32 v13, 11, v2
	v_sub_u32_e32 v7, v13, v4
	v_ashrrev_i32_e32 v2, 31, v0
	v_cmp_lt_i32_e32 vcc, 0, v7
	v_lshrrev_b32_e32 v12, 26, v2
	s_and_saveexec_b64 s[28:29], vcc
	s_cbranch_execz .LBB18_888
; %bb.885:                              ;   in Loop: Header=BB18_81 Depth=1
	s_trap 2
	ds_read_b64 v[2:3], v0
	v_add_u32_e32 v5, v0, v12
	v_and_b32_e32 v5, 0xffffffc0, v5
	v_sub_u32_e32 v5, v0, v5
	v_lshlrev_b32_e32 v4, 11, v4
	v_add3_u32 v4, v1, v5, v4
	v_mov_b32_e32 v16, v48
	v_ashrrev_i32_e32 v5, 31, v4
	s_mov_b64 s[30:31], 0
	s_waitcnt lgkmcnt(0)
	v_mov_b64_e32 v[8:9], v[2:3]
.LBB18_886:                             ;   Parent Loop BB18_81 Depth=1
                                        ; =>  This Inner Loop Header: Depth=2
	v_lshl_add_u64 v[10:11], v[4:5], 0, v[8:9]
	flat_load_ubyte v6, v[10:11] nt
	flat_load_ubyte v18, v[10:11] offset:64 nt
	flat_load_ubyte v19, v[10:11] offset:128 nt
	;; [unrolled: 1-line block ×31, first 2 shown]
	v_sub_u32_e32 v7, v7, v50
	v_cmp_gt_i32_e32 vcc, 1, v7
	v_lshl_add_u64 v[10:11], v[4:5], 0, v[2:3]
	v_lshl_add_u64 v[8:9], v[8:9], 0, v[56:57]
	;; [unrolled: 1-line block ×3, first 2 shown]
	s_or_b64 s[30:31], vcc, s[30:31]
	s_waitcnt vmcnt(0) lgkmcnt(0)
	flat_store_byte v[10:11], v6 nt
	flat_store_byte v[10:11], v18 offset:64 nt
	flat_store_byte v[10:11], v19 offset:128 nt
	;; [unrolled: 1-line block ×31, first 2 shown]
	s_andn2_b64 exec, exec, s[30:31]
	s_cbranch_execnz .LBB18_886
; %bb.887:                              ;   in Loop: Header=BB18_81 Depth=1
	s_or_b64 exec, exec, s[30:31]
	v_accvgpr_read_b32 v35, a3
	v_accvgpr_read_b32 v53, a7
	v_accvgpr_read_b32 v33, a15
	v_accvgpr_read_b32 v41, a21
	v_accvgpr_read_b32 v59, a25
	v_accvgpr_mov_b32 a55, a27
	v_accvgpr_read_b32 v55, a35
	v_accvgpr_read_b32 v28, a36
	;; [unrolled: 1-line block ×12, first 2 shown]
	v_accvgpr_mov_b32 a54, a26
	v_accvgpr_read_b32 v43, a23
	v_accvgpr_read_b32 v42, a28
	v_mov_b32_e32 v45, 1
	v_accvgpr_read_b32 v60, a29
	v_accvgpr_read_b32 v54, a34
	;; [unrolled: 1-line block ×8, first 2 shown]
	v_mov_b32_e32 v48, v16
.LBB18_888:                             ;   in Loop: Header=BB18_81 Depth=1
	s_or_b64 exec, exec, s[28:29]
	v_lshlrev_b32_e32 v2, 11, v13
	v_cmp_ne_u32_e32 vcc, v17, v2
	s_and_b64 exec, exec, vcc
	s_cbranch_execz .LBB18_892
; %bb.889:                              ;   in Loop: Header=BB18_81 Depth=1
	v_add_u32_e32 v3, v0, v12
	v_and_b32_e32 v3, 0xffffffc0, v3
	v_sub_u32_e32 v0, v0, v3
	v_lshlrev_b32_e32 v3, 6, v7
	v_sub_u32_e32 v0, v0, v3
	v_add_u32_e32 v4, v2, v0
	v_sub_u32_e32 v0, v17, v4
	v_cmp_lt_i32_e32 vcc, 0, v0
	s_and_b64 exec, exec, vcc
	s_cbranch_execz .LBB18_892
; %bb.890:                              ;   in Loop: Header=BB18_81 Depth=1
	s_trap 2
	ds_read_b64 v[2:3], v0
	v_add_u32_e32 v4, v4, v1
	v_ashrrev_i32_e32 v5, 31, v4
	s_mov_b64 s[28:29], 0
.LBB18_891:                             ;   Parent Loop BB18_81 Depth=1
                                        ; =>  This Inner Loop Header: Depth=2
	s_waitcnt lgkmcnt(0)
	v_lshl_add_u64 v[6:7], v[2:3], 0, v[4:5]
	flat_load_ubyte v1, v[6:7] nt
	v_sub_u32_e32 v0, v0, v42
	v_cmp_gt_i32_e32 vcc, 1, v0
	v_lshl_add_u64 v[4:5], v[4:5], 0, v[22:23]
	s_or_b64 s[28:29], vcc, s[28:29]
	s_waitcnt vmcnt(0) lgkmcnt(0)
	flat_store_byte v[6:7], v1 nt
	s_andn2_b64 exec, exec, s[28:29]
	s_cbranch_execnz .LBB18_891
.LBB18_892:                             ;   in Loop: Header=BB18_81 Depth=1
	s_or_b64 exec, exec, s[24:25]
	scratch_load_dwordx2 v[12:13], off, s33 offset:168 ; 8-byte Folded Reload
	v_cmp_lt_i32_e64 s[24:25], 0, v48
	v_accvgpr_read_b32 v17, a51
	s_and_saveexec_b64 s[28:29], s[4:5]
	s_cbranch_execnz .LBB18_860
.LBB18_893:                             ;   in Loop: Header=BB18_81 Depth=1
	s_or_b64 exec, exec, s[28:29]
	s_and_saveexec_b64 s[28:29], s[20:21]
	s_xor_b64 s[28:29], exec, s[28:29]
	s_cbranch_execz .LBB18_904
.LBB18_894:                             ;   in Loop: Header=BB18_81 Depth=1
	v_and_b32_e32 v0, 16, v62
	v_cmp_ne_u32_e32 vcc, 0, v0
	s_and_b64 vcc, vcc, s[24:25]
	s_and_saveexec_b64 s[24:25], vcc
	s_cbranch_execz .LBB18_896
; %bb.895:                              ;   in Loop: Header=BB18_81 Depth=1
	buffer_wbl2 sc1
	s_waitcnt vmcnt(0) lgkmcnt(0)
	buffer_inv sc1
.LBB18_896:                             ;   in Loop: Header=BB18_81 Depth=1
	s_or_b64 exec, exec, s[24:25]
	s_andn2_saveexec_b64 s[24:25], s[28:29]
	s_cbranch_execz .LBB18_923
	s_branch .LBB18_905
.LBB18_897:                             ;   in Loop: Header=BB18_81 Depth=1
	s_or_b64 exec, exec, s[56:57]
	s_and_saveexec_b64 vcc, s[58:59]
	s_xor_b64 vcc, exec, vcc
	s_cbranch_execz .LBB18_899
; %bb.898:                              ;   in Loop: Header=BB18_81 Depth=1
	ds_write_b32 v0, v45
	s_trap 2
.LBB18_899:                             ;   in Loop: Header=BB18_81 Depth=1
	s_or_b64 exec, exec, s[54:55]
	;;#ASMSTART
	s_wakeup
	;;#ASMEND
.LBB18_900:                             ;   in Loop: Header=BB18_81 Depth=1
	s_or_b64 exec, exec, s[52:53]
.LBB18_901:                             ;   in Loop: Header=BB18_81 Depth=1
	s_andn2_saveexec_b64 vcc, s[30:31]
	s_cbranch_execz .LBB18_903
; %bb.902:                              ;   in Loop: Header=BB18_81 Depth=1
	s_waitcnt lgkmcnt(0)
	s_barrier
.LBB18_903:                             ;   in Loop: Header=BB18_81 Depth=1
	s_or_b64 exec, exec, vcc
	s_or_b64 exec, exec, s[28:29]
	s_and_saveexec_b64 s[28:29], s[20:21]
	s_xor_b64 s[28:29], exec, s[28:29]
	s_cbranch_execnz .LBB18_894
.LBB18_904:                             ;   in Loop: Header=BB18_81 Depth=1
	s_andn2_saveexec_b64 s[24:25], s[28:29]
	s_cbranch_execz .LBB18_923
.LBB18_905:                             ;   in Loop: Header=BB18_81 Depth=1
	s_and_saveexec_b64 s[28:29], s[42:43]
	s_xor_b64 s[28:29], exec, s[28:29]
	s_cbranch_execz .LBB18_920
; %bb.906:                              ;   in Loop: Header=BB18_81 Depth=1
	s_and_saveexec_b64 s[30:31], s[12:13]
	s_cbranch_execz .LBB18_919
; %bb.907:                              ;   in Loop: Header=BB18_81 Depth=1
	s_mov_b64 s[54:55], exec
	v_mbcnt_lo_u32_b32 v0, s54, 0
	v_mbcnt_hi_u32_b32 v0, s55, v0
	v_cmp_eq_u32_e32 vcc, 0, v0
	;;#ASMSTART
	s_waitcnt lgkmcnt(0) vmcnt(0)
	;;#ASMEND
	s_and_saveexec_b64 s[52:53], vcc
	s_cbranch_execz .LBB18_909
; %bb.908:                              ;   in Loop: Header=BB18_81 Depth=1
	s_bcnt1_i32_b64 vcc_lo, s[54:55]
	v_mov_b32_e32 v48, vcc_lo
	ds_add_u64 v0, v[48:49]
	s_trap 2
.LBB18_909:                             ;   in Loop: Header=BB18_81 Depth=1
	s_or_b64 exec, exec, s[52:53]
	s_trap 2
	ds_read_b64 v[0:1], v0
	v_lshl_add_u64 v[14:15], v[14:15], 0, v[50:51]
	s_waitcnt lgkmcnt(0)
	v_cmp_lt_u64_e32 vcc, v[0:1], v[14:15]
	s_and_saveexec_b64 s[52:53], vcc
	s_cbranch_execz .LBB18_918
; %bb.910:                              ;   in Loop: Header=BB18_81 Depth=1
	s_mov_b32 s64, 0
	s_mov_b64 s[54:55], 0
                                        ; implicit-def: $sgpr56_sgpr57
                                        ; implicit-def: $sgpr58_sgpr59
	s_branch .LBB18_912
.LBB18_911:                             ;   in Loop: Header=BB18_912 Depth=2
	s_or_b64 exec, exec, s[62:63]
	s_and_b64 vcc, exec, vcc
	s_or_b64 s[54:55], vcc, s[54:55]
	s_andn2_b64 vcc, s[56:57], exec
	s_and_b64 s[56:57], s[58:59], exec
	s_or_b64 s[56:57], vcc, s[56:57]
	s_andn2_b64 exec, exec, s[54:55]
	s_cbranch_execz .LBB18_916
.LBB18_912:                             ;   Parent Loop BB18_81 Depth=1
                                        ; =>  This Inner Loop Header: Depth=2
	s_add_i32 s64, s64, 1
	s_cmpk_lg_i32 s64, 0x2710
	s_cselect_b64 s[60:61], -1, 0
	s_and_b64 vcc, exec, s[60:61]
                                        ; implicit-def: $sgpr62_sgpr63
	s_cbranch_vccnz .LBB18_914
; %bb.913:                              ;   in Loop: Header=BB18_912 Depth=2
	s_trap 2
	ds_read_b64 v[0:1], v0
	s_andn2_b64 s[60:61], s[60:61], exec
	s_mov_b32 s64, 0
	s_mov_b64 s[62:63], -1
	s_waitcnt vmcnt(0) lgkmcnt(0)
	flat_load_dword v0, v[0:1] sc0 sc1
	s_waitcnt vmcnt(0) lgkmcnt(0)
	buffer_inv sc0 sc1
	v_cmp_eq_u32_e32 vcc, 0, v0
	s_and_b64 vcc, vcc, exec
	s_or_b64 s[60:61], s[60:61], vcc
.LBB18_914:                             ;   in Loop: Header=BB18_912 Depth=2
	s_andn2_b64 s[58:59], s[58:59], exec
	s_and_b64 s[62:63], s[62:63], exec
	s_mov_b64 vcc, -1
	s_or_b64 s[58:59], s[58:59], s[62:63]
	s_and_saveexec_b64 s[62:63], s[60:61]
	s_cbranch_execz .LBB18_911
; %bb.915:                              ;   in Loop: Header=BB18_912 Depth=2
	s_sleep 1
	s_trap 2
	ds_read_b64 v[0:1], v0
	s_andn2_b64 s[58:59], s[58:59], exec
	s_waitcnt lgkmcnt(0)
	v_cmp_ge_u64_e32 vcc, v[0:1], v[14:15]
	s_orn2_b64 vcc, vcc, exec
	s_branch .LBB18_911
.LBB18_916:                             ;   in Loop: Header=BB18_81 Depth=1
	s_or_b64 exec, exec, s[54:55]
	s_and_saveexec_b64 vcc, s[56:57]
	s_xor_b64 vcc, exec, vcc
	s_cbranch_execz .LBB18_918
; %bb.917:                              ;   in Loop: Header=BB18_81 Depth=1
	ds_write_b32 v0, v45
	s_trap 2
.LBB18_918:                             ;   in Loop: Header=BB18_81 Depth=1
	s_or_b64 exec, exec, s[52:53]
	;;#ASMSTART
	s_wakeup
	;;#ASMEND
.LBB18_919:                             ;   in Loop: Header=BB18_81 Depth=1
	s_or_b64 exec, exec, s[30:31]
.LBB18_920:                             ;   in Loop: Header=BB18_81 Depth=1
	s_andn2_saveexec_b64 s[28:29], s[28:29]
	s_cbranch_execz .LBB18_922
; %bb.921:                              ;   in Loop: Header=BB18_81 Depth=1
	;;#ASMSTART
	s_waitcnt lgkmcnt(0) vmcnt(0)
	;;#ASMEND
	s_barrier
.LBB18_922:                             ;   in Loop: Header=BB18_81 Depth=1
	s_or_b64 exec, exec, s[28:29]
.LBB18_923:                             ;   in Loop: Header=BB18_81 Depth=1
	s_or_b64 exec, exec, s[24:25]
	v_and_b32_e32 v0, 32, v62
	v_cmp_ne_u32_e32 vcc, 0, v0
	s_and_saveexec_b64 s[24:25], vcc
	s_cbranch_execz .LBB18_925
; %bb.924:                              ;   in Loop: Header=BB18_81 Depth=1
	v_lshl_add_u64 v[38:39], v[38:39], 0, 4
	flat_store_dwordx2 v[26:27], v[38:39] sc0 sc1
.LBB18_925:                             ;   in Loop: Header=BB18_81 Depth=1
	s_or_b64 exec, exec, s[24:25]
	v_mov_b32_e32 v8, v17
.LBB18_926:                             ;   in Loop: Header=BB18_81 Depth=1
	s_or_b64 exec, exec, s[26:27]
	s_and_saveexec_b64 s[24:25], s[22:23]
	s_cbranch_execz .LBB18_80
; %bb.927:                              ;   in Loop: Header=BB18_81 Depth=1
	v_and_b32_e32 v0, 4, v62
	v_cmp_ne_u32_e32 vcc, 0, v0
	s_mov_b64 s[26:27], -1
	s_and_saveexec_b64 s[22:23], vcc
	s_cbranch_execz .LBB18_937
; %bb.928:                              ;   in Loop: Header=BB18_81 Depth=1
	v_lshl_add_u64 v[2:3], v[38:39], 0, 4
	v_cmp_lt_u64_e32 vcc, v[36:37], v[2:3]
	v_mov_b32_e32 v0, 1
	s_and_saveexec_b64 s[26:27], vcc
	s_cbranch_execz .LBB18_952
; %bb.929:                              ;   in Loop: Header=BB18_81 Depth=1
	s_mov_b64 s[28:29], 0
	v_mov_b32_e32 v0, 0
                                        ; implicit-def: $sgpr30_sgpr31
	s_branch .LBB18_933
.LBB18_930:                             ;   in Loop: Header=BB18_933 Depth=2
	s_or_b64 exec, exec, s[58:59]
	v_mov_b32_e32 v1, 0
	s_orn2_b64 s[56:57], s[56:57], exec
.LBB18_931:                             ;   in Loop: Header=BB18_933 Depth=2
	s_or_b64 exec, exec, s[54:55]
	s_andn2_b64 vcc, s[30:31], exec
	s_and_b64 s[30:31], s[56:57], exec
	s_or_b64 s[30:31], vcc, s[30:31]
	v_mov_b32_e32 v0, v1
.LBB18_932:                             ;   in Loop: Header=BB18_933 Depth=2
	s_or_b64 exec, exec, s[52:53]
	s_waitcnt vmcnt(0) lgkmcnt(0)
	v_cmp_ge_u64_e32 vcc, v[36:37], v[2:3]
	s_xor_b64 s[52:53], s[30:31], -1
	s_or_b64 vcc, s[52:53], vcc
	s_and_b64 vcc, exec, vcc
	s_or_b64 s[28:29], vcc, s[28:29]
	s_andn2_b64 exec, exec, s[28:29]
	s_cbranch_execz .LBB18_951
.LBB18_933:                             ;   Parent Loop BB18_81 Depth=1
                                        ; =>  This Inner Loop Header: Depth=2
	s_sleep 1
	flat_load_dwordx2 v[36:37], v[26:27] sc0 sc1
	v_and_b32_e32 v1, 64, v62
	v_cmp_eq_u32_e32 vcc, 0, v1
	s_andn2_b64 s[30:31], s[30:31], exec
	s_and_saveexec_b64 s[52:53], vcc
	s_cbranch_execz .LBB18_932
; %bb.934:                              ;   in Loop: Header=BB18_933 Depth=2
	v_add_u32_e32 v1, 1, v0
	v_cmp_lt_i32_e32 vcc, s77, v0
	s_mov_b64 s[56:57], -1
	s_and_saveexec_b64 s[54:55], vcc
	s_cbranch_execz .LBB18_931
; %bb.935:                              ;   in Loop: Header=BB18_933 Depth=2
	s_trap 2
	ds_read_b64 v[0:1], v0
	s_waitcnt vmcnt(0) lgkmcnt(0)
	flat_load_dword v0, v[0:1] sc0 sc1
	s_waitcnt vmcnt(0) lgkmcnt(0)
	buffer_inv sc0 sc1
	v_cmp_ne_u32_e32 vcc, 0, v0
	s_and_saveexec_b64 s[58:59], vcc
	s_cbranch_execz .LBB18_930
; %bb.936:                              ;   in Loop: Header=BB18_933 Depth=2
	v_or_b32_e32 v62, 64, v62
	s_xor_b64 s[56:57], exec, -1
	ds_write_b32 v0, v0
	s_trap 2
	s_branch .LBB18_930
.LBB18_937:                             ;   in Loop: Header=BB18_81 Depth=1
	s_or_b64 exec, exec, s[22:23]
	s_xor_b64 s[22:23], s[26:27], -1
	s_and_saveexec_b64 s[26:27], s[22:23]
	s_cbranch_execz .LBB18_953
.LBB18_938:                             ;   in Loop: Header=BB18_81 Depth=1
	v_and_b32_e32 v0, 0x100, v62
	v_cmp_ne_u32_e32 vcc, 0, v0
	v_and_b32_e32 v0, 7, v38
	s_mov_b64 s[22:23], -1
                                        ; implicit-def: $vgpr2_vgpr3
	s_and_saveexec_b64 s[28:29], vcc
	s_cbranch_execz .LBB18_942
; %bb.939:                              ;   in Loop: Header=BB18_81 Depth=1
	v_mad_u64_u32 v[4:5], s[22:23], v0, 24, v[40:41]
	flat_load_dword v1, v[4:5]
                                        ; implicit-def: $vgpr2_vgpr3
	s_waitcnt vmcnt(0) lgkmcnt(0)
	v_cmp_ne_u32_e32 vcc, 1, v1
	v_cmp_eq_u32_e64 s[22:23], 1, v1
	s_and_saveexec_b64 s[30:31], s[22:23]
	s_cbranch_execz .LBB18_941
; %bb.940:                              ;   in Loop: Header=BB18_81 Depth=1
	flat_load_dword v2, v[4:5] offset:4 sc0 sc1
	s_waitcnt vmcnt(0) lgkmcnt(0)
	v_ashrrev_i32_e32 v3, 31, v2
.LBB18_941:                             ;   in Loop: Header=BB18_81 Depth=1
	s_or_b64 exec, exec, s[30:31]
	s_orn2_b64 s[22:23], vcc, exec
.LBB18_942:                             ;   in Loop: Header=BB18_81 Depth=1
	s_or_b64 exec, exec, s[28:29]
	s_and_saveexec_b64 s[28:29], s[22:23]
; %bb.943:                              ;   in Loop: Header=BB18_81 Depth=1
	v_mad_i64_i32 v[2:3], s[22:23], v0, v44, 0
; %bb.944:                              ;   in Loop: Header=BB18_81 Depth=1
	s_or_b64 exec, exec, s[28:29]
	v_lshl_add_u64 v[0:1], v[58:59], 0, v[2:3]
	ds_write_b64 v0, v[0:1] offset:720
	v_and_b32_e32 v0, 0x2000, v62
	v_cmp_ne_u32_e32 vcc, 0, v0
	s_and_saveexec_b64 s[22:23], vcc
	s_cbranch_execz .LBB18_946
; %bb.945:                              ;   in Loop: Header=BB18_81 Depth=1
	ds_read_b64 v[0:1], v0 offset:584
	s_waitcnt lgkmcnt(0)
	v_lshl_add_u64 v[0:1], v[0:1], 0, 1
	ds_write_b64 v0, v[0:1] offset:584
.LBB18_946:                             ;   in Loop: Header=BB18_81 Depth=1
	s_or_b64 exec, exec, s[22:23]
	v_lshl_add_u64 v[38:39], v[38:39], 0, 4
	s_or_b64 exec, exec, s[26:27]
	s_and_saveexec_b64 s[22:23], s[4:5]
	s_cbranch_execnz .LBB18_954
.LBB18_947:                             ;   in Loop: Header=BB18_81 Depth=1
	s_or_b64 exec, exec, s[22:23]
	s_and_saveexec_b64 s[22:23], s[20:21]
	s_xor_b64 s[22:23], exec, s[22:23]
	s_cbranch_execz .LBB18_972
.LBB18_948:                             ;   in Loop: Header=BB18_81 Depth=1
	s_trap 2
	ds_read_b32 v0, v0
	v_sub_u32_e32 v1, v31, v8
	v_min_i32_e32 v1, v17, v1
	v_cmp_lt_i32_e32 vcc, 0, v1
	s_waitcnt lgkmcnt(0)
	v_readfirstlane_b32 s26, v0
	s_cmp_eq_u32 s26, 0
	s_cselect_b64 s[26:27], -1, 0
	v_and_b32_e32 v0, 16, v62
	s_and_b64 s[26:27], vcc, s[26:27]
	v_cmp_ne_u32_e32 vcc, 0, v0
	s_and_b64 s[28:29], vcc, s[26:27]
	s_and_saveexec_b64 s[26:27], s[28:29]
	s_cbranch_execz .LBB18_950
; %bb.949:                              ;   in Loop: Header=BB18_81 Depth=1
	buffer_wbl2 sc1
	s_waitcnt vmcnt(0)
	buffer_inv sc1
.LBB18_950:                             ;   in Loop: Header=BB18_81 Depth=1
	s_or_b64 exec, exec, s[26:27]
	s_andn2_saveexec_b64 s[22:23], s[22:23]
	s_cbranch_execz .LBB18_991
	s_branch .LBB18_973
.LBB18_951:                             ;   in Loop: Header=BB18_81 Depth=1
	s_or_b64 exec, exec, s[28:29]
	v_and_b32_e32 v0, 4, v62
.LBB18_952:                             ;   in Loop: Header=BB18_81 Depth=1
	s_or_b64 exec, exec, s[26:27]
	v_cmp_eq_u32_e32 vcc, 0, v0
	s_orn2_b64 s[26:27], vcc, exec
	;;#ASMSTART
	s_wakeup
	;;#ASMEND
	s_or_b64 exec, exec, s[22:23]
	s_xor_b64 s[22:23], s[26:27], -1
	s_and_saveexec_b64 s[26:27], s[22:23]
	s_cbranch_execnz .LBB18_938
.LBB18_953:                             ;   in Loop: Header=BB18_81 Depth=1
	s_or_b64 exec, exec, s[26:27]
	s_and_saveexec_b64 s[22:23], s[4:5]
	s_cbranch_execz .LBB18_947
.LBB18_954:                             ;   in Loop: Header=BB18_81 Depth=1
	s_and_saveexec_b64 s[26:27], s[42:43]
	s_xor_b64 s[26:27], exec, s[26:27]
	s_cbranch_execz .LBB18_969
; %bb.955:                              ;   in Loop: Header=BB18_81 Depth=1
	s_and_saveexec_b64 s[28:29], s[12:13]
	s_cbranch_execz .LBB18_968
; %bb.956:                              ;   in Loop: Header=BB18_81 Depth=1
	s_mov_b64 s[52:53], exec
	v_mbcnt_lo_u32_b32 v0, s52, 0
	v_mbcnt_hi_u32_b32 v0, s53, v0
	v_cmp_eq_u32_e32 vcc, 0, v0
	s_waitcnt lgkmcnt(0)
	s_and_saveexec_b64 s[30:31], vcc
	s_cbranch_execz .LBB18_958
; %bb.957:                              ;   in Loop: Header=BB18_81 Depth=1
	s_bcnt1_i32_b64 vcc_lo, s[52:53]
	v_mov_b32_e32 v48, vcc_lo
	ds_add_u64 v0, v[48:49]
	s_trap 2
.LBB18_958:                             ;   in Loop: Header=BB18_81 Depth=1
	s_or_b64 exec, exec, s[30:31]
	s_trap 2
	ds_read_b64 v[0:1], v0
	v_lshl_add_u64 v[14:15], v[14:15], 0, v[50:51]
	s_waitcnt lgkmcnt(0)
	v_cmp_lt_u64_e32 vcc, v[0:1], v[14:15]
	s_and_saveexec_b64 s[30:31], vcc
	s_cbranch_execz .LBB18_967
; %bb.959:                              ;   in Loop: Header=BB18_81 Depth=1
	s_mov_b32 s62, 0
	s_mov_b64 s[52:53], 0
                                        ; implicit-def: $sgpr54_sgpr55
                                        ; implicit-def: $sgpr56_sgpr57
	s_branch .LBB18_961
.LBB18_960:                             ;   in Loop: Header=BB18_961 Depth=2
	s_or_b64 exec, exec, s[60:61]
	s_and_b64 vcc, exec, vcc
	s_or_b64 s[52:53], vcc, s[52:53]
	s_andn2_b64 vcc, s[54:55], exec
	s_and_b64 s[54:55], s[56:57], exec
	s_or_b64 s[54:55], vcc, s[54:55]
	s_andn2_b64 exec, exec, s[52:53]
	s_cbranch_execz .LBB18_965
.LBB18_961:                             ;   Parent Loop BB18_81 Depth=1
                                        ; =>  This Inner Loop Header: Depth=2
	s_add_i32 s62, s62, 1
	s_cmpk_lg_i32 s62, 0x2710
	s_cselect_b64 s[58:59], -1, 0
	s_and_b64 vcc, exec, s[58:59]
                                        ; implicit-def: $sgpr60_sgpr61
	s_cbranch_vccnz .LBB18_963
; %bb.962:                              ;   in Loop: Header=BB18_961 Depth=2
	s_trap 2
	ds_read_b64 v[0:1], v0
	s_andn2_b64 s[58:59], s[58:59], exec
	s_mov_b32 s62, 0
	s_mov_b64 s[60:61], -1
	s_waitcnt vmcnt(0) lgkmcnt(0)
	flat_load_dword v0, v[0:1] sc0 sc1
	s_waitcnt vmcnt(0) lgkmcnt(0)
	buffer_inv sc0 sc1
	v_cmp_eq_u32_e32 vcc, 0, v0
	s_and_b64 vcc, vcc, exec
	s_or_b64 s[58:59], s[58:59], vcc
.LBB18_963:                             ;   in Loop: Header=BB18_961 Depth=2
	s_andn2_b64 s[56:57], s[56:57], exec
	s_and_b64 s[60:61], s[60:61], exec
	s_mov_b64 vcc, -1
	s_or_b64 s[56:57], s[56:57], s[60:61]
	s_and_saveexec_b64 s[60:61], s[58:59]
	s_cbranch_execz .LBB18_960
; %bb.964:                              ;   in Loop: Header=BB18_961 Depth=2
	s_sleep 1
	s_trap 2
	ds_read_b64 v[0:1], v0
	s_andn2_b64 s[56:57], s[56:57], exec
	s_waitcnt lgkmcnt(0)
	v_cmp_ge_u64_e32 vcc, v[0:1], v[14:15]
	s_orn2_b64 vcc, vcc, exec
	s_branch .LBB18_960
.LBB18_965:                             ;   in Loop: Header=BB18_81 Depth=1
	s_or_b64 exec, exec, s[52:53]
	s_and_saveexec_b64 vcc, s[54:55]
	s_xor_b64 vcc, exec, vcc
	s_cbranch_execz .LBB18_967
; %bb.966:                              ;   in Loop: Header=BB18_81 Depth=1
	ds_write_b32 v0, v45
	s_trap 2
.LBB18_967:                             ;   in Loop: Header=BB18_81 Depth=1
	s_or_b64 exec, exec, s[30:31]
	;;#ASMSTART
	s_wakeup
	;;#ASMEND
.LBB18_968:                             ;   in Loop: Header=BB18_81 Depth=1
	s_or_b64 exec, exec, s[28:29]
.LBB18_969:                             ;   in Loop: Header=BB18_81 Depth=1
	s_andn2_saveexec_b64 s[26:27], s[26:27]
	s_cbranch_execz .LBB18_971
; %bb.970:                              ;   in Loop: Header=BB18_81 Depth=1
	s_waitcnt lgkmcnt(0)
	s_barrier
.LBB18_971:                             ;   in Loop: Header=BB18_81 Depth=1
	s_or_b64 exec, exec, s[26:27]
	s_or_b64 exec, exec, s[22:23]
	s_and_saveexec_b64 s[22:23], s[20:21]
	s_xor_b64 s[22:23], exec, s[22:23]
	s_cbranch_execnz .LBB18_948
.LBB18_972:                             ;   in Loop: Header=BB18_81 Depth=1
	s_andn2_saveexec_b64 s[22:23], s[22:23]
	s_cbranch_execz .LBB18_991
.LBB18_973:                             ;   in Loop: Header=BB18_81 Depth=1
	s_and_saveexec_b64 s[26:27], s[42:43]
	s_xor_b64 s[26:27], exec, s[26:27]
	s_cbranch_execz .LBB18_988
; %bb.974:                              ;   in Loop: Header=BB18_81 Depth=1
	s_and_saveexec_b64 s[28:29], s[12:13]
	s_cbranch_execz .LBB18_987
; %bb.975:                              ;   in Loop: Header=BB18_81 Depth=1
	s_mov_b64 s[52:53], exec
	v_mbcnt_lo_u32_b32 v0, s52, 0
	v_mbcnt_hi_u32_b32 v0, s53, v0
	v_cmp_eq_u32_e32 vcc, 0, v0
	;;#ASMSTART
	s_waitcnt lgkmcnt(0) vmcnt(0)
	;;#ASMEND
	s_and_saveexec_b64 s[30:31], vcc
	s_cbranch_execz .LBB18_977
; %bb.976:                              ;   in Loop: Header=BB18_81 Depth=1
	s_bcnt1_i32_b64 vcc_lo, s[52:53]
	v_mov_b32_e32 v48, vcc_lo
	ds_add_u64 v0, v[48:49]
	s_trap 2
.LBB18_977:                             ;   in Loop: Header=BB18_81 Depth=1
	s_or_b64 exec, exec, s[30:31]
	s_trap 2
	ds_read_b64 v[0:1], v0
	v_lshl_add_u64 v[14:15], v[14:15], 0, v[50:51]
	s_waitcnt lgkmcnt(0)
	v_cmp_lt_u64_e32 vcc, v[0:1], v[14:15]
	s_and_saveexec_b64 s[30:31], vcc
	s_cbranch_execz .LBB18_986
; %bb.978:                              ;   in Loop: Header=BB18_81 Depth=1
	s_mov_b32 s62, 0
	s_mov_b64 s[52:53], 0
                                        ; implicit-def: $sgpr54_sgpr55
                                        ; implicit-def: $sgpr56_sgpr57
	s_branch .LBB18_980
.LBB18_979:                             ;   in Loop: Header=BB18_980 Depth=2
	s_or_b64 exec, exec, s[60:61]
	s_and_b64 vcc, exec, vcc
	s_or_b64 s[52:53], vcc, s[52:53]
	s_andn2_b64 vcc, s[54:55], exec
	s_and_b64 s[54:55], s[56:57], exec
	s_or_b64 s[54:55], vcc, s[54:55]
	s_andn2_b64 exec, exec, s[52:53]
	s_cbranch_execz .LBB18_984
.LBB18_980:                             ;   Parent Loop BB18_81 Depth=1
                                        ; =>  This Inner Loop Header: Depth=2
	s_add_i32 s62, s62, 1
	s_cmpk_lg_i32 s62, 0x2710
	s_cselect_b64 s[58:59], -1, 0
	s_and_b64 vcc, exec, s[58:59]
                                        ; implicit-def: $sgpr60_sgpr61
	s_cbranch_vccnz .LBB18_982
; %bb.981:                              ;   in Loop: Header=BB18_980 Depth=2
	s_trap 2
	ds_read_b64 v[0:1], v0
	s_andn2_b64 s[58:59], s[58:59], exec
	s_mov_b32 s62, 0
	s_mov_b64 s[60:61], -1
	s_waitcnt vmcnt(0) lgkmcnt(0)
	flat_load_dword v0, v[0:1] sc0 sc1
	s_waitcnt vmcnt(0) lgkmcnt(0)
	buffer_inv sc0 sc1
	v_cmp_eq_u32_e32 vcc, 0, v0
	s_and_b64 vcc, vcc, exec
	s_or_b64 s[58:59], s[58:59], vcc
.LBB18_982:                             ;   in Loop: Header=BB18_980 Depth=2
	s_andn2_b64 s[56:57], s[56:57], exec
	s_and_b64 s[60:61], s[60:61], exec
	s_mov_b64 vcc, -1
	s_or_b64 s[56:57], s[56:57], s[60:61]
	s_and_saveexec_b64 s[60:61], s[58:59]
	s_cbranch_execz .LBB18_979
; %bb.983:                              ;   in Loop: Header=BB18_980 Depth=2
	s_sleep 1
	s_trap 2
	ds_read_b64 v[0:1], v0
	s_andn2_b64 s[56:57], s[56:57], exec
	s_waitcnt lgkmcnt(0)
	v_cmp_ge_u64_e32 vcc, v[0:1], v[14:15]
	s_orn2_b64 vcc, vcc, exec
	s_branch .LBB18_979
.LBB18_984:                             ;   in Loop: Header=BB18_81 Depth=1
	s_or_b64 exec, exec, s[52:53]
	s_and_saveexec_b64 vcc, s[54:55]
	s_xor_b64 vcc, exec, vcc
	s_cbranch_execz .LBB18_986
; %bb.985:                              ;   in Loop: Header=BB18_81 Depth=1
	ds_write_b32 v0, v45
	s_trap 2
.LBB18_986:                             ;   in Loop: Header=BB18_81 Depth=1
	s_or_b64 exec, exec, s[30:31]
	;;#ASMSTART
	s_wakeup
	;;#ASMEND
.LBB18_987:                             ;   in Loop: Header=BB18_81 Depth=1
	s_or_b64 exec, exec, s[28:29]
.LBB18_988:                             ;   in Loop: Header=BB18_81 Depth=1
	s_andn2_saveexec_b64 s[26:27], s[26:27]
	s_cbranch_execz .LBB18_990
; %bb.989:                              ;   in Loop: Header=BB18_81 Depth=1
	;;#ASMSTART
	s_waitcnt lgkmcnt(0) vmcnt(0)
	;;#ASMEND
	s_barrier
.LBB18_990:                             ;   in Loop: Header=BB18_81 Depth=1
	s_or_b64 exec, exec, s[26:27]
.LBB18_991:                             ;   in Loop: Header=BB18_81 Depth=1
	s_or_b64 exec, exec, s[22:23]
	v_and_b32_e32 v0, 32, v62
	v_cmp_ne_u32_e32 vcc, 0, v0
	s_and_saveexec_b64 s[22:23], vcc
	s_cbranch_execz .LBB18_79
; %bb.992:                              ;   in Loop: Header=BB18_81 Depth=1
	v_lshl_add_u64 v[38:39], v[38:39], 0, 4
	flat_store_dwordx2 v[26:27], v[38:39] sc0 sc1
	s_branch .LBB18_79
.LBB18_993:
	s_or_b64 exec, exec, s[40:41]
	s_waitcnt vmcnt(0)
	v_accvgpr_read_b32 v12, a18
	v_accvgpr_read_b32 v16, a0
	v_accvgpr_read_b32 v31, a1
	v_accvgpr_read_b32 v17, a5
	v_accvgpr_read_b32 v13, a19
.LBB18_994:
	s_or_b64 exec, exec, s[38:39]
	v_and_b32_e32 v0, 0x800, v62
	v_cmp_eq_u32_e32 vcc, 0, v0
	s_and_saveexec_b64 s[0:1], vcc
	s_cbranch_execz .LBB18_1029
; %bb.995:
	v_and_b32_e32 v0, 48, v62
	v_cmp_ne_u32_e32 vcc, 0, v0
	s_and_saveexec_b64 s[2:3], vcc
	s_cbranch_execz .LBB18_997
; %bb.996:
	flat_store_dwordx2 v[12:13], v[38:39] offset:104
.LBB18_997:
	s_or_b64 exec, exec, s[2:3]
	s_movk_i32 s2, 0x88
	v_and_b32_e32 v0, 0x88, v62
	v_cmp_eq_u32_e32 vcc, s2, v0
	s_and_saveexec_b64 s[2:3], vcc
	s_cbranch_execz .LBB18_1009
; %bb.998:
	v_and_b32_e32 v0, 7, v38
	v_xor_b32_e32 v0, 4, v0
	v_mad_u64_u32 v[0:1], s[4:5], v0, 24, v[40:41]
	v_lshl_add_u64 v[2:3], v[0:1], 0, 8
	s_mov_b64 s[4:5], 0
	v_mov_b32_e32 v0, 0
	s_movk_i32 s20, 0x270e
                                        ; implicit-def: $sgpr6_sgpr7
	s_branch .LBB18_1003
.LBB18_999:                             ;   in Loop: Header=BB18_1003 Depth=1
	s_or_b64 exec, exec, s[18:19]
	v_mov_b32_e32 v1, 0
	s_orn2_b64 s[16:17], s[16:17], exec
.LBB18_1000:                            ;   in Loop: Header=BB18_1003 Depth=1
	s_or_b64 exec, exec, s[14:15]
	s_and_b64 s[14:15], s[16:17], exec
	v_mov_b32_e32 v0, v1
.LBB18_1001:                            ;   in Loop: Header=BB18_1003 Depth=1
	s_or_b64 exec, exec, s[12:13]
	s_xor_b64 s[12:13], s[14:15], -1
	s_andn2_b64 s[6:7], s[6:7], exec
	s_and_b64 s[12:13], s[12:13], exec
	s_or_b64 s[6:7], s[6:7], s[12:13]
.LBB18_1002:                            ;   in Loop: Header=BB18_1003 Depth=1
	s_or_b64 exec, exec, s[10:11]
	s_and_b64 s[10:11], exec, s[6:7]
	s_or_b64 s[4:5], s[10:11], s[4:5]
	s_andn2_b64 exec, exec, s[4:5]
	s_cbranch_execz .LBB18_1008
.LBB18_1003:                            ; =>This Inner Loop Header: Depth=1
	flat_load_dwordx2 v[4:5], v[2:3] sc0 sc1
	s_waitcnt vmcnt(0)
	s_or_b64 s[6:7], s[6:7], exec
	s_waitcnt lgkmcnt(0)
	v_cmp_ne_u64_e32 vcc, -1, v[4:5]
	s_and_saveexec_b64 s[10:11], vcc
	s_cbranch_execz .LBB18_1002
; %bb.1004:                             ;   in Loop: Header=BB18_1003 Depth=1
	v_and_b32_e32 v1, 64, v62
	v_cmp_eq_u32_e32 vcc, 0, v1
	s_mov_b64 s[14:15], 0
	s_and_saveexec_b64 s[12:13], vcc
	s_cbranch_execz .LBB18_1001
; %bb.1005:                             ;   in Loop: Header=BB18_1003 Depth=1
	v_add_u32_e32 v1, 1, v0
	v_cmp_lt_i32_e32 vcc, s20, v0
	s_mov_b64 s[16:17], -1
	s_and_saveexec_b64 s[14:15], vcc
	s_cbranch_execz .LBB18_1000
; %bb.1006:                             ;   in Loop: Header=BB18_1003 Depth=1
	s_trap 2
	ds_read_b64 v[0:1], v0
	s_waitcnt lgkmcnt(0)
	flat_load_dword v0, v[0:1] sc0 sc1
	s_waitcnt vmcnt(0) lgkmcnt(0)
	buffer_inv sc0 sc1
	v_cmp_ne_u32_e32 vcc, 0, v0
	s_and_saveexec_b64 s[18:19], vcc
	s_cbranch_execz .LBB18_999
; %bb.1007:                             ;   in Loop: Header=BB18_1003 Depth=1
	v_or_b32_e32 v62, 64, v62
	s_xor_b64 s[16:17], exec, -1
	ds_write_b32 v0, v0
	s_trap 2
	s_branch .LBB18_999
.LBB18_1008:
	s_or_b64 exec, exec, s[4:5]
.LBB18_1009:
	s_or_b64 exec, exec, s[2:3]
	v_and_b32_e32 v0, 0x2000, v62
	v_cmp_ne_u32_e32 vcc, 0, v0
	s_and_saveexec_b64 s[2:3], vcc
	s_cbranch_execz .LBB18_1011
; %bb.1010:
	s_trap 2
	ds_read_b64 v[0:1], v0
	v_accvgpr_read_b32 v2, a16
	v_accvgpr_read_b32 v3, a17
	s_waitcnt lgkmcnt(0)
	flat_store_dwordx2 v[2:3], v[0:1] offset:16
.LBB18_1011:
	s_or_b64 exec, exec, s[2:3]
	v_cmp_ne_u32_e32 vcc, 64, v16
	s_and_b64 exec, exec, vcc
	s_cbranch_execz .LBB18_1029
; %bb.1012:
	v_cmp_ne_u32_sdwa s[2:3], v17, v16 src0_sel:WORD_0 src1_sel:DWORD
	s_and_saveexec_b64 s[4:5], s[2:3]
	s_xor_b64 s[2:3], exec, s[4:5]
	s_cbranch_execz .LBB18_1027
; %bb.1013:
	v_and_b32_e32 v0, 63, v31
	v_cmp_eq_u32_e32 vcc, 0, v0
	s_and_saveexec_b64 s[4:5], vcc
	s_cbranch_execz .LBB18_1026
; %bb.1014:
	s_mov_b64 s[10:11], exec
	v_mbcnt_lo_u32_b32 v0, s10, 0
	v_mbcnt_hi_u32_b32 v0, s11, v0
	v_cmp_eq_u32_e32 vcc, 0, v0
	s_waitcnt lgkmcnt(0)
	s_and_saveexec_b64 s[6:7], vcc
	s_cbranch_execz .LBB18_1016
; %bb.1015:
	s_bcnt1_i32_b64 s10, s[10:11]
	v_mov_b32_e32 v0, s10
	v_mov_b32_e32 v1, 0
	ds_add_u64 v0, v[0:1]
	s_trap 2
.LBB18_1016:
	s_or_b64 exec, exec, s[6:7]
	v_ashrrev_i32_e32 v0, 31, v16
	v_lshrrev_b32_e32 v0, 26, v0
	s_trap 2
	ds_read_b64 v[2:3], v0
	v_add_u32_e32 v0, v16, v0
	v_ashrrev_i32_e32 v0, 6, v0
	v_ashrrev_i32_e32 v1, 31, v0
	v_lshl_add_u64 v[0:1], v[14:15], 0, v[0:1]
	s_waitcnt lgkmcnt(0)
	v_cmp_lt_u64_e32 vcc, v[2:3], v[0:1]
	s_and_saveexec_b64 s[6:7], vcc
	s_cbranch_execz .LBB18_1025
; %bb.1017:
	s_mov_b32 s22, 0
	s_mov_b64 s[10:11], 0
                                        ; implicit-def: $sgpr12_sgpr13
                                        ; implicit-def: $sgpr14_sgpr15
	s_branch .LBB18_1019
.LBB18_1018:                            ;   in Loop: Header=BB18_1019 Depth=1
	s_or_b64 exec, exec, s[20:21]
	s_and_b64 s[16:17], exec, s[18:19]
	s_or_b64 s[10:11], s[16:17], s[10:11]
	s_andn2_b64 s[12:13], s[12:13], exec
	s_and_b64 s[16:17], s[14:15], exec
	s_or_b64 s[12:13], s[12:13], s[16:17]
	s_andn2_b64 exec, exec, s[10:11]
	s_cbranch_execz .LBB18_1023
.LBB18_1019:                            ; =>This Inner Loop Header: Depth=1
	s_add_i32 s22, s22, 1
	s_cmpk_lg_i32 s22, 0x2710
	s_cselect_b64 s[16:17], -1, 0
	s_and_b64 vcc, exec, s[16:17]
                                        ; implicit-def: $sgpr20_sgpr21
	s_cbranch_vccnz .LBB18_1021
; %bb.1020:                             ;   in Loop: Header=BB18_1019 Depth=1
	s_trap 2
	ds_read_b64 v[2:3], v0
	s_andn2_b64 s[16:17], s[16:17], exec
	s_mov_b32 s22, 0
	s_mov_b64 s[20:21], -1
	s_waitcnt vmcnt(0) lgkmcnt(0)
	flat_load_dword v2, v[2:3] sc0 sc1
	s_waitcnt vmcnt(0) lgkmcnt(0)
	buffer_inv sc0 sc1
	v_cmp_eq_u32_e32 vcc, 0, v2
	s_and_b64 s[18:19], vcc, exec
	s_or_b64 s[16:17], s[16:17], s[18:19]
.LBB18_1021:                            ;   in Loop: Header=BB18_1019 Depth=1
	s_andn2_b64 s[14:15], s[14:15], exec
	s_and_b64 s[20:21], s[20:21], exec
	s_mov_b64 s[18:19], -1
	s_or_b64 s[14:15], s[14:15], s[20:21]
	s_and_saveexec_b64 s[20:21], s[16:17]
	s_cbranch_execz .LBB18_1018
; %bb.1022:                             ;   in Loop: Header=BB18_1019 Depth=1
	s_sleep 1
	s_trap 2
	ds_read_b64 v[2:3], v0
	s_andn2_b64 s[14:15], s[14:15], exec
	s_waitcnt lgkmcnt(0)
	v_cmp_ge_u64_e32 vcc, v[2:3], v[0:1]
	s_orn2_b64 s[18:19], vcc, exec
	s_branch .LBB18_1018
.LBB18_1023:
	s_or_b64 exec, exec, s[10:11]
	s_and_saveexec_b64 s[10:11], s[12:13]
	s_xor_b64 s[10:11], exec, s[10:11]
	s_cbranch_execz .LBB18_1025
; %bb.1024:
	v_mov_b32_e32 v0, 1
	ds_write_b32 v0, v0
	s_trap 2
.LBB18_1025:
	s_or_b64 exec, exec, s[6:7]
	;;#ASMSTART
	s_wakeup
	;;#ASMEND
.LBB18_1026:
	s_or_b64 exec, exec, s[4:5]
.LBB18_1027:
	s_andn2_saveexec_b64 s[2:3], s[2:3]
	s_cbranch_execz .LBB18_1029
; %bb.1028:
	s_waitcnt lgkmcnt(0)
	s_barrier
.LBB18_1029:
	s_or_b64 exec, exec, s[0:1]
.LBB18_1030:
	s_andn2_saveexec_b64 s[22:23], s[36:37]
	s_cbranch_execz .LBB18_1032
; %bb.1031:
	s_getpc_b64 s[0:1]
	s_add_u32 s0, s0, __PRETTY_FUNCTION__._ZN10PrimitivesIa7FuncSumIaE12FanSymmetricILi1EELi0E11ProtoSimpleILi1ELi4ELi0ELi4ELi0ELi0EELi0ELb0ELi0ELi0ELi0EEC2EiiPKiS8_PKvPvmhhhP15ncclDevWorkCollP14ncclDevWorkP2pii@rel32@lo+4
	s_addc_u32 s1, s1, __PRETTY_FUNCTION__._ZN10PrimitivesIa7FuncSumIaE12FanSymmetricILi1EELi0E11ProtoSimpleILi1ELi4ELi0ELi4ELi0ELi0EELi0ELb0ELi0ELi0ELi0EEC2EiiPKiS8_PKvPvmhhhP15ncclDevWorkCollP14ncclDevWorkP2pii@rel32@hi+12
	v_mov_b32_e32 v0, s0
	v_mov_b32_e32 v1, s1
	s_getpc_b64 s[2:3]
	s_add_u32 s2, s2, __assert_fail@rel32@lo+4
	s_addc_u32 s3, s3, __assert_fail@rel32@hi+12
	s_swappc_b64 s[30:31], s[2:3]
	; divergent unreachable
.LBB18_1032:
	s_or_b64 exec, exec, s[22:23]
.LBB18_1033:
	s_or_b64 exec, exec, s[34:35]
	scratch_load_dword a58, off, s33        ; 4-byte Folded Reload
	scratch_load_dword a57, off, s33 offset:4 ; 4-byte Folded Reload
	scratch_load_dword a56, off, s33 offset:8 ; 4-byte Folded Reload
	;; [unrolled: 1-line block ×41, first 2 shown]
	v_readlane_b32 s30, v63, 48
	v_readlane_b32 s31, v63, 49
	;; [unrolled: 1-line block ×51, first 2 shown]
	s_or_saveexec_b64 s[2:3], -1
	scratch_load_dword v63, off, s33 offset:176 ; 4-byte Folded Reload
	s_mov_b64 exec, s[2:3]
	s_addk_i32 s32, 0xff40
	s_mov_b32 s33, s0
	s_waitcnt vmcnt(0) lgkmcnt(0)
	s_setpc_b64 s[30:31]
.Lfunc_end18:
	.size	_ZN12_GLOBAL__N_17runRingIa7FuncSumIaE11ProtoSimpleILi1ELi4ELi0ELi4ELi0ELi0EELi0ELi4ELi0ELb0EEEviiP15ncclDevWorkColl, .Lfunc_end18-_ZN12_GLOBAL__N_17runRingIa7FuncSumIaE11ProtoSimpleILi1ELi4ELi0ELi4ELi0ELi0EELi0ELi4ELi0ELb0EEEviiP15ncclDevWorkColl
                                        ; -- End function
	.section	.AMDGPU.csdata,"",@progbits
; Function info:
; codeLenInByte = 37952
; NumSgprs: 88
; NumVgprs: 64
; NumAgprs: 59
; TotalNumVgprs: 123
; ScratchSize: 256
; MemoryBound: 0
	.text
	.p2align	2                               ; -- Begin function _ZN12_GLOBAL__N_17runRingIa7FuncSumIaE11ProtoSimpleILi2ELi2ELi0ELi4ELi0ELi0EELi0ELi4ELi0ELb0EEEviiP15ncclDevWorkColl
	.type	_ZN12_GLOBAL__N_17runRingIa7FuncSumIaE11ProtoSimpleILi2ELi2ELi0ELi4ELi0ELi0EELi0ELi4ELi0ELb0EEEviiP15ncclDevWorkColl,@function
_ZN12_GLOBAL__N_17runRingIa7FuncSumIaE11ProtoSimpleILi2ELi2ELi0ELi4ELi0ELi0EELi0ELi4ELi0ELb0EEEviiP15ncclDevWorkColl: ; @_ZN12_GLOBAL__N_17runRingIa7FuncSumIaE11ProtoSimpleILi2ELi2ELi0ELi4ELi0ELi0EELi0ELi4ELi0ELb0EEEviiP15ncclDevWorkColl
; %bb.0:
	s_waitcnt vmcnt(0) expcnt(0) lgkmcnt(0)
	s_mov_b32 s0, s33
	s_mov_b32 s33, s32
	s_or_saveexec_b64 s[2:3], -1
	scratch_store_dword off, v63, s33 offset:180 ; 4-byte Folded Spill
	s_mov_b64 exec, s[2:3]
	v_writelane_b32 v63, s0, 47
	s_addk_i32 s32, 0xc0
	scratch_store_dword off, v40, s33 offset:168 ; 4-byte Folded Spill
	scratch_store_dword off, v41, s33 offset:164 ; 4-byte Folded Spill
	;; [unrolled: 1-line block ×42, first 2 shown]
	scratch_store_dword off, a59, s33       ; 4-byte Folded Spill
	v_writelane_b32 v63, s34, 0
	v_writelane_b32 v63, s35, 1
	;; [unrolled: 1-line block ×46, first 2 shown]
	s_nop 1
	v_writelane_b32 v63, s31, 46
	s_trap 2
	flat_load_dword v10, v[2:3]
	flat_load_dwordx4 v[20:23], v[2:3] offset:72
	flat_load_dwordx2 v[4:5], v[2:3] offset:88
	v_mov_b32_e32 v60, v0
	ds_read_b32 v0, v0
	v_mov_b32_e32 v16, v1
                                        ; implicit-def: $agpr8_agpr9
	s_waitcnt lgkmcnt(0)
	ds_read_b64 a[6:7], v0
	v_readfirstlane_b32 s70, v0
	s_waitcnt vmcnt(0)
	v_not_b32_sdwa v1, v10 dst_sel:DWORD dst_unused:UNUSED_PAD src0_sel:BYTE_0
	v_add_u32_sdwa v6, v10, v1 dst_sel:DWORD dst_unused:UNUSED_PAD src0_sel:BYTE_1 src1_sel:DWORD
	v_ashrrev_i32_e32 v8, 31, v6
	v_mul_lo_u32 v9, v23, v6
	v_mad_u64_u32 v[6:7], s[0:1], v22, v6, 0
	v_mul_lo_u32 v8, v22, v8
	v_add3_u32 v7, v7, v8, v9
	v_cmp_ne_u32_sdwa s[0:1], v10, v0 src0_sel:BYTE_0 src1_sel:DWORD
                                        ; implicit-def: $vgpr8_vgpr9
	s_and_saveexec_b64 s[2:3], s[0:1]
	s_xor_b64 s[0:1], exec, s[2:3]
	s_cbranch_execz .LBB19_6
; %bb.1:
	v_cmp_ne_u32_sdwa s[2:3], v10, v0 src0_sel:BYTE_1 src1_sel:DWORD
                                        ; implicit-def: $vgpr8_vgpr9
                                        ; implicit-def: $agpr8_agpr9
	s_and_saveexec_b64 s[4:5], s[2:3]
	s_xor_b64 s[2:3], exec, s[4:5]
	s_cbranch_execz .LBB19_3
; %bb.2:
	flat_load_dwordx2 v[8:9], v[2:3] offset:96
	v_add_u32_e32 v0, v0, v1
	v_ashrrev_i32_e32 v1, 31, v0
	v_mul_lo_u32 v1, v22, v1
	v_mul_lo_u32 v10, v23, v0
	v_mad_u64_u32 v[12:13], s[4:5], v22, v0, v[20:21]
	v_add3_u32 v13, v10, v13, v1
	v_accvgpr_write_b32 a8, v12
	v_accvgpr_write_b32 a9, v13
	s_waitcnt vmcnt(0) lgkmcnt(0)
	v_lshrrev_b64 v[8:9], 21, v[8:9]
.LBB19_3:
	s_andn2_saveexec_b64 s[2:3], s[2:3]
	s_cbranch_execz .LBB19_5
; %bb.4:
	flat_load_dword v0, v[2:3] offset:100
	v_lshl_add_u64 v[8:9], v[6:7], 0, v[20:21]
	v_accvgpr_write_b32 a8, v8
	v_accvgpr_write_b32 a9, v9
	v_mov_b64_e32 v[22:23], v[4:5]
	s_waitcnt vmcnt(0) lgkmcnt(0)
	v_lshrrev_b32_e32 v8, 10, v0
.LBB19_5:
	s_or_b64 exec, exec, s[2:3]
.LBB19_6:
	s_andn2_saveexec_b64 s[0:1], s[0:1]
	s_cbranch_execz .LBB19_8
; %bb.7:
	flat_load_dwordx2 v[8:9], v[2:3] offset:96
	v_mov_b64_e32 v[0:1], 0
	v_accvgpr_write_b32 a9, v1
	v_accvgpr_write_b32 a8, v0
	v_mov_b64_e32 v[22:23], v[20:21]
.LBB19_8:
	s_or_b64 exec, exec, s[0:1]
	flat_load_dwordx4 v[32:35], v[2:3] offset:16
	v_lshl_add_u64 v[0:1], v[4:5], 0, v[20:21]
	v_lshl_add_u64 v[18:19], v[0:1], 0, v[6:7]
	v_cmp_ge_i32_e32 vcc, v60, v16
	s_and_saveexec_b64 s[0:1], vcc
	s_xor_b64 s[0:1], exec, s[0:1]
	s_cbranch_execz .LBB19_41
; %bb.9:
	s_waitcnt lgkmcnt(0)
	v_accvgpr_read_b32 v0, a6
	v_accvgpr_read_b32 v1, a7
	flat_load_dword v0, v[0:1]
	s_waitcnt vmcnt(0) lgkmcnt(0)
	v_ashrrev_i32_e32 v2, 31, v0
	v_mul_lo_u32 v1, v19, v0
	v_mul_lo_u32 v2, v18, v2
	v_mad_u64_u32 v[4:5], s[2:3], v18, v0, v[32:33]
	v_add3_u32 v5, v1, v5, v2
	v_cmp_ne_u64_e32 vcc, v[34:35], v[4:5]
	s_and_saveexec_b64 s[2:3], vcc
	s_cbranch_execz .LBB19_40
; %bb.10:
	v_mad_u64_u32 v[4:5], s[4:5], v18, v0, 0
	v_add3_u32 v5, v5, v2, v1
	v_accvgpr_read_b32 v0, a8
	v_accvgpr_read_b32 v1, a9
	v_lshl_add_u64 v[2:3], v[34:35], 0, v[0:1]
	v_lshl_add_u64 v[0:1], v[32:33], 0, v[0:1]
	;; [unrolled: 1-line block ×3, first 2 shown]
	v_sub_u32_e32 v1, v60, v16
	v_ashrrev_i32_e32 v0, 31, v1
	v_lshrrev_b32_e32 v0, 26, v0
	v_add_u32_e32 v0, v1, v0
	v_and_b32_e32 v6, 0xffffffc0, v0
	v_sub_u32_e32 v18, v1, v6
	v_cmp_gt_i32_e32 vcc, 1, v18
	v_mov_b32_e32 v1, 0
	s_and_saveexec_b64 s[4:5], vcc
; %bb.11:
	v_or_b32_e32 v1, v2, v4
	v_and_b32_e32 v1, 15, v1
	v_cmp_ne_u32_e32 vcc, 0, v1
	s_nop 1
	v_cndmask_b32_e64 v1, 0, 1, vcc
; %bb.12:
	s_or_b64 exec, exec, s[4:5]
	v_ashrrev_i32_e32 v19, 6, v0
	;;#ASMSTART
	;;#ASMEND
	s_nop 0
	v_cmp_ne_u32_e32 vcc, 0, v1
	s_cbranch_vccz .LBB19_14
; %bb.13:
	s_mov_b64 s[14:15], -1
	s_mov_b64 s[6:7], 0
	v_mov_b64_e32 v[10:11], 0
	s_mov_b64 s[4:5], 0
                                        ; implicit-def: $vgpr8_vgpr9
                                        ; implicit-def: $vgpr0_vgpr1
	v_mov_b32_e32 v15, v18
	v_mov_b32_e32 v17, v19
	s_and_saveexec_b64 s[10:11], s[14:15]
	s_cbranch_execnz .LBB19_25
	s_branch .LBB19_34
.LBB19_14:
	v_ashrrev_i32_e32 v0, 31, v23
	v_lshrrev_b32_e32 v0, 19, v0
	v_mov_b32_e32 v1, 0
	v_lshl_add_u64 v[0:1], v[22:23], 0, v[0:1]
	v_ashrrev_i64 v[6:7], 13, v[0:1]
	v_ashrrev_i32_e32 v0, 31, v19
	v_sub_co_u32_e32 v14, vcc, v6, v19
	s_mov_b64 s[14:15], 0
	s_nop 0
	v_subb_co_u32_e32 v15, vcc, v7, v0, vcc
	v_cmp_gt_i64_e32 vcc, 1, v[14:15]
	s_mov_b64 s[4:5], -1
	v_mov_b64_e32 v[10:11], 0
	s_mov_b64 s[6:7], 0
                                        ; implicit-def: $vgpr8_vgpr9
                                        ; implicit-def: $vgpr0_vgpr1
                                        ; implicit-def: $vgpr15
                                        ; implicit-def: $vgpr17
	s_and_saveexec_b64 s[10:11], vcc
	s_cbranch_execz .LBB19_24
; %bb.15:
	v_lshlrev_b64 v[0:1], 13, v[6:7]
	v_cmp_ne_u64_e32 vcc, v[22:23], v[0:1]
	v_mov_b64_e32 v[10:11], 0
                                        ; implicit-def: $vgpr8_vgpr9
                                        ; implicit-def: $vgpr15
                                        ; implicit-def: $vgpr17
	s_and_saveexec_b64 s[4:5], vcc
	s_cbranch_execz .LBB19_23
; %bb.16:
	v_sub_co_u32_e32 v10, vcc, v22, v0
	v_mov_b32_e32 v9, 0
	s_nop 0
	v_subb_co_u32_e32 v11, vcc, v23, v1, vcc
	v_ashrrev_i32_e32 v6, 31, v11
	v_lshrrev_b32_e32 v8, 22, v6
	v_lshl_add_u64 v[6:7], v[10:11], 0, v[8:9]
	v_ashrrev_i64 v[16:17], 10, v[6:7]
	v_and_b32_e32 v6, 0xfffffc00, v6
	v_lshl_add_u64 v[12:13], v[6:7], 0, v[0:1]
	v_sub_co_u32_e32 v6, vcc, v10, v6
	s_nop 1
	v_subb_co_u32_e32 v7, vcc, v11, v7, vcc
	v_cmp_lt_i64_e32 vcc, 15, v[6:7]
	s_and_saveexec_b64 s[6:7], vcc
; %bb.17:
	v_and_b32_e32 v8, 15, v22
	v_sub_co_u32_e32 v6, vcc, v6, v8
	v_lshl_add_u64 v[16:17], v[16:17], 0, 1
	s_nop 0
	v_subbrev_co_u32_e32 v7, vcc, 0, v7, vcc
	v_lshl_add_u64 v[12:13], v[6:7], 0, v[12:13]
	v_mov_b64_e32 v[6:7], v[8:9]
; %bb.18:
	s_or_b64 exec, exec, s[6:7]
	v_lshlrev_b32_e32 v8, 6, v14
	v_sub_u32_e32 v8, v18, v8
	v_ashrrev_i32_e32 v9, 31, v8
	v_lshrrev_b32_e32 v9, 26, v9
	v_add_u32_e32 v9, v8, v9
	v_ashrrev_i32_e32 v14, 6, v9
	v_and_b32_e32 v9, 0xffffffc0, v9
	v_sub_u32_e32 v20, v8, v9
	v_lshlrev_b32_e32 v8, 4, v20
	v_lshl_add_u32 v8, v14, 10, v8
	v_ashrrev_i32_e32 v9, 31, v8
	v_sub_co_u32_e32 v10, vcc, v10, v8
	s_mov_b64 s[16:17], -1
	s_nop 0
	v_subb_co_u32_e32 v11, vcc, v11, v9, vcc
	v_cmp_gt_i64_e32 vcc, 16, v[10:11]
	v_mov_b64_e32 v[10:11], 0
                                        ; implicit-def: $vgpr22_vgpr23
                                        ; implicit-def: $vgpr15
                                        ; implicit-def: $vgpr17
	s_and_saveexec_b64 s[6:7], vcc
	s_cbranch_execz .LBB19_22
; %bb.19:
	v_cmp_ne_u64_e32 vcc, 0, v[6:7]
	v_mov_b64_e32 v[10:11], 0
                                        ; implicit-def: $vgpr15
                                        ; implicit-def: $vgpr17
	s_and_saveexec_b64 s[16:17], vcc
; %bb.20:
	v_sub_u32_e32 v10, v14, v16
	v_lshl_add_u32 v10, v10, 6, v20
	v_ashrrev_i32_e32 v11, 31, v10
	v_lshrrev_b32_e32 v11, 26, v11
	v_add_u32_e32 v11, v10, v11
	v_and_b32_e32 v14, 0xffffffc0, v11
	s_mov_b64 s[14:15], exec
	v_sub_u32_e32 v15, v10, v14
	v_ashrrev_i32_e32 v17, 6, v11
	v_mov_b64_e32 v[10:11], v[12:13]
; %bb.21:
	s_or_b64 exec, exec, s[16:17]
	s_xor_b64 s[16:17], exec, -1
	s_and_b64 s[14:15], s[14:15], exec
	v_mov_b64_e32 v[22:23], v[6:7]
.LBB19_22:
	s_or_b64 exec, exec, s[6:7]
	s_and_b64 s[6:7], s[16:17], exec
	s_and_b64 s[14:15], s[14:15], exec
.LBB19_23:
	s_or_b64 exec, exec, s[4:5]
	s_xor_b64 s[4:5], exec, -1
	s_and_b64 s[6:7], s[6:7], exec
	s_and_b64 s[14:15], s[14:15], exec
.LBB19_24:
	s_or_b64 exec, exec, s[10:11]
	s_and_saveexec_b64 s[10:11], s[14:15]
	s_cbranch_execz .LBB19_34
.LBB19_25:
	v_ashrrev_i32_e32 v6, 31, v23
	v_lshrrev_b32_e32 v6, 21, v6
	v_mov_b32_e32 v7, 0
	v_lshl_add_u64 v[6:7], v[22:23], 0, v[6:7]
	v_ashrrev_i64 v[12:13], 11, v[6:7]
	v_ashrrev_i32_e32 v7, 31, v17
	v_sub_co_u32_e32 v6, vcc, v12, v17
	s_nop 1
	v_subb_co_u32_e32 v7, vcc, v13, v7, vcc
	v_cmp_gt_i64_e32 vcc, 1, v[6:7]
	s_and_saveexec_b64 s[14:15], vcc
	s_xor_b64 s[14:15], exec, s[14:15]
	s_cbranch_execz .LBB19_31
; %bb.26:
	v_lshlrev_b64 v[12:13], 11, v[12:13]
	v_cmp_ne_u64_e32 vcc, v[22:23], v[12:13]
	s_and_saveexec_b64 s[16:17], vcc
	s_cbranch_execz .LBB19_30
; %bb.27:
	v_lshlrev_b32_e32 v6, 6, v6
	v_sub_co_u32_e32 v16, vcc, v22, v12
	v_sub_u32_e32 v6, v15, v6
	s_nop 0
	v_subb_co_u32_e32 v17, vcc, v23, v13, vcc
	v_ashrrev_i32_e32 v7, 31, v6
	v_cmp_gt_i64_e32 vcc, v[16:17], v[6:7]
	s_and_b64 exec, exec, vcc
	s_cbranch_execz .LBB19_30
; %bb.28:
	v_lshl_add_u64 v[10:11], v[12:13], 0, v[10:11]
	v_lshl_add_u64 v[6:7], v[10:11], 0, v[6:7]
	;; [unrolled: 1-line block ×3, first 2 shown]
	flat_load_ubyte v10, v[10:11]
	v_lshl_add_u64 v[6:7], v[6:7], 0, v[4:5]
	s_and_b64 vcc, exec, -1
	s_waitcnt vmcnt(0) lgkmcnt(0)
	flat_store_byte v[6:7], v10 nt
.LBB19_29:                              ; =>This Inner Loop Header: Depth=1
	s_mov_b64 vcc, vcc
	s_cbranch_vccnz .LBB19_29
.LBB19_30:
	s_or_b64 exec, exec, s[16:17]
                                        ; implicit-def: $vgpr17
                                        ; implicit-def: $vgpr15
                                        ; implicit-def: $vgpr10_vgpr11
.LBB19_31:
	s_andn2_saveexec_b64 s[14:15], s[14:15]
	s_cbranch_execz .LBB19_34
; %bb.32:
	v_lshl_add_u32 v6, v17, 11, v15
	v_ashrrev_i32_e32 v7, 31, v6
	v_lshl_add_u64 v[10:11], v[10:11], 0, v[6:7]
	v_lshl_add_u64 v[6:7], v[10:11], 0, v[4:5]
	;; [unrolled: 1-line block ×3, first 2 shown]
	s_and_b64 vcc, exec, 0
.LBB19_33:                              ; =>This Inner Loop Header: Depth=1
	flat_load_ubyte v12, v[10:11] nt
	flat_load_ubyte v13, v[10:11] offset:64 nt
	flat_load_ubyte v14, v[10:11] offset:128 nt
	;; [unrolled: 1-line block ×31, first 2 shown]
	s_waitcnt vmcnt(0) lgkmcnt(0)
	flat_store_byte v[6:7], v12 nt
	flat_store_byte v[6:7], v13 offset:64 nt
	flat_store_byte v[6:7], v14 offset:128 nt
	;; [unrolled: 1-line block ×31, first 2 shown]
	s_mov_b64 vcc, vcc
	s_cbranch_vccz .LBB19_33
.LBB19_34:
	s_or_b64 exec, exec, s[10:11]
	s_and_saveexec_b64 s[10:11], s[6:7]
	s_cbranch_execz .LBB19_37
; %bb.35:
	v_lshl_add_u64 v[6:7], v[0:1], 0, v[8:9]
	v_lshl_add_u64 v[0:1], v[6:7], 0, v[4:5]
	;; [unrolled: 1-line block ×3, first 2 shown]
	s_and_b64 vcc, exec, 0
.LBB19_36:                              ; =>This Inner Loop Header: Depth=1
	global_load_dwordx4 v[8:11], v[6:7], off nt
	s_waitcnt vmcnt(0)
	global_store_dwordx4 v[0:1], v[8:11], off nt
	s_mov_b64 vcc, vcc
	s_cbranch_vccz .LBB19_36
.LBB19_37:
	s_or_b64 exec, exec, s[10:11]
	s_and_saveexec_b64 s[6:7], s[4:5]
	s_xor_b64 s[6:7], exec, s[6:7]
	s_cbranch_execz .LBB19_40
; %bb.38:
	v_lshlrev_b32_e32 v0, 4, v18
	v_lshl_add_u32 v6, v19, 13, v0
	v_ashrrev_i32_e32 v7, 31, v6
	v_lshl_add_u64 v[0:1], v[4:5], 0, v[6:7]
	v_lshl_add_u64 v[2:3], v[2:3], 0, v[6:7]
	s_mov_b64 s[4:5], 0x1000
	s_mov_b64 s[6:7], 0x1400
	;; [unrolled: 1-line block ×4, first 2 shown]
	v_lshl_add_u64 v[4:5], v[2:3], 0, s[4:5]
	v_lshl_add_u64 v[6:7], v[2:3], 0, s[6:7]
	;; [unrolled: 1-line block ×8, first 2 shown]
	s_and_b64 vcc, exec, 0
.LBB19_39:                              ; =>This Inner Loop Header: Depth=1
	global_load_dwordx4 v[20:23], v[2:3], off nt
	global_load_dwordx4 v[24:27], v[2:3], off offset:1024 nt
	global_load_dwordx4 v[28:31], v[2:3], off offset:2048 nt
	;; [unrolled: 1-line block ×3, first 2 shown]
	global_load_dwordx4 v[36:39], v[4:5], off nt
	global_load_dwordx4 v[48:51], v[6:7], off nt
	;; [unrolled: 1-line block ×4, first 2 shown]
	s_waitcnt vmcnt(0)
	global_store_dwordx4 v[0:1], v[20:23], off nt
	global_store_dwordx4 v[0:1], v[24:27], off offset:1024 nt
	global_store_dwordx4 v[0:1], v[28:31], off offset:2048 nt
	;; [unrolled: 1-line block ×3, first 2 shown]
	global_store_dwordx4 v[12:13], v[36:39], off nt
	global_store_dwordx4 v[14:15], v[48:51], off nt
	;; [unrolled: 1-line block ×4, first 2 shown]
	s_mov_b64 vcc, vcc
	s_cbranch_vccz .LBB19_39
.LBB19_40:
	s_or_b64 exec, exec, s[2:3]
                                        ; implicit-def: $vgpr22_vgpr23
                                        ; implicit-def: $agpr8_agpr9
                                        ; implicit-def: $vgpr8_vgpr9
                                        ; implicit-def: $vgpr18_vgpr19
                                        ; implicit-def: $vgpr60
                                        ; implicit-def: $vgpr16
                                        ; implicit-def: $agpr6_agpr7
                                        ; implicit-def: $vgpr31
                                        ; implicit-def: $vgpr34_vgpr35
                                        ; implicit-def: $vgpr2_vgpr3
.LBB19_41:
	s_andn2_saveexec_b64 s[34:35], s[0:1]
	s_cbranch_execz .LBB19_1055
; %bb.42:
	s_trap 2
	ds_read_b64 v[4:5], v0
	s_waitcnt lgkmcnt(0)
	v_cmp_ne_u32_e32 vcc, -1, v4
	s_nop 1
	v_cndmask_b32_e64 v1, 0, 1, vcc
	v_cmp_ne_u32_e32 vcc, -1, v5
	s_nop 1
	v_addc_co_u32_e64 v0, s[0:1], 0, v1, vcc
	v_lshlrev_b32_e32 v4, 1, v0
	v_cmp_le_i32_e64 s[0:1], v4, v16
	s_and_saveexec_b64 s[2:3], s[0:1]
	s_xor_b64 s[30:31], exec, s[2:3]
	s_cbranch_execz .LBB19_1052
; %bb.43:
	flat_load_dwordx2 v[4:5], v[2:3] offset:104
	flat_load_ushort v7, v[2:3] offset:8
	flat_load_dword v6, v[2:3] offset:4
	s_trap 2
	s_load_dword s0, s[8:9], 0x0
	s_waitcnt vmcnt(0)
	v_mov_b32_e32 v9, 0
	v_mov_b32_e32 v62, 4
	s_waitcnt lgkmcnt(0)
	s_cmp_lt_u32 s12, s0
	s_cselect_b32 s0, 12, 18
	s_add_u32 s0, s8, s0
	s_addc_u32 s1, s9, 0
	global_load_ushort v17, v9, s[0:1]
	ds_read_b32 v9, v0
	v_cmp_ge_i32_e64 s[0:1], v60, v1
	s_waitcnt lgkmcnt(0)
	v_readfirstlane_b32 s14, v9
	s_and_saveexec_b64 s[2:3], s[0:1]
	s_cbranch_execz .LBB19_53
; %bb.44:
	v_cmp_le_u32_e64 s[0:1], v0, v60
                                        ; implicit-def: $vgpr62
	s_and_saveexec_b64 s[4:5], s[0:1]
	s_xor_b64 s[0:1], exec, s[4:5]
	s_cbranch_execz .LBB19_50
; %bb.45:
	v_cndmask_b32_e64 v9, 0, 1, vcc
	v_sub_u32_e32 v9, v16, v9
	v_cmp_ge_u32_e32 vcc, v60, v9
                                        ; implicit-def: $sgpr6
	s_and_saveexec_b64 s[4:5], vcc
	s_xor_b64 s[4:5], exec, s[4:5]
; %bb.46:
	s_mov_b32 s6, 16
                                        ; implicit-def: $vgpr0
; %bb.47:
	s_or_saveexec_b64 s[4:5], s[4:5]
	v_mov_b32_e32 v62, s6
	s_xor_b64 exec, exec, s[4:5]
; %bb.48:
	v_sub_u32_e32 v0, v16, v0
	v_cmp_ge_i32_e32 vcc, v60, v0
	s_nop 1
	v_cndmask_b32_e64 v0, 0, 1, vcc
	v_lshlrev_b32_e32 v62, 5, v0
; %bb.49:
	s_or_b64 exec, exec, s[4:5]
.LBB19_50:
	s_andn2_saveexec_b64 s[0:1], s[0:1]
; %bb.51:
	v_mov_b32_e32 v62, 8
; %bb.52:
	s_or_b64 exec, exec, s[0:1]
.LBB19_53:
	s_or_b64 exec, exec, s[2:3]
	v_and_b32_e32 v0, 36, v62
	v_cmp_ne_u32_e32 vcc, 0, v0
	v_mov_b32_e32 v10, -1
	s_and_saveexec_b64 s[0:1], vcc
	s_cbranch_execz .LBB19_55
; %bb.54:
	s_trap 2
	ds_read_b32 v10, v0
.LBB19_55:
	s_or_b64 exec, exec, s[0:1]
	v_and_b32_e32 v0, 24, v62
	v_cmp_ne_u32_e64 s[0:1], 0, v0
	s_and_saveexec_b64 s[2:3], s[0:1]
	s_cbranch_execz .LBB19_57
; %bb.56:
	s_trap 2
	s_waitcnt lgkmcnt(0)
	ds_read_b32 v10, v0
.LBB19_57:
	s_or_b64 exec, exec, s[2:3]
	v_mov_b64_e32 v[20:21], 0
	v_lshrrev_b64 v[6:7], 31, v[6:7]
	v_accvgpr_write_b32 a2, v20
	v_and_b32_e32 v0, 3, v6
	v_accvgpr_write_b32 a3, v21
                                        ; implicit-def: $agpr16_agpr17
                                        ; implicit-def: $vgpr40
                                        ; implicit-def: $vgpr50_vgpr51
                                        ; implicit-def: $vgpr42_vgpr43
                                        ; implicit-def: $vgpr36_vgpr37
                                        ; implicit-def: $vgpr26_vgpr27
	s_and_saveexec_b64 s[0:1], vcc
	s_cbranch_execz .LBB19_67
; %bb.58:
	s_trap 2
	ds_read_b64 v[6:7], v0
	s_waitcnt lgkmcnt(1)
	v_ashrrev_i32_e32 v11, 31, v10
	v_and_b32_e32 v9, 0xffff, v0
	s_movk_i32 s2, 0xa8
                                        ; implicit-def: $agpr16_agpr17
	s_waitcnt lgkmcnt(0)
	v_lshl_add_u64 v[6:7], v[10:11], 3, v[6:7]
	flat_load_dwordx2 v[6:7], v[6:7]
	s_waitcnt vmcnt(0) lgkmcnt(0)
	v_mad_u64_u32 v[6:7], s[2:3], v9, s2, v[6:7]
	flat_load_dword v9, v[6:7] offset:640
	s_mov_b64 s[2:3], 0x1f8
	v_lshl_add_u64 v[20:21], v[6:7], 0, s[2:3]
	s_waitcnt vmcnt(0) lgkmcnt(0)
	v_cmp_eq_u32_e32 vcc, 1, v9
	s_and_saveexec_b64 s[2:3], vcc
	s_cbranch_execz .LBB19_60
; %bb.59:
	flat_load_dwordx2 v[12:13], v[20:21] offset:144
	v_or_b32_e32 v62, 0x2000, v62
	s_waitcnt vmcnt(0) lgkmcnt(0)
	flat_load_dwordx2 v[6:7], v[12:13]
	s_trap 2
	v_accvgpr_write_b32 a17, v13
	v_accvgpr_write_b32 a16, v12
	s_waitcnt vmcnt(0) lgkmcnt(0)
	ds_write_b64 v0, v[6:7]
	flat_load_dwordx2 v[6:7], v[12:13] offset:8
	s_waitcnt vmcnt(0) lgkmcnt(0)
	ds_write_b64 v0, v[6:7]
	flat_load_dwordx2 v[6:7], v[12:13] offset:16
	s_waitcnt vmcnt(0) lgkmcnt(0)
	ds_write_b64 v0, v[6:7]
.LBB19_60:
	s_or_b64 exec, exec, s[2:3]
	flat_load_dwordx2 v[6:7], v[20:21] offset:104
	v_and_b32_e32 v9, 32, v62
	v_cmp_ne_u32_e32 vcc, 0, v9
                                        ; implicit-def: $vgpr26_vgpr27
	s_waitcnt vmcnt(0) lgkmcnt(0)
	v_lshl_add_u64 v[50:51], v[6:7], 0, 3
	v_and_b32_e32 v50, -4, v50
	s_and_saveexec_b64 s[2:3], vcc
	s_cbranch_execz .LBB19_62
; %bb.61:
	flat_load_dwordx2 v[26:27], v[20:21] offset:56
	s_waitcnt vmcnt(0) lgkmcnt(0)
	flat_store_dwordx2 v[26:27], v[50:51] sc0 sc1
.LBB19_62:
	s_or_b64 exec, exec, s[2:3]
	v_and_b32_e32 v6, 4, v62
	v_cmp_ne_u32_e32 vcc, 0, v6
	v_mov_b64_e32 v[6:7], 0
	v_accvgpr_write_b32 a2, v6
	v_accvgpr_write_b32 a3, v7
                                        ; implicit-def: $vgpr40
                                        ; implicit-def: $vgpr42_vgpr43
                                        ; implicit-def: $vgpr36_vgpr37
	s_and_saveexec_b64 s[2:3], vcc
	s_cbranch_execz .LBB19_66
; %bb.63:
	v_and_b32_e32 v6, 0x800, v62
	v_cmp_eq_u32_e32 vcc, 0, v6
	s_and_saveexec_b64 s[4:5], vcc
	s_cbranch_execz .LBB19_65
; %bb.64:
	s_trap 2
	ds_write_b64 v0, v[20:21]
.LBB19_65:
	s_or_b64 exec, exec, s[4:5]
	flat_load_dwordx2 v[26:27], v[20:21] offset:48
	v_or_b32_e32 v6, 0x100, v62
	s_waitcnt vmcnt(0) lgkmcnt(0)
	flat_load_dwordx2 v[36:37], v[26:27] sc0 sc1
	flat_load_dwordx2 v[12:13], v[20:21] offset:96
	flat_load_dword v40, v[20:21] offset:72
	flat_load_dwordx2 v[42:43], v[20:21] offset:16
	s_waitcnt vmcnt(0) lgkmcnt(0)
	v_accvgpr_write_b32 a2, v12
	v_cmp_eq_u64_e32 vcc, 0, v[12:13]
	v_accvgpr_write_b32 a3, v13
	s_nop 0
	v_cndmask_b32_e32 v62, v6, v62, vcc
.LBB19_66:
	s_or_b64 exec, exec, s[2:3]
.LBB19_67:
	s_or_b64 exec, exec, s[0:1]
	v_and_b32_e32 v6, 24, v62
	v_cmp_ne_u32_e32 vcc, 0, v6
                                        ; implicit-def: $vgpr58_vgpr59
	s_and_saveexec_b64 s[0:1], vcc
	s_cbranch_execz .LBB19_75
; %bb.68:
	s_trap 2
	ds_read_b64 v[6:7], v0
	s_waitcnt lgkmcnt(0)
	v_ashrrev_i32_e32 v11, 31, v10
	v_and_b32_e32 v0, 0xffff, v0
	s_movk_i32 s2, 0xa8
                                        ; implicit-def: $vgpr58_vgpr59
	v_lshl_add_u64 v[6:7], v[10:11], 3, v[6:7]
	flat_load_dwordx2 v[6:7], v[6:7]
	s_waitcnt vmcnt(0) lgkmcnt(0)
	v_mad_u64_u32 v[20:21], s[2:3], v0, s2, v[6:7]
	flat_load_dwordx4 v[10:13], v[20:21] offset:96
	v_or_b32_e32 v0, 0x100, v62
	s_waitcnt vmcnt(0) lgkmcnt(0)
	v_cmp_eq_u64_e32 vcc, 0, v[10:11]
	s_nop 1
	v_cndmask_b32_e32 v62, v0, v62, vcc
	v_accvgpr_write_b32 a2, v10
	v_and_b32_e32 v0, 16, v62
	v_accvgpr_write_b32 a3, v11
	v_accvgpr_write_b32 a4, v12
	;; [unrolled: 1-line block ×3, first 2 shown]
	v_cmp_ne_u32_e32 vcc, 0, v0
	s_and_saveexec_b64 s[2:3], vcc
	s_cbranch_execz .LBB19_70
; %bb.69:
	flat_load_dwordx2 v[58:59], v[20:21] offset:120
	flat_load_dwordx2 v[26:27], v[20:21] offset:48
	;; [unrolled: 1-line block ×3, first 2 shown]
.LBB19_70:
	s_or_b64 exec, exec, s[2:3]
	v_accvgpr_read_b32 v13, a5
	v_accvgpr_read_b32 v12, a4
	v_lshl_add_u64 v[50:51], v[12:13], 0, 3
	v_and_b32_e32 v0, 8, v62
	v_and_b32_e32 v50, -4, v50
	v_cmp_ne_u32_e32 vcc, 0, v0
	v_accvgpr_read_b32 v11, a3
	v_accvgpr_read_b32 v10, a2
	s_and_saveexec_b64 s[2:3], vcc
	s_cbranch_execz .LBB19_74
; %bb.71:
	v_and_b32_e32 v0, 0x800, v62
	v_cmp_eq_u32_e32 vcc, 0, v0
	s_and_saveexec_b64 s[4:5], vcc
	s_cbranch_execz .LBB19_73
; %bb.72:
	s_trap 2
	ds_write_b64 v0, v[20:21]
.LBB19_73:
	s_or_b64 exec, exec, s[4:5]
	s_waitcnt vmcnt(0) lgkmcnt(0)
	flat_load_dwordx2 v[26:27], v[20:21] offset:56
	s_waitcnt vmcnt(0) lgkmcnt(0)
	flat_load_dwordx2 v[36:37], v[26:27] sc0 sc1
	flat_load_dword v40, v[20:21] offset:72
	flat_load_dwordx2 v[42:43], v[20:21] offset:16
.LBB19_74:
	s_or_b64 exec, exec, s[2:3]
.LBB19_75:
	s_or_b64 exec, exec, s[0:1]
	v_cmp_eq_u32_e64 s[0:1], 0, v60
	s_and_saveexec_b64 s[2:3], s[0:1]
	s_cbranch_execz .LBB19_77
; %bb.76:
	flat_load_dwordx2 v[6:7], v[2:3] offset:32
	s_waitcnt lgkmcnt(0)
	v_mov_b32_e32 v10, v34
	v_mov_b32_e32 v11, v35
	v_mov_b32_e32 v12, v32
	v_mov_b32_e32 v13, v33
	ds_write2_b64 v0, v[10:11], v[12:13] offset1:1
	s_trap 2
	s_waitcnt vmcnt(0)
	ds_write_b64 v0, v[6:7]
	ds_write_b64 v0, v[4:5]
.LBB19_77:
	s_or_b64 exec, exec, s[2:3]
	s_mov_b64 s[38:39], 0
	v_cmp_ne_u64_e32 vcc, 0, v[22:23]
	v_mov_b64_e32 v[14:15], 0
	s_and_saveexec_b64 s[36:37], vcc
	s_cbranch_execz .LBB19_1016
; %bb.78:
	flat_load_dword v0, v[2:3] offset:4
	v_mov_b32_e32 v39, 0
	v_lshlrev_b32_e32 v4, 9, v8
	v_mov_b32_e32 v11, v39
	v_cvt_f64_u32_e32 v[2:3], 0
	s_waitcnt lgkmcnt(0)
	v_and_b32_e32 v10, 0x3ffffe00, v4
	v_accvgpr_write_b32 a33, v11
	s_ashr_i32 s12, s14, 31
	v_and_b32_e32 v5, 63, v31
	v_ashrrev_i32_e32 v6, 31, v60
	v_ldexp_f64 v[2:3], v[2:3], 32
	v_accvgpr_write_b32 a32, v10
	v_cvt_f64_u32_e32 v[10:11], v10
	s_lshr_b32 s15, s12, 25
	v_cmp_eq_u32_e64 s[12:13], 0, v5
	v_lshrrev_b32_e32 v5, 26, v6
	v_add_f64 v[2:3], v[2:3], v[10:11]
	v_accvgpr_write_b32 a10, v32
	v_lshrrev_b32_e32 v48, 6, v16
	v_mov_b32_e32 v7, 0xfffff000
	v_add_u32_e32 v12, v60, v5
	v_accvgpr_write_b32 a39, v3
	v_accvgpr_write_b32 a11, v33
	;; [unrolled: 1-line block ×4, first 2 shown]
	v_mov_b32_e32 v8, 0xfffff800
	v_and_b32_e32 v34, 0xffffffc0, v16
	v_mov_b32_e32 v9, 0xffffe000
	v_lshl_add_u32 v4, v48, 12, v7
	v_lshlrev_b32_e32 v61, 10, v48
	v_accvgpr_write_b32 a38, v2
	v_ashrrev_i32_e32 v41, 6, v12
	v_and_b32_e32 v2, 0xffffffc0, v12
	v_cmp_eq_u32_e64 s[2:3], 64, v16
	v_cmp_ne_u32_e64 s[4:5], 64, v16
	s_waitcnt vmcnt(0)
	v_cmp_ne_u32_sdwa s[40:41], v17, v16 src0_sel:WORD_0 src1_sel:DWORD
	s_mov_b64 s[16:17], 0x1000
	v_accvgpr_write_b32 a0, v16
	v_lshl_add_u32 v6, v48, 11, v8
	v_subrev_u32_e32 v24, 64, v34
	v_lshl_add_u32 v8, v48, 13, v9
	v_ashrrev_i32_e32 v5, 31, v4
	v_add_u32_e32 v16, 0xfffffc00, v61
	v_sub_u32_e32 v3, v60, v2
	v_lshlrev_b32_e32 v2, 12, v41
	v_accvgpr_write_b32 a5, v17
	s_mov_b64 s[42:43], 0x400
	s_mov_b64 s[20:21], 0x2000
	s_add_i32 s14, s14, s15
	v_ashrrev_i32_e32 v25, 31, v24
	v_ashrrev_i32_e32 v9, 31, v8
	v_lshl_add_u64 v[12:13], v[4:5], 0, s[16:17]
	v_ashrrev_i32_e32 v17, 31, v16
	v_lshl_add_u32 v4, v3, 4, v2
	s_ashr_i32 s75, s14, 7
	v_lshl_add_u64 v[28:29], v[24:25], 0, 64
	v_lshl_add_u64 v[54:55], v[8:9], 0, s[20:21]
	;; [unrolled: 1-line block ×3, first 2 shown]
	v_ashrrev_i32_e32 v5, 31, v4
	v_accvgpr_write_b32 a18, v20
	v_accvgpr_write_b32 a14, v18
	v_ashrrev_i32_e32 v47, 31, v40
	s_mov_b64 s[18:19], 0x800
	v_mov_b64_e32 v[14:15], 0
	v_ashrrev_i32_e32 v7, 31, v6
	v_accvgpr_write_b32 a37, v17
	s_cmp_gt_i32 s70, 2
	v_accvgpr_write_b32 a51, v5
	v_add_u32_e32 v30, v4, v2
	v_accvgpr_read_b32 v33, a3
	v_accvgpr_mov_b32 a21, a3
	v_accvgpr_write_b32 a24, v42
	v_accvgpr_write_b32 a26, v58
	;; [unrolled: 1-line block ×9, first 2 shown]
	v_and_b32_e32 v0, 1, v0
	v_cmp_eq_u32_e64 s[20:21], 1, v0
	v_accvgpr_write_b32 a1, v31
	s_movk_i32 s71, 0xffc0
	s_movk_i32 s72, 0xfc00
	v_cmp_eq_u64_e64 s[6:7], 0, v[58:59]
	v_cmp_ne_u64_e64 s[10:11], 0, v[58:59]
	s_movk_i32 s73, 0x270e
	v_mov_b32_e32 v46, 1
	s_mov_b64 s[44:45], 0x7c0
	s_movk_i32 s74, 0x108
	v_mov_b32_e32 v49, v39
	v_lshl_add_u64 v[56:57], v[6:7], 0, s[18:19]
	v_accvgpr_write_b32 a36, v16
	v_cmp_gt_i32_e64 s[14:15], 1, v3
	v_cmp_le_i32_e64 s[16:17], v3, v1
	v_accvgpr_write_b32 a41, v3
	v_cmp_lt_i32_e64 s[18:19], v3, v1
	s_cselect_b64 s[46:47], -1, 0
	s_add_i32 s76, s70, -2
	v_accvgpr_write_b32 a50, v4
	v_ashrrev_i32_e32 v31, 31, v30
	v_mov_b64_e32 v[0:1], v[14:15]
	s_xor_b64 s[48:49], s[20:21], -1
	v_accvgpr_write_b32 a4, v60
	v_accvgpr_read_b32 v32, a2
	v_accvgpr_mov_b32 a20, a2
	v_accvgpr_write_b32 a22, v40
	v_accvgpr_write_b32 a25, v43
	;; [unrolled: 1-line block ×12, first 2 shown]
	s_trap 2
	scratch_store_dwordx2 off, v[30:31], s33 offset:172 ; 8-byte Folded Spill
	s_branch .LBB19_81
.LBB19_79:                              ;   in Loop: Header=BB19_81 Depth=1
	s_or_b64 exec, exec, s[26:27]
.LBB19_80:                              ;   in Loop: Header=BB19_81 Depth=1
	s_or_b64 exec, exec, s[24:25]
	v_accvgpr_read_b32 v0, a30
	v_accvgpr_read_b32 v2, a32
	;; [unrolled: 1-line block ×5, first 2 shown]
	v_lshl_add_u64 v[0:1], v[0:1], 0, v[2:3]
	v_accvgpr_read_b32 v22, a2
	v_cmp_ge_u64_e32 vcc, v[0:1], v[22:23]
	s_or_b64 s[38:39], vcc, s[38:39]
	s_andn2_b64 exec, exec, s[38:39]
	s_cbranch_execz .LBB19_1015
.LBB19_81:                              ; =>This Loop Header: Depth=1
                                        ;     Child Loop BB19_86 Depth 2
                                        ;       Child Loop BB19_94 Depth 3
                                        ;       Child Loop BB19_118 Depth 3
                                        ;       Child Loop BB19_137 Depth 3
                                        ;       Child Loop BB19_205 Depth 3
                                        ;       Child Loop BB19_210 Depth 3
                                        ;       Child Loop BB19_218 Depth 3
                                        ;       Child Loop BB19_223 Depth 3
                                        ;       Child Loop BB19_172 Depth 3
                                        ;       Child Loop BB19_177 Depth 3
                                        ;         Child Loop BB19_178 Depth 4
                                        ;       Child Loop BB19_187 Depth 3
                                        ;       Child Loop BB19_192 Depth 3
                                        ;         Child Loop BB19_193 Depth 4
                                        ;       Child Loop BB19_165 Depth 3
                                        ;       Child Loop BB19_245 Depth 3
                                        ;     Child Loop BB19_405 Depth 2
                                        ;       Child Loop BB19_411 Depth 3
                                        ;       Child Loop BB19_435 Depth 3
	;; [unrolled: 1-line block ×3, first 2 shown]
                                        ;     Child Loop BB19_263 Depth 2
                                        ;       Child Loop BB19_271 Depth 3
                                        ;       Child Loop BB19_295 Depth 3
	;; [unrolled: 1-line block ×9, first 2 shown]
                                        ;     Child Loop BB19_477 Depth 2
                                        ;       Child Loop BB19_483 Depth 3
                                        ;       Child Loop BB19_507 Depth 3
	;; [unrolled: 1-line block ×3, first 2 shown]
                                        ;     Child Loop BB19_548 Depth 2
                                        ;       Child Loop BB19_551 Depth 3
                                        ;         Child Loop BB19_559 Depth 4
                                        ;         Child Loop BB19_585 Depth 4
	;; [unrolled: 1-line block ×9, first 2 shown]
                                        ;           Child Loop BB19_645 Depth 5
                                        ;         Child Loop BB19_654 Depth 4
                                        ;         Child Loop BB19_659 Depth 4
                                        ;           Child Loop BB19_660 Depth 5
                                        ;         Child Loop BB19_632 Depth 4
                                        ;         Child Loop BB19_711 Depth 4
                                        ;       Child Loop BB19_729 Depth 3
                                        ;         Child Loop BB19_735 Depth 4
                                        ;         Child Loop BB19_773 Depth 4
                                        ;         Child Loop BB19_761 Depth 4
                                        ;     Child Loop BB19_810 Depth 2
                                        ;       Child Loop BB19_818 Depth 3
                                        ;       Child Loop BB19_842 Depth 3
	;; [unrolled: 1-line block ×9, first 2 shown]
                                        ;     Child Loop BB19_949 Depth 2
                                        ;       Child Loop BB19_955 Depth 3
                                        ;       Child Loop BB19_979 Depth 3
	;; [unrolled: 1-line block ×3, first 2 shown]
	v_sub_co_u32_e32 v2, vcc, v22, v0
	v_mov_b64_e32 v[6:7], v[0:1]
	s_nop 0
	v_subb_co_u32_e32 v0, vcc, v23, v7, vcc
	v_cvt_f64_u32_e32 v[0:1], v0
	v_ldexp_f64 v[0:1], v[0:1], 32
	v_cvt_f64_u32_e32 v[2:3], v2
	v_add_f64 v[0:1], v[0:1], v[2:3]
	v_accvgpr_read_b32 v2, a38
	v_accvgpr_read_b32 v3, a39
	v_max_f64 v[2:3], v[2:3], v[2:3]
	v_min_f64 v[0:1], v[2:3], v[0:1]
	v_cvt_i32_f64_e32 v4, v[0:1]
	v_accvgpr_read_b32 v0, a8
	v_accvgpr_read_b32 v1, a9
	v_lshl_add_u64 v[10:11], v[6:7], 0, v[0:1]
	v_accvgpr_read_b32 v0, a6
	v_accvgpr_read_b32 v1, a7
	flat_load_dword v0, v[0:1]
	v_accvgpr_write_b32 a31, v7
	v_accvgpr_write_b32 a30, v6
	v_accvgpr_read_b32 v6, a14
	v_accvgpr_read_b32 v7, a15
	v_max_i32_e32 v44, 0, v4
	v_accvgpr_write_b32 a2, v22
	v_accvgpr_write_b32 a57, v11
	;; [unrolled: 1-line block ×4, first 2 shown]
	s_waitcnt vmcnt(0) lgkmcnt(0)
	v_ashrrev_i32_e32 v1, 31, v0
	v_mul_lo_u32 v2, v7, v0
	v_mul_lo_u32 v1, v6, v1
	v_mad_u64_u32 v[16:17], s[22:23], v6, v0, v[10:11]
	v_accvgpr_read_b32 v6, a10
	v_add3_u32 v17, v2, v17, v1
	v_accvgpr_read_b32 v7, a11
	v_accvgpr_read_b32 v8, a12
	;; [unrolled: 1-line block ×3, first 2 shown]
	v_lshl_add_u64 v[0:1], v[8:9], 0, v[10:11]
	v_lshl_add_u64 v[2:3], v[6:7], 0, v[16:17]
	v_cmp_ne_u64_e32 vcc, v[0:1], v[2:3]
	v_add_u32_e32 v0, 31, v44
	v_ashrrev_i32_e32 v1, 31, v0
	v_lshrrev_b32_e32 v1, 27, v1
	v_add_u32_e32 v0, v0, v1
	v_ashrrev_i32_e32 v0, 5, v0
	v_accvgpr_write_b32 a59, v17
	v_lshlrev_b32_e32 v0, 4, v0
	v_accvgpr_write_b32 a58, v16
	v_max_i32_e32 v45, s75, v0
	v_cmp_lt_i32_e64 s[22:23], 0, v4
	s_mov_b64 s[24:25], exec
	s_and_b64 s[26:27], s[24:25], vcc
	s_xor_b64 s[50:51], s[26:27], s[24:25]
	v_accvgpr_write_b32 a52, v44
	v_accvgpr_write_b32 a53, v45
	s_mov_b64 exec, s[26:27]
	s_cbranch_execz .LBB19_258
; %bb.82:                               ;   in Loop: Header=BB19_81 Depth=1
	v_mov_b32_e32 v0, 0
	v_mov_b32_e32 v22, v45
	;; [unrolled: 1-line block ×3, first 2 shown]
	s_and_saveexec_b64 s[52:53], s[22:23]
	s_cbranch_execz .LBB19_401
; %bb.83:                               ;   in Loop: Header=BB19_81 Depth=1
	s_mov_b32 s77, 1
	s_mov_b64 s[56:57], -1
	s_mov_b64 s[54:55], 0
	v_mov_b32_e32 v18, 0
	v_mov_b32_e32 v22, v45
	s_branch .LBB19_86
.LBB19_84:                              ;   in Loop: Header=BB19_86 Depth=2
	s_or_b64 exec, exec, s[26:27]
	v_lshl_add_u64 v[50:51], v[50:51], 0, 2
	flat_store_dwordx2 v[26:27], v[50:51] sc0 sc1
.LBB19_85:                              ;   in Loop: Header=BB19_86 Depth=2
	s_or_b64 exec, exec, s[24:25]
	v_add_u32_e32 v18, v22, v18
	v_cmp_ge_i32_e32 vcc, v18, v44
	s_xor_b64 s[24:25], s[56:57], -1
	s_or_b64 s[24:25], s[24:25], vcc
	s_and_b64 s[24:25], exec, s[24:25]
	s_or_b64 s[54:55], s[24:25], s[54:55]
	s_mov_b64 s[56:57], 0
	v_mov_b32_e32 v0, s77
	s_mov_b32 s77, 2
	s_andn2_b64 exec, exec, s[54:55]
	s_cbranch_execz .LBB19_400
.LBB19_86:                              ;   Parent Loop BB19_81 Depth=1
                                        ; =>  This Loop Header: Depth=2
                                        ;       Child Loop BB19_94 Depth 3
                                        ;       Child Loop BB19_118 Depth 3
	;; [unrolled: 1-line block ×9, first 2 shown]
                                        ;         Child Loop BB19_178 Depth 4
                                        ;       Child Loop BB19_187 Depth 3
                                        ;       Child Loop BB19_192 Depth 3
                                        ;         Child Loop BB19_193 Depth 4
                                        ;       Child Loop BB19_165 Depth 3
                                        ;       Child Loop BB19_245 Depth 3
	s_and_saveexec_b64 s[24:25], s[0:1]
	s_cbranch_execz .LBB19_88
; %bb.87:                               ;   in Loop: Header=BB19_86 Depth=2
	s_trap 2
	ds_read2_b64 v[0:3], v0 offset1:1
	v_accvgpr_read_b32 v6, a56
	v_accvgpr_read_b32 v7, a57
	v_ashrrev_i32_e32 v19, 31, v18
	s_waitcnt lgkmcnt(0)
	ds_read_b64 v[4:5], v0
	v_lshl_add_u64 v[0:1], v[0:1], 0, v[6:7]
	v_accvgpr_read_b32 v6, a58
	v_accvgpr_read_b32 v7, a59
	v_lshl_add_u64 v[2:3], v[2:3], 0, v[6:7]
	v_lshl_add_u64 v[0:1], v[0:1], 0, v[18:19]
	ds_write_b64 v0, v[0:1]
	v_lshl_add_u64 v[0:1], v[2:3], 0, v[18:19]
	ds_write_b64 v0, v[0:1]
	s_waitcnt lgkmcnt(0)
	v_lshl_add_u64 v[0:1], v[4:5], 0, v[6:7]
	v_lshl_add_u64 v[0:1], v[0:1], 0, v[18:19]
	v_cmp_ne_u64_e32 vcc, 0, v[4:5]
	s_nop 1
	v_cndmask_b32_e32 v1, 0, v1, vcc
	v_cndmask_b32_e32 v0, 0, v0, vcc
	ds_write_b64 v0, v[0:1]
.LBB19_88:                              ;   in Loop: Header=BB19_86 Depth=2
	s_or_b64 exec, exec, s[24:25]
	v_and_b32_e32 v0, 8, v62
	v_cmp_ne_u32_e32 vcc, 0, v0
	s_mov_b64 s[26:27], -1
	v_lshl_add_u64 v[2:3], v[50:51], 0, 2
	s_and_saveexec_b64 s[24:25], vcc
	s_cbranch_execz .LBB19_100
; %bb.89:                               ;   in Loop: Header=BB19_86 Depth=2
	v_lshl_add_u64 v[0:1], v[36:37], 0, 8
	v_lshl_add_u64 v[4:5], v[50:51], 0, 2
	v_cmp_lt_u64_e32 vcc, v[0:1], v[4:5]
	v_mov_b32_e32 v0, 1
	s_and_saveexec_b64 s[26:27], vcc
	s_cbranch_execz .LBB19_99
; %bb.90:                               ;   in Loop: Header=BB19_86 Depth=2
	s_mov_b64 s[28:29], 0
	v_mov_b32_e32 v0, 0
                                        ; implicit-def: $sgpr58_sgpr59
	s_branch .LBB19_94
.LBB19_91:                              ;   in Loop: Header=BB19_94 Depth=3
	s_or_b64 exec, exec, s[66:67]
	v_mov_b32_e32 v1, 0
	s_orn2_b64 s[64:65], s[64:65], exec
.LBB19_92:                              ;   in Loop: Header=BB19_94 Depth=3
	s_or_b64 exec, exec, s[62:63]
	s_andn2_b64 vcc, s[58:59], exec
	s_and_b64 s[58:59], s[64:65], exec
	s_or_b64 s[58:59], vcc, s[58:59]
	v_mov_b32_e32 v0, v1
.LBB19_93:                              ;   in Loop: Header=BB19_94 Depth=3
	s_or_b64 exec, exec, s[60:61]
	s_waitcnt vmcnt(0) lgkmcnt(0)
	v_lshl_add_u64 v[6:7], v[36:37], 0, 8
	v_cmp_ge_u64_e32 vcc, v[6:7], v[4:5]
	s_xor_b64 s[60:61], s[58:59], -1
	s_or_b64 vcc, s[60:61], vcc
	s_and_b64 vcc, exec, vcc
	s_or_b64 s[28:29], vcc, s[28:29]
	s_andn2_b64 exec, exec, s[28:29]
	s_cbranch_execz .LBB19_98
.LBB19_94:                              ;   Parent Loop BB19_81 Depth=1
                                        ;     Parent Loop BB19_86 Depth=2
                                        ; =>    This Inner Loop Header: Depth=3
	s_sleep 1
	flat_load_dwordx2 v[36:37], v[26:27] sc0 sc1
	v_and_b32_e32 v1, 64, v62
	v_cmp_eq_u32_e32 vcc, 0, v1
	s_andn2_b64 s[58:59], s[58:59], exec
	s_and_saveexec_b64 s[60:61], vcc
	s_cbranch_execz .LBB19_93
; %bb.95:                               ;   in Loop: Header=BB19_94 Depth=3
	v_add_u32_e32 v1, 1, v0
	v_cmp_lt_i32_e32 vcc, s73, v0
	s_mov_b64 s[64:65], -1
	s_and_saveexec_b64 s[62:63], vcc
	s_cbranch_execz .LBB19_92
; %bb.96:                               ;   in Loop: Header=BB19_94 Depth=3
	s_trap 2
	ds_read_b64 v[0:1], v0
	s_waitcnt vmcnt(0) lgkmcnt(0)
	flat_load_dword v0, v[0:1] sc0 sc1
	s_waitcnt vmcnt(0) lgkmcnt(0)
	buffer_inv sc0 sc1
	v_cmp_ne_u32_e32 vcc, 0, v0
	s_and_saveexec_b64 s[66:67], vcc
	s_cbranch_execz .LBB19_91
; %bb.97:                               ;   in Loop: Header=BB19_94 Depth=3
	v_or_b32_e32 v62, 64, v62
	s_xor_b64 s[64:65], exec, -1
	ds_write_b32 v0, v0
	s_trap 2
	s_branch .LBB19_91
.LBB19_98:                              ;   in Loop: Header=BB19_86 Depth=2
	s_or_b64 exec, exec, s[28:29]
	v_and_b32_e32 v0, 8, v62
.LBB19_99:                              ;   in Loop: Header=BB19_86 Depth=2
	s_or_b64 exec, exec, s[26:27]
	v_cmp_eq_u32_e32 vcc, 0, v0
	s_orn2_b64 s[26:27], vcc, exec
	;;#ASMSTART
	s_wakeup
	;;#ASMEND
.LBB19_100:                             ;   in Loop: Header=BB19_86 Depth=2
	s_or_b64 exec, exec, s[24:25]
	v_sub_u32_e32 v0, v44, v18
	s_xor_b64 s[24:25], s[26:27], -1
	v_min_i32_e32 v22, v22, v0
	s_and_saveexec_b64 s[26:27], s[24:25]
	s_cbranch_execz .LBB19_110
; %bb.101:                              ;   in Loop: Header=BB19_86 Depth=2
	v_and_b32_e32 v0, 0x100, v62
	v_cmp_ne_u32_e32 vcc, 0, v0
	v_and_b32_e32 v0, 7, v50
	s_mov_b64 s[24:25], -1
                                        ; implicit-def: $vgpr4_vgpr5
	s_and_saveexec_b64 s[28:29], vcc
	s_cbranch_execz .LBB19_105
; %bb.102:                              ;   in Loop: Header=BB19_86 Depth=2
	v_mad_u64_u32 v[6:7], s[24:25], v0, 24, v[32:33]
	flat_load_dword v1, v[6:7]
	v_ashrrev_i32_e32 v23, 31, v22
	flat_store_dwordx2 v[6:7], v[22:23] offset:8
                                        ; implicit-def: $vgpr4_vgpr5
	s_waitcnt vmcnt(0) lgkmcnt(0)
	v_cmp_ne_u32_e32 vcc, 1, v1
	v_cmp_eq_u32_e64 s[24:25], 1, v1
	s_and_saveexec_b64 s[58:59], s[24:25]
	s_cbranch_execz .LBB19_104
; %bb.103:                              ;   in Loop: Header=BB19_86 Depth=2
	flat_load_dword v4, v[6:7] offset:4 sc0 sc1
	s_waitcnt vmcnt(0) lgkmcnt(0)
	v_ashrrev_i32_e32 v5, 31, v4
.LBB19_104:                             ;   in Loop: Header=BB19_86 Depth=2
	s_or_b64 exec, exec, s[58:59]
	s_orn2_b64 s[24:25], vcc, exec
.LBB19_105:                             ;   in Loop: Header=BB19_86 Depth=2
	s_or_b64 exec, exec, s[28:29]
	s_and_saveexec_b64 s[28:29], s[24:25]
; %bb.106:                              ;   in Loop: Header=BB19_86 Depth=2
	v_mad_i64_i32 v[4:5], s[24:25], v0, v40, 0
; %bb.107:                              ;   in Loop: Header=BB19_86 Depth=2
	s_or_b64 exec, exec, s[28:29]
	v_lshl_add_u64 v[0:1], v[42:43], 0, v[4:5]
	ds_write_b64 v0, v[0:1] offset:792
	v_and_b32_e32 v0, 0x2000, v62
	v_cmp_ne_u32_e32 vcc, 0, v0
	s_and_saveexec_b64 s[24:25], vcc
	s_cbranch_execz .LBB19_109
; %bb.108:                              ;   in Loop: Header=BB19_86 Depth=2
	ds_read_b64 v[0:1], v0 offset:584
	s_waitcnt lgkmcnt(0)
	v_lshl_add_u64 v[0:1], v[0:1], 0, 1
	ds_write_b64 v0, v[0:1] offset:584
.LBB19_109:                             ;   in Loop: Header=BB19_86 Depth=2
	s_or_b64 exec, exec, s[24:25]
	v_mov_b64_e32 v[50:51], v[2:3]
.LBB19_110:                             ;   in Loop: Header=BB19_86 Depth=2
	s_or_b64 exec, exec, s[26:27]
	s_and_saveexec_b64 s[24:25], s[4:5]
	s_cbranch_execz .LBB19_129
; %bb.111:                              ;   in Loop: Header=BB19_86 Depth=2
	s_and_saveexec_b64 s[26:27], s[40:41]
	s_xor_b64 s[26:27], exec, s[26:27]
	s_cbranch_execz .LBB19_126
; %bb.112:                              ;   in Loop: Header=BB19_86 Depth=2
	s_and_saveexec_b64 s[28:29], s[12:13]
	s_cbranch_execz .LBB19_125
; %bb.113:                              ;   in Loop: Header=BB19_86 Depth=2
	s_mov_b64 s[60:61], exec
	v_mbcnt_lo_u32_b32 v0, s60, 0
	v_mbcnt_hi_u32_b32 v0, s61, v0
	v_cmp_eq_u32_e32 vcc, 0, v0
	s_waitcnt lgkmcnt(0)
	s_and_saveexec_b64 s[58:59], vcc
	s_cbranch_execz .LBB19_115
; %bb.114:                              ;   in Loop: Header=BB19_86 Depth=2
	s_bcnt1_i32_b64 vcc_lo, s[60:61]
	v_mov_b32_e32 v38, vcc_lo
	ds_add_u64 v0, v[38:39]
	s_trap 2
.LBB19_115:                             ;   in Loop: Header=BB19_86 Depth=2
	s_or_b64 exec, exec, s[58:59]
	s_trap 2
	ds_read_b64 v[0:1], v0
	v_lshl_add_u64 v[14:15], v[14:15], 0, v[48:49]
	s_waitcnt lgkmcnt(0)
	v_cmp_lt_u64_e32 vcc, v[0:1], v[14:15]
	s_and_saveexec_b64 s[58:59], vcc
	s_cbranch_execz .LBB19_124
; %bb.116:                              ;   in Loop: Header=BB19_86 Depth=2
	s_mov_b32 s78, 0
	s_mov_b64 s[60:61], 0
                                        ; implicit-def: $sgpr62_sgpr63
                                        ; implicit-def: $sgpr64_sgpr65
	s_branch .LBB19_118
.LBB19_117:                             ;   in Loop: Header=BB19_118 Depth=3
	s_or_b64 exec, exec, s[68:69]
	s_and_b64 vcc, exec, vcc
	s_or_b64 s[60:61], vcc, s[60:61]
	s_andn2_b64 vcc, s[62:63], exec
	s_and_b64 s[62:63], s[64:65], exec
	s_or_b64 s[62:63], vcc, s[62:63]
	s_andn2_b64 exec, exec, s[60:61]
	s_cbranch_execz .LBB19_122
.LBB19_118:                             ;   Parent Loop BB19_81 Depth=1
                                        ;     Parent Loop BB19_86 Depth=2
                                        ; =>    This Inner Loop Header: Depth=3
	s_add_i32 s78, s78, 1
	s_cmpk_lg_i32 s78, 0x2710
	s_cselect_b64 s[66:67], -1, 0
	s_and_b64 vcc, exec, s[66:67]
                                        ; implicit-def: $sgpr68_sgpr69
	s_cbranch_vccnz .LBB19_120
; %bb.119:                              ;   in Loop: Header=BB19_118 Depth=3
	s_trap 2
	ds_read_b64 v[0:1], v0
	s_andn2_b64 s[66:67], s[66:67], exec
	s_mov_b32 s78, 0
	s_mov_b64 s[68:69], -1
	s_waitcnt lgkmcnt(0)
	flat_load_dword v0, v[0:1] sc0 sc1
	s_waitcnt vmcnt(0) lgkmcnt(0)
	buffer_inv sc0 sc1
	v_cmp_eq_u32_e32 vcc, 0, v0
	s_and_b64 vcc, vcc, exec
	s_or_b64 s[66:67], s[66:67], vcc
.LBB19_120:                             ;   in Loop: Header=BB19_118 Depth=3
	s_andn2_b64 s[64:65], s[64:65], exec
	s_and_b64 s[68:69], s[68:69], exec
	s_mov_b64 vcc, -1
	s_or_b64 s[64:65], s[64:65], s[68:69]
	s_and_saveexec_b64 s[68:69], s[66:67]
	s_cbranch_execz .LBB19_117
; %bb.121:                              ;   in Loop: Header=BB19_118 Depth=3
	s_sleep 1
	s_trap 2
	ds_read_b64 v[0:1], v0
	s_andn2_b64 s[64:65], s[64:65], exec
	s_waitcnt lgkmcnt(0)
	v_cmp_ge_u64_e32 vcc, v[0:1], v[14:15]
	s_orn2_b64 vcc, vcc, exec
	s_branch .LBB19_117
.LBB19_122:                             ;   in Loop: Header=BB19_86 Depth=2
	s_or_b64 exec, exec, s[60:61]
	s_and_saveexec_b64 vcc, s[62:63]
	s_xor_b64 vcc, exec, vcc
	s_cbranch_execz .LBB19_124
; %bb.123:                              ;   in Loop: Header=BB19_86 Depth=2
	ds_write_b32 v0, v46
	s_trap 2
.LBB19_124:                             ;   in Loop: Header=BB19_86 Depth=2
	s_or_b64 exec, exec, s[58:59]
	;;#ASMSTART
	s_wakeup
	;;#ASMEND
.LBB19_125:                             ;   in Loop: Header=BB19_86 Depth=2
	s_or_b64 exec, exec, s[28:29]
.LBB19_126:                             ;   in Loop: Header=BB19_86 Depth=2
	s_andn2_saveexec_b64 s[26:27], s[26:27]
	s_cbranch_execz .LBB19_128
; %bb.127:                              ;   in Loop: Header=BB19_86 Depth=2
	s_waitcnt lgkmcnt(0)
	s_barrier
.LBB19_128:                             ;   in Loop: Header=BB19_86 Depth=2
	s_or_b64 exec, exec, s[26:27]
.LBB19_129:                             ;   in Loop: Header=BB19_86 Depth=2
	s_or_b64 exec, exec, s[24:25]
	s_trap 2
	ds_read_b32 v0, v0
	v_and_b32_e32 v1, 0x4000, v62
	v_cmp_ne_u32_e32 vcc, 0, v1
	s_xor_b64 s[24:25], s[2:3], -1
	s_and_b64 s[26:27], s[24:25], vcc
	s_and_saveexec_b64 s[24:25], s[26:27]
	s_cbranch_execz .LBB19_148
; %bb.130:                              ;   in Loop: Header=BB19_86 Depth=2
	s_and_saveexec_b64 s[26:27], s[40:41]
	s_xor_b64 s[26:27], exec, s[26:27]
	s_cbranch_execz .LBB19_145
; %bb.131:                              ;   in Loop: Header=BB19_86 Depth=2
	s_and_saveexec_b64 s[28:29], s[12:13]
	s_cbranch_execz .LBB19_144
; %bb.132:                              ;   in Loop: Header=BB19_86 Depth=2
	s_mov_b64 s[60:61], exec
	v_mbcnt_lo_u32_b32 v1, s60, 0
	v_mbcnt_hi_u32_b32 v1, s61, v1
	v_cmp_eq_u32_e32 vcc, 0, v1
	s_waitcnt lgkmcnt(0)
	s_and_saveexec_b64 s[58:59], vcc
	s_cbranch_execz .LBB19_134
; %bb.133:                              ;   in Loop: Header=BB19_86 Depth=2
	s_bcnt1_i32_b64 vcc_lo, s[60:61]
	v_mov_b32_e32 v38, vcc_lo
	ds_add_u64 v0, v[38:39]
	s_trap 2
.LBB19_134:                             ;   in Loop: Header=BB19_86 Depth=2
	s_or_b64 exec, exec, s[58:59]
	s_trap 2
	ds_read_b64 v[2:3], v0
	v_lshl_add_u64 v[14:15], v[14:15], 0, v[48:49]
	s_waitcnt lgkmcnt(0)
	v_cmp_lt_u64_e32 vcc, v[2:3], v[14:15]
	s_and_saveexec_b64 s[58:59], vcc
	s_cbranch_execz .LBB19_143
; %bb.135:                              ;   in Loop: Header=BB19_86 Depth=2
	s_mov_b32 s78, 0
	s_mov_b64 s[60:61], 0
                                        ; implicit-def: $sgpr62_sgpr63
                                        ; implicit-def: $sgpr64_sgpr65
	s_branch .LBB19_137
.LBB19_136:                             ;   in Loop: Header=BB19_137 Depth=3
	s_or_b64 exec, exec, s[68:69]
	s_and_b64 vcc, exec, vcc
	s_or_b64 s[60:61], vcc, s[60:61]
	s_andn2_b64 vcc, s[62:63], exec
	s_and_b64 s[62:63], s[64:65], exec
	s_or_b64 s[62:63], vcc, s[62:63]
	s_andn2_b64 exec, exec, s[60:61]
	s_cbranch_execz .LBB19_141
.LBB19_137:                             ;   Parent Loop BB19_81 Depth=1
                                        ;     Parent Loop BB19_86 Depth=2
                                        ; =>    This Inner Loop Header: Depth=3
	s_add_i32 s78, s78, 1
	s_cmpk_lg_i32 s78, 0x2710
	s_cselect_b64 s[66:67], -1, 0
	s_and_b64 vcc, exec, s[66:67]
                                        ; implicit-def: $sgpr68_sgpr69
	s_cbranch_vccnz .LBB19_139
; %bb.138:                              ;   in Loop: Header=BB19_137 Depth=3
	s_trap 2
	ds_read_b64 v[2:3], v0
	s_andn2_b64 s[66:67], s[66:67], exec
	s_mov_b32 s78, 0
	s_mov_b64 s[68:69], -1
	s_waitcnt lgkmcnt(0)
	flat_load_dword v1, v[2:3] sc0 sc1
	s_waitcnt vmcnt(0) lgkmcnt(0)
	buffer_inv sc0 sc1
	v_cmp_eq_u32_e32 vcc, 0, v1
	s_and_b64 vcc, vcc, exec
	s_or_b64 s[66:67], s[66:67], vcc
.LBB19_139:                             ;   in Loop: Header=BB19_137 Depth=3
	s_andn2_b64 s[64:65], s[64:65], exec
	s_and_b64 s[68:69], s[68:69], exec
	s_mov_b64 vcc, -1
	s_or_b64 s[64:65], s[64:65], s[68:69]
	s_and_saveexec_b64 s[68:69], s[66:67]
	s_cbranch_execz .LBB19_136
; %bb.140:                              ;   in Loop: Header=BB19_137 Depth=3
	s_sleep 1
	s_trap 2
	ds_read_b64 v[2:3], v0
	s_andn2_b64 s[64:65], s[64:65], exec
	s_waitcnt lgkmcnt(0)
	v_cmp_ge_u64_e32 vcc, v[2:3], v[14:15]
	s_orn2_b64 vcc, vcc, exec
	s_branch .LBB19_136
.LBB19_141:                             ;   in Loop: Header=BB19_86 Depth=2
	s_or_b64 exec, exec, s[60:61]
	s_and_saveexec_b64 vcc, s[62:63]
	s_xor_b64 vcc, exec, vcc
	s_cbranch_execz .LBB19_143
; %bb.142:                              ;   in Loop: Header=BB19_86 Depth=2
	ds_write_b32 v0, v46
	s_trap 2
.LBB19_143:                             ;   in Loop: Header=BB19_86 Depth=2
	s_or_b64 exec, exec, s[58:59]
	;;#ASMSTART
	s_wakeup
	;;#ASMEND
.LBB19_144:                             ;   in Loop: Header=BB19_86 Depth=2
	s_or_b64 exec, exec, s[28:29]
.LBB19_145:                             ;   in Loop: Header=BB19_86 Depth=2
	s_andn2_saveexec_b64 s[26:27], s[26:27]
	s_cbranch_execz .LBB19_147
; %bb.146:                              ;   in Loop: Header=BB19_86 Depth=2
	s_waitcnt lgkmcnt(0)
	s_barrier
.LBB19_147:                             ;   in Loop: Header=BB19_86 Depth=2
	s_or_b64 exec, exec, s[26:27]
.LBB19_148:                             ;   in Loop: Header=BB19_86 Depth=2
	s_or_b64 exec, exec, s[24:25]
	s_trap 2
	s_waitcnt lgkmcnt(0)
	ds_read_b64 v[2:3], v0
	v_mov_b32_e32 v19, 0
	s_waitcnt lgkmcnt(0)
	v_readfirstlane_b32 s24, v2
	v_readfirstlane_b32 s25, v3
	s_cmp_eq_u64 s[24:25], 0
	s_cselect_b64 s[24:25], -1, 0
	s_or_b64 s[24:25], s[24:25], s[24:25]
	s_and_b64 vcc, exec, s[24:25]
	s_cbranch_vccnz .LBB19_157
; %bb.149:                              ;   in Loop: Header=BB19_86 Depth=2
	s_trap 2
	ds_read_b64 v[2:3], v0
	v_cmp_eq_u32_e64 s[24:25], 0, v0
	s_waitcnt lgkmcnt(0)
	v_cmp_ne_u64_e32 vcc, 0, v[2:3]
	v_cndmask_b32_e64 v19, 0, v22, s[24:25]
	s_cbranch_vccz .LBB19_169
; %bb.150:                              ;   in Loop: Header=BB19_86 Depth=2
	s_mov_b64 s[26:27], -1
	s_and_saveexec_b64 s[24:25], s[14:15]
	s_cbranch_execz .LBB19_152
; %bb.151:                              ;   in Loop: Header=BB19_86 Depth=2
	ds_read_b32 v0, v0 offset:720
	s_waitcnt lgkmcnt(0)
	v_and_b32_e32 v0, 15, v0
	v_cmp_eq_u32_e32 vcc, 0, v0
	s_orn2_b64 s[26:27], vcc, exec
.LBB19_152:                             ;   in Loop: Header=BB19_86 Depth=2
	s_or_b64 exec, exec, s[24:25]
	s_and_saveexec_b64 s[24:25], s[16:17]
	s_cbranch_execz .LBB19_154
; %bb.153:                              ;   in Loop: Header=BB19_86 Depth=2
	ds_read_b32 v0, v0 offset:784
	s_waitcnt lgkmcnt(0)
	v_and_b32_e32 v0, 15, v0
	v_cmp_eq_u32_e32 vcc, 0, v0
	s_and_b64 s[28:29], s[26:27], vcc
	s_andn2_b64 s[26:27], s[26:27], exec
	s_and_b64 s[28:29], s[28:29], exec
	s_or_b64 s[26:27], s[26:27], s[28:29]
.LBB19_154:                             ;   in Loop: Header=BB19_86 Depth=2
	s_or_b64 exec, exec, s[24:25]
	s_xor_b64 s[26:27], s[26:27], -1
	v_cndmask_b32_e64 v0, 0, 1, s[26:27]
	s_mov_b64 s[24:25], -1
	;;#ASMSTART
	;;#ASMEND
	v_mov_b32_e32 v16, 0
	v_cmp_ne_u32_e32 vcc, 0, v0
	v_mov_b32_e32 v17, v19
	v_mov_b32_e32 v38, v60
	;; [unrolled: 1-line block ×3, first 2 shown]
	s_cbranch_vccz .LBB19_170
; %bb.155:                              ;   in Loop: Header=BB19_86 Depth=2
	s_and_saveexec_b64 s[28:29], s[24:25]
	s_cbranch_execnz .LBB19_185
.LBB19_156:                             ;   in Loop: Header=BB19_86 Depth=2
	s_or_b64 exec, exec, s[28:29]
.LBB19_157:                             ;   in Loop: Header=BB19_86 Depth=2
	s_and_saveexec_b64 s[24:25], s[4:5]
	s_cbranch_execz .LBB19_232
.LBB19_158:                             ;   in Loop: Header=BB19_86 Depth=2
	s_and_saveexec_b64 s[26:27], s[40:41]
	s_xor_b64 s[26:27], exec, s[26:27]
	s_cbranch_execz .LBB19_229
; %bb.159:                              ;   in Loop: Header=BB19_86 Depth=2
	s_and_saveexec_b64 s[28:29], s[12:13]
	s_cbranch_execz .LBB19_228
; %bb.160:                              ;   in Loop: Header=BB19_86 Depth=2
	s_mov_b64 s[60:61], exec
	v_mbcnt_lo_u32_b32 v0, s60, 0
	v_mbcnt_hi_u32_b32 v0, s61, v0
	v_cmp_eq_u32_e32 vcc, 0, v0
	s_waitcnt lgkmcnt(0)
	s_and_saveexec_b64 s[58:59], vcc
	s_cbranch_execz .LBB19_162
; %bb.161:                              ;   in Loop: Header=BB19_86 Depth=2
	s_bcnt1_i32_b64 vcc_lo, s[60:61]
	v_mov_b32_e32 v38, vcc_lo
	ds_add_u64 v0, v[38:39]
	s_trap 2
.LBB19_162:                             ;   in Loop: Header=BB19_86 Depth=2
	s_or_b64 exec, exec, s[58:59]
	s_trap 2
	ds_read_b64 v[0:1], v0
	v_lshl_add_u64 v[14:15], v[14:15], 0, v[48:49]
	s_waitcnt lgkmcnt(0)
	v_cmp_lt_u64_e32 vcc, v[0:1], v[14:15]
	s_and_saveexec_b64 s[58:59], vcc
	s_cbranch_execz .LBB19_227
; %bb.163:                              ;   in Loop: Header=BB19_86 Depth=2
	s_mov_b32 s78, 0
	s_mov_b64 s[60:61], 0
                                        ; implicit-def: $sgpr62_sgpr63
                                        ; implicit-def: $sgpr64_sgpr65
	s_branch .LBB19_165
.LBB19_164:                             ;   in Loop: Header=BB19_165 Depth=3
	s_or_b64 exec, exec, s[68:69]
	s_and_b64 vcc, exec, vcc
	s_or_b64 s[60:61], vcc, s[60:61]
	s_andn2_b64 vcc, s[62:63], exec
	s_and_b64 s[62:63], s[64:65], exec
	s_or_b64 s[62:63], vcc, s[62:63]
	s_andn2_b64 exec, exec, s[60:61]
	s_cbranch_execz .LBB19_225
.LBB19_165:                             ;   Parent Loop BB19_81 Depth=1
                                        ;     Parent Loop BB19_86 Depth=2
                                        ; =>    This Inner Loop Header: Depth=3
	s_add_i32 s78, s78, 1
	s_cmpk_lg_i32 s78, 0x2710
	s_cselect_b64 s[66:67], -1, 0
	s_and_b64 vcc, exec, s[66:67]
                                        ; implicit-def: $sgpr68_sgpr69
	s_cbranch_vccnz .LBB19_167
; %bb.166:                              ;   in Loop: Header=BB19_165 Depth=3
	s_trap 2
	ds_read_b64 v[0:1], v0
	s_andn2_b64 s[66:67], s[66:67], exec
	s_mov_b32 s78, 0
	s_mov_b64 s[68:69], -1
	s_waitcnt vmcnt(0) lgkmcnt(0)
	flat_load_dword v0, v[0:1] sc0 sc1
	s_waitcnt vmcnt(0) lgkmcnt(0)
	buffer_inv sc0 sc1
	v_cmp_eq_u32_e32 vcc, 0, v0
	s_and_b64 vcc, vcc, exec
	s_or_b64 s[66:67], s[66:67], vcc
.LBB19_167:                             ;   in Loop: Header=BB19_165 Depth=3
	s_andn2_b64 s[64:65], s[64:65], exec
	s_and_b64 s[68:69], s[68:69], exec
	s_mov_b64 vcc, -1
	s_or_b64 s[64:65], s[64:65], s[68:69]
	s_and_saveexec_b64 s[68:69], s[66:67]
	s_cbranch_execz .LBB19_164
; %bb.168:                              ;   in Loop: Header=BB19_165 Depth=3
	s_sleep 1
	s_trap 2
	ds_read_b64 v[0:1], v0
	s_andn2_b64 s[64:65], s[64:65], exec
	s_waitcnt lgkmcnt(0)
	v_cmp_ge_u64_e32 vcc, v[0:1], v[14:15]
	s_orn2_b64 vcc, vcc, exec
	s_branch .LBB19_164
.LBB19_169:                             ;   in Loop: Header=BB19_86 Depth=2
	s_cbranch_execnz .LBB19_196
	s_branch .LBB19_157
.LBB19_170:                             ;   in Loop: Header=BB19_86 Depth=2
	v_ashrrev_i32_e32 v0, 31, v19
	v_lshrrev_b32_e32 v0, 20, v0
	v_add_u32_e32 v0, v19, v0
	v_ashrrev_i32_e32 v0, 12, v0
	v_sub_u32_e32 v1, v0, v41
	v_cmp_lt_i32_e32 vcc, 0, v1
	s_and_saveexec_b64 s[24:25], vcc
	s_cbranch_execz .LBB19_174
; %bb.171:                              ;   in Loop: Header=BB19_86 Depth=2
	s_trap 2
	ds_read_b64 v[2:3], v0
	ds_read_b128 v[4:7], v0
	v_accvgpr_read_b32 v8, a50
	v_accvgpr_read_b32 v9, a51
	v_accvgpr_write_b32 a54, v22
	v_mov_b32_e32 v38, v34
	v_mov_b64_e32 v[16:17], v[32:33]
	s_waitcnt lgkmcnt(0)
	v_lshl_add_u64 v[2:3], v[2:3], 0, v[8:9]
	s_waitcnt lgkmcnt(0)
	v_lshl_add_u64 v[4:5], v[4:5], 0, v[8:9]
	v_lshl_add_u64 v[6:7], v[6:7], 0, v[8:9]
	s_mov_b64 s[26:27], 0
.LBB19_172:                             ;   Parent Loop BB19_81 Depth=1
                                        ;     Parent Loop BB19_86 Depth=2
                                        ; =>    This Inner Loop Header: Depth=3
	global_load_dwordx4 v[8:11], v[2:3], off nt
	global_load_dwordx4 v[20:23], v[2:3], off offset:1024 nt
	global_load_dwordx4 v[28:31], v[2:3], off offset:2048 nt
	;; [unrolled: 1-line block ×3, first 2 shown]
	v_sub_u32_e32 v1, v1, v48
	v_cmp_gt_i32_e32 vcc, 1, v1
	v_lshl_add_u64 v[2:3], v[2:3], 0, v[12:13]
	s_or_b64 s[26:27], vcc, s[26:27]
	s_waitcnt vmcnt(0)
	global_store_dwordx4 v[4:5], v[8:11], off nt
	s_waitcnt vmcnt(3)
	global_store_dwordx4 v[4:5], v[20:23], off offset:1024 nt
	s_waitcnt vmcnt(3)
	global_store_dwordx4 v[4:5], v[28:31], off offset:2048 nt
	;; [unrolled: 2-line block ×3, first 2 shown]
	global_store_dwordx4 v[6:7], v[8:11], off nt
	global_store_dwordx4 v[6:7], v[20:23], off offset:1024 nt
	global_store_dwordx4 v[6:7], v[28:31], off offset:2048 nt
	;; [unrolled: 1-line block ×3, first 2 shown]
	v_lshl_add_u64 v[4:5], v[4:5], 0, v[12:13]
	v_lshl_add_u64 v[6:7], v[6:7], 0, v[12:13]
	s_andn2_b64 exec, exec, s[26:27]
	s_cbranch_execnz .LBB19_172
; %bb.173:                              ;   in Loop: Header=BB19_86 Depth=2
	s_or_b64 exec, exec, s[26:27]
	scratch_load_dwordx2 v[30:31], off, s33 offset:172 ; 8-byte Folded Reload
	v_accvgpr_read_b32 v28, a44
	v_accvgpr_read_b32 v29, a45
	v_mov_b64_e32 v[32:33], v[16:17]
	v_mov_b32_e32 v34, v38
	v_accvgpr_read_b32 v22, a54
.LBB19_174:                             ;   in Loop: Header=BB19_86 Depth=2
	s_or_b64 exec, exec, s[24:25]
	v_lshlrev_b32_e32 v0, 12, v0
	v_cmp_ne_u32_e32 vcc, v19, v0
	s_mov_b64 s[24:25], 0
	v_mov_b32_e32 v16, 0
                                        ; implicit-def: $vgpr17
                                        ; implicit-def: $vgpr38
                                        ; implicit-def: $vgpr2
	s_and_saveexec_b64 s[58:59], vcc
	s_cbranch_execz .LBB19_184
; %bb.175:                              ;   in Loop: Header=BB19_86 Depth=2
	v_lshlrev_b32_e32 v1, 6, v1
	v_accvgpr_read_b32 v2, a41
	v_sub_u32_e32 v1, v2, v1
	v_sub_u32_e32 v3, v19, v0
	v_ashrrev_i32_e32 v2, 31, v1
	v_lshrrev_b32_e32 v2, 26, v2
	v_ashrrev_i32_e32 v5, 31, v3
	v_add_u32_e32 v2, v1, v2
	v_lshrrev_b32_e32 v5, 22, v5
	v_ashrrev_i32_e32 v4, 6, v2
	v_and_b32_e32 v2, 0xffffffc0, v2
	v_add_u32_e32 v5, v3, v5
	v_sub_u32_e32 v12, v1, v2
	v_and_b32_e32 v13, 0xfffffc00, v5
	v_lshlrev_b32_e32 v1, 4, v12
	v_sub_u32_e32 v21, v3, v13
	v_lshl_add_u32 v2, v4, 10, v1
	v_ashrrev_i32_e32 v6, 10, v5
	v_cmp_lt_i32_e64 s[24:25], 15, v21
	v_sub_u32_e32 v1, v3, v2
	s_nop 0
	v_addc_co_u32_e64 v3, vcc, 0, v6, s[24:25]
	v_sub_u32_e32 v20, v3, v4
	v_cmp_lt_i32_e32 vcc, 15, v1
	s_and_saveexec_b64 s[60:61], vcc
	s_cbranch_execz .LBB19_181
; %bb.176:                              ;   in Loop: Header=BB19_86 Depth=2
	v_mov_b32_e32 v38, v22
	s_trap 2
	ds_read_b64 v[4:5], v0
	ds_read_b128 v[22:25], v0
	v_add_u32_e32 v2, v2, v0
	v_ashrrev_i32_e32 v3, 31, v2
	s_mov_b64 s[62:63], 0
	s_waitcnt lgkmcnt(0)
	v_lshl_add_u64 v[6:7], v[4:5], 0, v[2:3]
	s_waitcnt lgkmcnt(0)
	v_lshl_add_u64 v[10:11], v[22:23], 0, v[2:3]
	v_accvgpr_read_b32 v22, a36
	v_lshl_add_u64 v[16:17], v[24:25], 0, v[2:3]
	v_accvgpr_read_b32 v23, a37
.LBB19_177:                             ;   Parent Loop BB19_81 Depth=1
                                        ;     Parent Loop BB19_86 Depth=2
                                        ; =>    This Loop Header: Depth=3
                                        ;         Child Loop BB19_178 Depth 4
	global_load_dwordx4 v[2:5], v[6:7], off nt
	s_mov_b64 s[66:67], -1
	s_mov_b64 s[64:65], 0
	s_waitcnt vmcnt(0)
.LBB19_178:                             ;   Parent Loop BB19_81 Depth=1
                                        ;     Parent Loop BB19_86 Depth=2
                                        ;       Parent Loop BB19_177 Depth=3
                                        ; =>      This Inner Loop Header: Depth=4
	s_cmp_eq_u32 s64, 0
	s_cselect_b64 s[26:27], -1, 0
	s_cmp_eq_u32 s64, 1
	v_cndmask_b32_e64 v8, 0, 1, s[66:67]
	s_cselect_b64 s[28:29], -1, 0
	v_cmp_ne_u32_e32 vcc, 1, v8
	v_cndmask_b32_e64 v9, v11, v17, s[28:29]
	v_cndmask_b32_e64 v8, v10, v16, s[28:29]
	global_store_dwordx4 v[8:9], v[2:5], off nt
	v_lshl_add_u64 v[8:9], v[8:9], 0, s[42:43]
	s_mov_b64 s[66:67], 0
	s_mov_b64 s[64:65], 1
	s_and_b64 vcc, exec, vcc
	v_cndmask_b32_e64 v17, v17, v9, s[28:29]
	v_cndmask_b32_e64 v16, v16, v8, s[28:29]
	v_cndmask_b32_e64 v11, v11, v9, s[26:27]
	v_cndmask_b32_e64 v10, v10, v8, s[26:27]
	s_cbranch_vccz .LBB19_178
; %bb.179:                              ;   in Loop: Header=BB19_177 Depth=3
	v_sub_u32_e32 v1, v1, v61
	v_cmp_gt_i32_e32 vcc, 16, v1
	v_lshl_add_u64 v[10:11], v[10:11], 0, v[22:23]
	v_lshl_add_u64 v[16:17], v[16:17], 0, v[22:23]
	;; [unrolled: 1-line block ×3, first 2 shown]
	s_or_b64 s[62:63], vcc, s[62:63]
	v_sub_u32_e32 v20, v20, v48
	s_andn2_b64 exec, exec, s[62:63]
	s_cbranch_execnz .LBB19_177
; %bb.180:                              ;   in Loop: Header=BB19_86 Depth=2
	s_or_b64 exec, exec, s[62:63]
	v_accvgpr_read_b32 v24, a34
	v_accvgpr_read_b32 v25, a35
	v_mov_b32_e32 v22, v38
.LBB19_181:                             ;   in Loop: Header=BB19_86 Depth=2
	s_or_b64 exec, exec, s[60:61]
	v_and_b32_e32 v1, 15, v19
	v_cndmask_b32_e64 v17, v21, v1, s[24:25]
	v_cmp_ne_u32_e32 vcc, 0, v17
	s_mov_b64 s[26:27], 0
	v_mov_b32_e32 v16, 0
                                        ; implicit-def: $vgpr38
                                        ; implicit-def: $vgpr2
	s_and_saveexec_b64 s[28:29], vcc
	s_cbranch_execz .LBB19_183
; %bb.182:                              ;   in Loop: Header=BB19_86 Depth=2
	v_sub_u32_e32 v1, v21, v1
	v_cndmask_b32_e64 v1, 0, v1, s[24:25]
	v_cmp_lt_i32_e32 vcc, 0, v20
	v_add3_u32 v16, v13, v0, v1
	s_mov_b64 s[26:27], exec
	v_cndmask_b32_e32 v0, 0, v48, vcc
	v_sub_u32_e32 v0, v0, v20
	v_lshl_add_u32 v38, v0, 6, v12
	v_ashrrev_i32_e32 v0, 31, v38
	v_lshrrev_b32_e32 v0, 26, v0
	v_add_u32_e32 v0, v38, v0
	v_ashrrev_i32_e32 v2, 6, v0
.LBB19_183:                             ;   in Loop: Header=BB19_86 Depth=2
	s_or_b64 exec, exec, s[28:29]
	v_accvgpr_read_b32 v12, a42
	s_and_b64 s[24:25], s[26:27], exec
	v_accvgpr_read_b32 v13, a43
.LBB19_184:                             ;   in Loop: Header=BB19_86 Depth=2
	s_or_b64 exec, exec, s[58:59]
	s_and_saveexec_b64 s[28:29], s[24:25]
	s_cbranch_execz .LBB19_156
.LBB19_185:                             ;   in Loop: Header=BB19_86 Depth=2
	v_ashrrev_i32_e32 v0, 31, v17
	v_lshrrev_b32_e32 v0, 21, v0
	v_add_u32_e32 v0, v17, v0
	v_ashrrev_i32_e32 v3, 11, v0
	v_sub_u32_e32 v55, v3, v2
	v_ashrrev_i32_e32 v0, 31, v38
	v_cmp_lt_i32_e32 vcc, 0, v55
	v_lshrrev_b32_e32 v1, 26, v0
	s_and_saveexec_b64 s[24:25], vcc
	s_cbranch_execz .LBB19_189
; %bb.186:                              ;   in Loop: Header=BB19_86 Depth=2
	v_add_u32_e32 v0, v38, v1
	v_accvgpr_write_b32 a55, v3
	s_trap 2
	v_accvgpr_write_b32 a54, v1
	v_and_b32_e32 v3, 0xffffffc0, v0
	ds_read_b64 v[0:1], v0
	v_sub_u32_e32 v3, v38, v3
	v_lshlrev_b32_e32 v2, 11, v2
	v_add3_u32 v8, v16, v3, v2
	v_ashrrev_i32_e32 v9, 31, v8
	s_waitcnt lgkmcnt(0)
	ds_read_b128 v[4:7], v0
	v_lshl_add_u64 v[0:1], v[0:1], 0, s[44:45]
	v_mov_b32_e32 v54, v22
	v_lshl_add_u64 v[10:11], v[0:1], 0, v[8:9]
	s_mov_b64 s[26:27], 0
	s_waitcnt lgkmcnt(0)
	v_lshl_add_u64 v[2:3], v[4:5], 0, v[8:9]
	v_lshl_add_u64 v[4:5], v[6:7], 0, v[8:9]
.LBB19_187:                             ;   Parent Loop BB19_81 Depth=1
                                        ;     Parent Loop BB19_86 Depth=2
                                        ; =>    This Inner Loop Header: Depth=3
	v_add_co_u32_e32 v6, vcc, 0xfffff840, v10
	flat_load_ubyte v20, v[10:11] nt
	s_nop 0
	v_addc_co_u32_e32 v7, vcc, -1, v11, vcc
	v_add_co_u32_e32 v0, vcc, 0xfffff880, v10
	flat_load_ubyte v6, v[6:7] nt
	s_nop 0
	v_addc_co_u32_e32 v1, vcc, -1, v11, vcc
	;; [unrolled: 4-line block ×23, first 2 shown]
	v_add_co_u32_e32 v22, vcc, 0xfffffe00, v10
	s_waitcnt vmcnt(0)
	flat_load_ubyte v30, v[8:9] nt
	v_addc_co_u32_e32 v23, vcc, -1, v11, vcc
	v_add_co_u32_e32 v8, vcc, 0xfffffe40, v10
	flat_load_ubyte v31, v[22:23] nt
	s_nop 0
	v_addc_co_u32_e32 v9, vcc, -1, v11, vcc
	v_add_co_u32_e32 v46, vcc, 0xfffffe80, v10
	flat_load_ubyte v22, v[8:9] nt
	s_nop 0
	;; [unrolled: 4-line block ×7, first 2 shown]
	v_addc_co_u32_e32 v9, vcc, -1, v11, vcc
	flat_load_ubyte v61, v[8:9] nt
	v_sub_u32_e32 v55, v55, v48
	v_cmp_gt_i32_e32 vcc, 1, v55
	s_or_b64 s[26:27], vcc, s[26:27]
	v_lshl_add_u64 v[10:11], v[10:11], 0, v[56:57]
	s_waitcnt lgkmcnt(0)
	flat_store_byte v[2:3], v20 offset:1984 nt
	flat_store_byte v[2:3], v6 nt
	flat_store_byte v[2:3], v7 offset:64 nt
	flat_store_byte v[2:3], v21 offset:128 nt
	;; [unrolled: 1-line block ×21, first 2 shown]
	s_waitcnt vmcnt(0)
	flat_store_byte v[2:3], v30 offset:1408 nt
	flat_store_byte v[2:3], v31 offset:1472 nt
	;; [unrolled: 1-line block ×9, first 2 shown]
	flat_store_byte v[4:5], v6 nt
	flat_store_byte v[4:5], v7 offset:64 nt
	flat_store_byte v[4:5], v21 offset:128 nt
	;; [unrolled: 1-line block ×31, first 2 shown]
	v_lshl_add_u64 v[2:3], v[2:3], 0, v[56:57]
	v_lshl_add_u64 v[4:5], v[4:5], 0, v[56:57]
	s_andn2_b64 exec, exec, s[26:27]
	s_cbranch_execnz .LBB19_187
; %bb.188:                              ;   in Loop: Header=BB19_86 Depth=2
	s_or_b64 exec, exec, s[26:27]
	scratch_load_dwordx2 v[30:31], off, s33 offset:172 ; 8-byte Folded Reload
	v_accvgpr_read_b32 v33, a21
	v_accvgpr_read_b32 v43, a25
	;; [unrolled: 1-line block ×14, first 2 shown]
	v_mov_b32_e32 v46, 1
	v_accvgpr_read_b32 v61, a29
	v_accvgpr_read_b32 v25, a35
	;; [unrolled: 1-line block ×8, first 2 shown]
	v_mov_b32_e32 v22, v54
	v_accvgpr_read_b32 v1, a54
	v_accvgpr_read_b32 v3, a55
.LBB19_189:                             ;   in Loop: Header=BB19_86 Depth=2
	s_or_b64 exec, exec, s[24:25]
	v_lshlrev_b32_e32 v0, 11, v3
	v_cmp_ne_u32_e32 vcc, v17, v0
	s_and_saveexec_b64 s[58:59], vcc
	s_cbranch_execz .LBB19_195
; %bb.190:                              ;   in Loop: Header=BB19_86 Depth=2
	v_add_u32_e32 v1, v38, v1
	v_and_b32_e32 v1, 0xffffffc0, v1
	v_sub_u32_e32 v1, v38, v1
	v_lshlrev_b32_e32 v2, 6, v55
	v_sub_u32_e32 v1, v1, v2
	v_add_u32_e32 v1, v0, v1
	v_sub_u32_e32 v0, v17, v1
	v_cmp_lt_i32_e32 vcc, 0, v0
	s_and_b64 exec, exec, vcc
	s_cbranch_execz .LBB19_195
; %bb.191:                              ;   in Loop: Header=BB19_86 Depth=2
	s_trap 2
	ds_read_b64 v[2:3], v0
	ds_read_b128 v[4:7], v0
	v_add_u32_e32 v8, v1, v16
	v_ashrrev_i32_e32 v9, 31, v8
	s_mov_b64 s[60:61], 0
	s_waitcnt lgkmcnt(0)
	v_lshl_add_u64 v[2:3], v[2:3], 0, v[8:9]
	v_lshl_add_u64 v[4:5], v[4:5], 0, v[8:9]
	;; [unrolled: 1-line block ×3, first 2 shown]
.LBB19_192:                             ;   Parent Loop BB19_81 Depth=1
                                        ;     Parent Loop BB19_86 Depth=2
                                        ; =>    This Loop Header: Depth=3
                                        ;         Child Loop BB19_193 Depth 4
	flat_load_ubyte v1, v[2:3] nt
	s_mov_b64 s[62:63], -1
	s_mov_b64 s[64:65], 0
	s_waitcnt vmcnt(0)
.LBB19_193:                             ;   Parent Loop BB19_81 Depth=1
                                        ;     Parent Loop BB19_86 Depth=2
                                        ;       Parent Loop BB19_192 Depth=3
                                        ; =>      This Inner Loop Header: Depth=4
	s_cmp_eq_u32 s64, 1
	s_cselect_b64 vcc, -1, 0
	v_cndmask_b32_e32 v9, v5, v7, vcc
	s_cmp_eq_u32 s64, 0
	v_cndmask_b32_e32 v8, v4, v6, vcc
	s_waitcnt lgkmcnt(0)
	flat_store_byte v[8:9], v1 nt
	v_lshl_add_u64 v[8:9], v[8:9], 0, 64
	s_cselect_b64 s[24:25], -1, 0
	s_and_b64 s[26:27], exec, s[62:63]
	s_mov_b64 s[64:65], 1
	s_mov_b64 s[62:63], 0
	v_cndmask_b32_e32 v7, v7, v9, vcc
	v_cndmask_b32_e32 v6, v6, v8, vcc
	v_cndmask_b32_e64 v5, v5, v9, s[24:25]
	v_cndmask_b32_e64 v4, v4, v8, s[24:25]
	s_mov_b64 vcc, s[26:27]
	s_cbranch_vccnz .LBB19_193
; %bb.194:                              ;   in Loop: Header=BB19_192 Depth=3
	v_sub_u32_e32 v0, v0, v34
	v_cmp_gt_i32_e32 vcc, 1, v0
	v_lshl_add_u64 v[4:5], v[4:5], 0, v[24:25]
	v_lshl_add_u64 v[6:7], v[6:7], 0, v[24:25]
	s_or_b64 s[60:61], vcc, s[60:61]
	v_lshl_add_u64 v[2:3], v[28:29], 0, v[2:3]
	s_andn2_b64 exec, exec, s[60:61]
	s_cbranch_execnz .LBB19_192
.LBB19_195:                             ;   in Loop: Header=BB19_86 Depth=2
	s_or_b64 exec, exec, s[58:59]
	v_accvgpr_read_b32 v55, a47
	v_accvgpr_read_b32 v54, a46
	s_or_b64 exec, exec, s[28:29]
	s_branch .LBB19_157
.LBB19_196:                             ;   in Loop: Header=BB19_86 Depth=2
	s_mov_b64 s[24:25], -1
	s_and_saveexec_b64 s[26:27], s[14:15]
	s_cbranch_execz .LBB19_198
; %bb.197:                              ;   in Loop: Header=BB19_86 Depth=2
	ds_read_b32 v0, v0 offset:720
	s_waitcnt lgkmcnt(0)
	v_and_b32_e32 v0, 15, v0
	v_cmp_eq_u32_e32 vcc, 0, v0
	s_orn2_b64 s[24:25], vcc, exec
.LBB19_198:                             ;   in Loop: Header=BB19_86 Depth=2
	s_or_b64 exec, exec, s[26:27]
	s_and_saveexec_b64 s[26:27], s[14:15]
	s_cbranch_execz .LBB19_200
; %bb.199:                              ;   in Loop: Header=BB19_86 Depth=2
	ds_read_b32 v0, v0 offset:784
	s_waitcnt lgkmcnt(0)
	v_and_b32_e32 v0, 15, v0
	v_cmp_eq_u32_e32 vcc, 0, v0
	s_and_b64 s[28:29], s[24:25], vcc
	s_andn2_b64 s[24:25], s[24:25], exec
	s_and_b64 s[28:29], s[28:29], exec
	s_or_b64 s[24:25], s[24:25], s[28:29]
.LBB19_200:                             ;   in Loop: Header=BB19_86 Depth=2
	s_or_b64 exec, exec, s[26:27]
	s_xor_b64 s[24:25], s[24:25], -1
	v_cndmask_b32_e64 v0, 0, 1, s[24:25]
	s_mov_b64 s[28:29], -1
	;;#ASMSTART
	;;#ASMEND
	v_mov_b32_e32 v16, 0
	v_cmp_ne_u32_e32 vcc, 0, v0
	v_mov_b32_e32 v17, v19
	v_mov_b32_e32 v20, v60
	;; [unrolled: 1-line block ×3, first 2 shown]
	s_cbranch_vccz .LBB19_203
; %bb.201:                              ;   in Loop: Header=BB19_86 Depth=2
	s_and_saveexec_b64 s[24:25], s[28:29]
	s_cbranch_execnz .LBB19_216
.LBB19_202:                             ;   in Loop: Header=BB19_86 Depth=2
	s_or_b64 exec, exec, s[24:25]
	s_and_saveexec_b64 s[24:25], s[4:5]
	s_cbranch_execz .LBB19_232
	s_branch .LBB19_158
.LBB19_203:                             ;   in Loop: Header=BB19_86 Depth=2
	v_ashrrev_i32_e32 v0, 31, v19
	v_lshrrev_b32_e32 v0, 19, v0
	v_add_u32_e32 v0, v19, v0
	v_ashrrev_i32_e32 v0, 13, v0
	v_sub_u32_e32 v1, v0, v41
	v_cmp_lt_i32_e32 vcc, 0, v1
	s_and_saveexec_b64 s[26:27], vcc
	s_cbranch_execz .LBB19_207
; %bb.204:                              ;   in Loop: Header=BB19_86 Depth=2
	s_trap 2
	ds_read_b64 v[2:3], v0
	v_accvgpr_write_b32 a55, v33
	v_mov_b32_e32 v38, v22
	v_accvgpr_write_b32 a54, v32
	s_mov_b64 s[28:29], 0
	s_waitcnt lgkmcnt(0)
	v_mov_b64_e32 v[4:5], v[2:3]
	v_mov_b64_e32 v[44:45], v[54:55]
.LBB19_205:                             ;   Parent Loop BB19_81 Depth=1
                                        ;     Parent Loop BB19_86 Depth=2
                                        ; =>    This Inner Loop Header: Depth=3
	s_waitcnt vmcnt(0)
	v_lshl_add_u64 v[6:7], v[30:31], 0, v[4:5]
	v_add_co_u32_e32 v16, vcc, 0x1000, v6
	global_load_dwordx4 v[10:13], v[6:7], off nt
	global_load_dwordx4 v[20:23], v[6:7], off offset:1024 nt
	global_load_dwordx4 v[28:31], v[6:7], off offset:2048 nt
	;; [unrolled: 1-line block ×3, first 2 shown]
	v_addc_co_u32_e32 v17, vcc, 0, v7, vcc
	global_load_dwordx4 v[40:43], v[16:17], off nt
	global_load_dwordx4 v[58:61], v[16:17], off offset:1024 nt
	global_load_dwordx4 v[6:9], v[16:17], off offset:2048 nt
	;; [unrolled: 1-line block ×3, first 2 shown]
	s_nop 0
	scratch_load_dwordx2 v[16:17], off, s33 offset:172 ; 8-byte Folded Reload
	v_sub_u32_e32 v1, v1, v48
	v_cmp_gt_i32_e64 s[24:25], 1, v1
	v_lshl_add_u64 v[4:5], v[4:5], 0, v[44:45]
	s_or_b64 s[28:29], s[24:25], s[28:29]
	s_waitcnt vmcnt(0)
	v_lshl_add_u64 v[16:17], v[16:17], 0, v[2:3]
	global_store_dwordx4 v[16:17], v[10:13], off nt
	global_store_dwordx4 v[16:17], v[20:23], off offset:1024 nt
	global_store_dwordx4 v[16:17], v[28:31], off offset:2048 nt
	scratch_load_dwordx2 v[30:31], off, s33 offset:172 ; 8-byte Folded Reload
	v_lshl_add_u64 v[2:3], v[2:3], 0, v[44:45]
	v_add_co_u32_e32 v24, vcc, 0x1000, v16
	s_nop 1
	v_addc_co_u32_e32 v25, vcc, 0, v17, vcc
	global_store_dwordx4 v[16:17], v[32:35], off offset:3072 nt
	global_store_dwordx4 v[24:25], v[40:43], off nt
	global_store_dwordx4 v[24:25], v[58:61], off offset:1024 nt
	global_store_dwordx4 v[24:25], v[6:9], off offset:2048 nt
	;; [unrolled: 1-line block ×3, first 2 shown]
	s_andn2_b64 exec, exec, s[28:29]
	s_cbranch_execnz .LBB19_205
; %bb.206:                              ;   in Loop: Header=BB19_86 Depth=2
	s_or_b64 exec, exec, s[28:29]
	v_accvgpr_read_b32 v43, a25
	v_accvgpr_read_b32 v59, a27
	;; [unrolled: 1-line block ×17, first 2 shown]
	v_mov_b64_e32 v[54:55], v[44:45]
	v_accvgpr_read_b32 v52, a48
	v_accvgpr_read_b32 v44, a52
	;; [unrolled: 1-line block ×4, first 2 shown]
	v_mov_b32_e32 v22, v38
.LBB19_207:                             ;   in Loop: Header=BB19_86 Depth=2
	s_or_b64 exec, exec, s[26:27]
	v_lshlrev_b32_e32 v0, 13, v0
	v_cmp_ne_u32_e32 vcc, v19, v0
	s_mov_b64 s[28:29], 0
	v_mov_b32_e32 v16, 0
                                        ; implicit-def: $vgpr17
                                        ; implicit-def: $vgpr20
                                        ; implicit-def: $vgpr4
	s_and_saveexec_b64 s[26:27], vcc
	s_cbranch_execz .LBB19_215
; %bb.208:                              ;   in Loop: Header=BB19_86 Depth=2
	v_lshlrev_b32_e32 v1, 6, v1
	v_accvgpr_read_b32 v3, a41
	v_sub_u32_e32 v1, v3, v1
	v_ashrrev_i32_e32 v3, 31, v1
	v_lshrrev_b32_e32 v3, 26, v3
	v_add_u32_e32 v3, v1, v3
	v_ashrrev_i32_e32 v5, 6, v3
	v_and_b32_e32 v3, 0xffffffc0, v3
	v_sub_u32_e32 v1, v1, v3
	v_sub_u32_e32 v2, v19, v0
	v_lshlrev_b32_e32 v3, 4, v1
	v_lshl_add_u32 v4, v5, 10, v3
	v_ashrrev_i32_e32 v3, 31, v2
	v_lshrrev_b32_e32 v3, 22, v3
	v_add_u32_e32 v3, v2, v3
	v_and_b32_e32 v6, 0xfffffc00, v3
	v_sub_u32_e32 v10, v2, v6
	v_ashrrev_i32_e32 v7, 10, v3
	v_cmp_lt_i32_e32 vcc, 15, v10
	v_sub_u32_e32 v11, v2, v4
	s_nop 0
	v_addc_co_u32_e64 v2, s[24:25], 0, v7, vcc
	v_sub_u32_e32 v7, v2, v5
	v_cmp_lt_i32_e64 s[24:25], 15, v11
	s_and_saveexec_b64 s[28:29], s[24:25]
	s_cbranch_execz .LBB19_212
; %bb.209:                              ;   in Loop: Header=BB19_86 Depth=2
	s_trap 2
	ds_read_b64 v[2:3], v0
	v_add_u32_e32 v4, v4, v0
	v_mov_b32_e32 v16, v22
	v_ashrrev_i32_e32 v5, 31, v4
	s_mov_b64 s[58:59], 0
.LBB19_210:                             ;   Parent Loop BB19_81 Depth=1
                                        ;     Parent Loop BB19_86 Depth=2
                                        ; =>    This Inner Loop Header: Depth=3
	s_waitcnt lgkmcnt(0)
	v_lshl_add_u64 v[8:9], v[2:3], 0, v[4:5]
	global_load_dwordx4 v[20:23], v[8:9], off nt
	v_sub_u32_e32 v11, v11, v61
	v_cmp_gt_i32_e64 s[24:25], 16, v11
	v_sub_u32_e32 v7, v7, v48
	v_lshl_add_u64 v[4:5], v[4:5], 0, v[52:53]
	s_or_b64 s[58:59], s[24:25], s[58:59]
	s_waitcnt vmcnt(0)
	global_store_dwordx4 v[8:9], v[20:23], off nt
	s_andn2_b64 exec, exec, s[58:59]
	s_cbranch_execnz .LBB19_210
; %bb.211:                              ;   in Loop: Header=BB19_86 Depth=2
	s_or_b64 exec, exec, s[58:59]
	v_mov_b32_e32 v22, v16
.LBB19_212:                             ;   in Loop: Header=BB19_86 Depth=2
	s_or_b64 exec, exec, s[28:29]
	v_and_b32_e32 v2, 15, v19
	v_cndmask_b32_e32 v17, v10, v2, vcc
	v_cmp_ne_u32_e64 s[24:25], 0, v17
	s_mov_b64 s[28:29], 0
	v_mov_b32_e32 v16, 0
                                        ; implicit-def: $vgpr20
                                        ; implicit-def: $vgpr4
	s_and_saveexec_b64 s[58:59], s[24:25]
	s_cbranch_execz .LBB19_214
; %bb.213:                              ;   in Loop: Header=BB19_86 Depth=2
	v_sub_u32_e32 v2, v10, v2
	v_cndmask_b32_e32 v2, 0, v2, vcc
	v_cmp_lt_i32_e32 vcc, 0, v7
	v_add3_u32 v16, v6, v0, v2
	s_mov_b64 s[28:29], exec
	v_cndmask_b32_e32 v0, 0, v48, vcc
	v_sub_u32_e32 v0, v0, v7
	v_lshl_add_u32 v20, v0, 6, v1
	v_ashrrev_i32_e32 v0, 31, v20
	v_lshrrev_b32_e32 v0, 26, v0
	v_add_u32_e32 v0, v20, v0
	v_ashrrev_i32_e32 v4, 6, v0
.LBB19_214:                             ;   in Loop: Header=BB19_86 Depth=2
	s_or_b64 exec, exec, s[58:59]
	s_and_b64 s[28:29], s[28:29], exec
.LBB19_215:                             ;   in Loop: Header=BB19_86 Depth=2
	s_or_b64 exec, exec, s[26:27]
	s_and_saveexec_b64 s[24:25], s[28:29]
	s_cbranch_execz .LBB19_202
.LBB19_216:                             ;   in Loop: Header=BB19_86 Depth=2
	v_ashrrev_i32_e32 v0, 31, v17
	v_lshrrev_b32_e32 v0, 21, v0
	v_add_u32_e32 v0, v17, v0
	v_ashrrev_i32_e32 v1, 11, v0
	v_sub_u32_e32 v0, v1, v4
	v_cmp_lt_i32_e32 vcc, 0, v0
	s_and_saveexec_b64 s[26:27], vcc
	s_cbranch_execz .LBB19_220
; %bb.217:                              ;   in Loop: Header=BB19_86 Depth=2
	v_ashrrev_i32_e32 v5, 31, v20
	s_trap 2
	ds_read_b64 v[2:3], v0
	v_lshrrev_b32_e32 v5, 26, v5
	v_add_u32_e32 v5, v20, v5
	v_and_b32_e32 v5, 0xffffffc0, v5
	v_sub_u32_e32 v5, v20, v5
	v_lshlrev_b32_e32 v4, 11, v4
	v_add3_u32 v4, v16, v5, v4
	v_accvgpr_write_b32 a54, v22
	v_ashrrev_i32_e32 v5, 31, v4
	s_mov_b64 s[28:29], 0
	s_waitcnt lgkmcnt(0)
	v_mov_b64_e32 v[6:7], v[2:3]
.LBB19_218:                             ;   Parent Loop BB19_81 Depth=1
                                        ;     Parent Loop BB19_86 Depth=2
                                        ; =>    This Inner Loop Header: Depth=3
	v_lshl_add_u64 v[8:9], v[4:5], 0, v[6:7]
	flat_load_ubyte v12, v[8:9] nt
	flat_load_ubyte v13, v[8:9] offset:64 nt
	flat_load_ubyte v21, v[8:9] offset:128 nt
	;; [unrolled: 1-line block ×8, first 2 shown]
	s_waitcnt vmcnt(0)
	flat_load_ubyte v30, v[8:9] offset:576 nt
	flat_load_ubyte v31, v[8:9] offset:640 nt
	;; [unrolled: 1-line block ×22, first 2 shown]
	s_nop 0
	flat_load_ubyte v8, v[8:9] offset:1984 nt
	v_sub_u32_e32 v0, v0, v48
	v_cmp_gt_i32_e32 vcc, 1, v0
	v_lshl_add_u64 v[10:11], v[4:5], 0, v[2:3]
	v_lshl_add_u64 v[6:7], v[6:7], 0, v[56:57]
	;; [unrolled: 1-line block ×3, first 2 shown]
	s_or_b64 s[28:29], vcc, s[28:29]
	s_waitcnt lgkmcnt(0)
	flat_store_byte v[10:11], v12 nt
	flat_store_byte v[10:11], v13 offset:64 nt
	flat_store_byte v[10:11], v21 offset:128 nt
	;; [unrolled: 1-line block ×8, first 2 shown]
	s_waitcnt vmcnt(0)
	flat_store_byte v[10:11], v30 offset:576 nt
	flat_store_byte v[10:11], v31 offset:640 nt
	;; [unrolled: 1-line block ×23, first 2 shown]
	s_andn2_b64 exec, exec, s[28:29]
	s_cbranch_execnz .LBB19_218
; %bb.219:                              ;   in Loop: Header=BB19_86 Depth=2
	s_or_b64 exec, exec, s[28:29]
	scratch_load_dwordx2 v[30:31], off, s33 offset:172 ; 8-byte Folded Reload
	v_accvgpr_read_b32 v33, a21
	v_accvgpr_read_b32 v43, a25
	;; [unrolled: 1-line block ×15, first 2 shown]
	v_mov_b32_e32 v46, 1
	v_accvgpr_read_b32 v25, a35
	v_accvgpr_read_b32 v41, a40
	v_accvgpr_read_b32 v13, a43
	v_accvgpr_read_b32 v29, a45
	v_accvgpr_read_b32 v54, a46
	v_accvgpr_read_b32 v52, a48
	v_accvgpr_read_b32 v44, a52
	v_accvgpr_read_b32 v45, a53
	v_accvgpr_read_b32 v22, a54
.LBB19_220:                             ;   in Loop: Header=BB19_86 Depth=2
	s_or_b64 exec, exec, s[26:27]
	v_lshlrev_b32_e32 v1, 11, v1
	v_cmp_ne_u32_e32 vcc, v17, v1
	s_and_saveexec_b64 s[26:27], vcc
	s_cbranch_execz .LBB19_224
; %bb.221:                              ;   in Loop: Header=BB19_86 Depth=2
	v_ashrrev_i32_e32 v2, 31, v20
	v_lshrrev_b32_e32 v2, 26, v2
	v_add_u32_e32 v2, v20, v2
	v_and_b32_e32 v2, 0xffffffc0, v2
	v_sub_u32_e32 v2, v20, v2
	v_lshlrev_b32_e32 v0, 6, v0
	v_sub_u32_e32 v0, v2, v0
	v_add_u32_e32 v1, v1, v0
	v_sub_u32_e32 v0, v17, v1
	v_cmp_lt_i32_e32 vcc, 0, v0
	s_and_b64 exec, exec, vcc
	s_cbranch_execz .LBB19_224
; %bb.222:                              ;   in Loop: Header=BB19_86 Depth=2
	s_trap 2
	ds_read_b64 v[2:3], v0
	v_add_u32_e32 v4, v1, v16
	v_ashrrev_i32_e32 v5, 31, v4
	s_mov_b64 s[28:29], 0
.LBB19_223:                             ;   Parent Loop BB19_81 Depth=1
                                        ;     Parent Loop BB19_86 Depth=2
                                        ; =>    This Inner Loop Header: Depth=3
	s_waitcnt lgkmcnt(0)
	v_lshl_add_u64 v[6:7], v[2:3], 0, v[4:5]
	flat_load_ubyte v1, v[6:7] nt
	v_sub_u32_e32 v0, v0, v34
	v_cmp_gt_i32_e32 vcc, 1, v0
	v_lshl_add_u64 v[4:5], v[4:5], 0, v[28:29]
	s_or_b64 s[28:29], vcc, s[28:29]
	s_waitcnt vmcnt(0) lgkmcnt(0)
	flat_store_byte v[6:7], v1 nt
	s_andn2_b64 exec, exec, s[28:29]
	s_cbranch_execnz .LBB19_223
.LBB19_224:                             ;   in Loop: Header=BB19_86 Depth=2
	s_or_b64 exec, exec, s[26:27]
	s_or_b64 exec, exec, s[24:25]
	s_and_saveexec_b64 s[24:25], s[4:5]
	s_cbranch_execz .LBB19_232
	s_branch .LBB19_158
.LBB19_225:                             ;   in Loop: Header=BB19_86 Depth=2
	s_or_b64 exec, exec, s[60:61]
	s_and_saveexec_b64 vcc, s[62:63]
	s_xor_b64 vcc, exec, vcc
	s_cbranch_execz .LBB19_227
; %bb.226:                              ;   in Loop: Header=BB19_86 Depth=2
	ds_write_b32 v0, v46
	s_trap 2
.LBB19_227:                             ;   in Loop: Header=BB19_86 Depth=2
	s_or_b64 exec, exec, s[58:59]
	;;#ASMSTART
	s_wakeup
	;;#ASMEND
.LBB19_228:                             ;   in Loop: Header=BB19_86 Depth=2
	s_or_b64 exec, exec, s[28:29]
.LBB19_229:                             ;   in Loop: Header=BB19_86 Depth=2
	s_andn2_saveexec_b64 s[26:27], s[26:27]
	s_cbranch_execz .LBB19_231
; %bb.230:                              ;   in Loop: Header=BB19_86 Depth=2
	s_waitcnt lgkmcnt(0)
	s_barrier
.LBB19_231:                             ;   in Loop: Header=BB19_86 Depth=2
	s_or_b64 exec, exec, s[26:27]
.LBB19_232:                             ;   in Loop: Header=BB19_86 Depth=2
	s_or_b64 exec, exec, s[24:25]
	v_and_b32_e32 v0, 16, v62
	s_and_saveexec_b64 s[24:25], s[20:21]
	s_xor_b64 s[26:27], exec, s[24:25]
	s_cbranch_execz .LBB19_237
; %bb.233:                              ;   in Loop: Header=BB19_86 Depth=2
	v_and_b32_e32 v1, 16, v62
	v_cmp_lt_i32_e32 vcc, 0, v19
	v_cmp_ne_u32_e64 s[24:25], 0, v1
	v_and_b32_e32 v0, 16, v62
	s_and_b64 s[28:29], s[24:25], vcc
	s_and_saveexec_b64 s[24:25], s[28:29]
	s_cbranch_execz .LBB19_235
; %bb.234:                              ;   in Loop: Header=BB19_86 Depth=2
	v_mov_b32_e32 v0, 1
	buffer_wbl2 sc1
	s_waitcnt vmcnt(0) lgkmcnt(0)
	buffer_inv sc1
.LBB19_235:                             ;   in Loop: Header=BB19_86 Depth=2
	s_or_b64 exec, exec, s[24:25]
	s_andn2_saveexec_b64 s[24:25], s[26:27]
	s_cbranch_execnz .LBB19_238
.LBB19_236:                             ;   in Loop: Header=BB19_86 Depth=2
	s_or_b64 exec, exec, s[24:25]
	v_cmp_ne_u32_e32 vcc, 0, v0
	s_and_saveexec_b64 s[24:25], vcc
	s_cbranch_execz .LBB19_85
	s_branch .LBB19_256
.LBB19_237:                             ;   in Loop: Header=BB19_86 Depth=2
	s_andn2_saveexec_b64 s[24:25], s[26:27]
	s_cbranch_execz .LBB19_236
.LBB19_238:                             ;   in Loop: Header=BB19_86 Depth=2
	s_and_saveexec_b64 s[26:27], s[40:41]
	s_xor_b64 s[26:27], exec, s[26:27]
	s_cbranch_execz .LBB19_253
; %bb.239:                              ;   in Loop: Header=BB19_86 Depth=2
	s_and_saveexec_b64 s[28:29], s[12:13]
	s_cbranch_execz .LBB19_252
; %bb.240:                              ;   in Loop: Header=BB19_86 Depth=2
	s_mov_b64 s[60:61], exec
	v_mbcnt_lo_u32_b32 v1, s60, 0
	v_mbcnt_hi_u32_b32 v1, s61, v1
	v_cmp_eq_u32_e32 vcc, 0, v1
	;;#ASMSTART
	s_waitcnt lgkmcnt(0) vmcnt(0)
	;;#ASMEND
	s_and_saveexec_b64 s[58:59], vcc
	s_cbranch_execz .LBB19_242
; %bb.241:                              ;   in Loop: Header=BB19_86 Depth=2
	s_bcnt1_i32_b64 vcc_lo, s[60:61]
	v_mov_b32_e32 v38, vcc_lo
	ds_add_u64 v0, v[38:39]
	s_trap 2
.LBB19_242:                             ;   in Loop: Header=BB19_86 Depth=2
	s_or_b64 exec, exec, s[58:59]
	s_trap 2
	ds_read_b64 v[2:3], v0
	v_lshl_add_u64 v[14:15], v[14:15], 0, v[48:49]
	s_waitcnt lgkmcnt(0)
	v_cmp_lt_u64_e32 vcc, v[2:3], v[14:15]
	s_and_saveexec_b64 s[58:59], vcc
	s_cbranch_execz .LBB19_251
; %bb.243:                              ;   in Loop: Header=BB19_86 Depth=2
	s_mov_b32 s78, 0
	s_mov_b64 s[60:61], 0
                                        ; implicit-def: $sgpr62_sgpr63
                                        ; implicit-def: $sgpr64_sgpr65
	s_branch .LBB19_245
.LBB19_244:                             ;   in Loop: Header=BB19_245 Depth=3
	s_or_b64 exec, exec, s[68:69]
	s_and_b64 vcc, exec, vcc
	s_or_b64 s[60:61], vcc, s[60:61]
	s_andn2_b64 vcc, s[62:63], exec
	s_and_b64 s[62:63], s[64:65], exec
	s_or_b64 s[62:63], vcc, s[62:63]
	s_andn2_b64 exec, exec, s[60:61]
	s_cbranch_execz .LBB19_249
.LBB19_245:                             ;   Parent Loop BB19_81 Depth=1
                                        ;     Parent Loop BB19_86 Depth=2
                                        ; =>    This Inner Loop Header: Depth=3
	s_add_i32 s78, s78, 1
	s_cmpk_lg_i32 s78, 0x2710
	s_cselect_b64 s[66:67], -1, 0
	s_and_b64 vcc, exec, s[66:67]
                                        ; implicit-def: $sgpr68_sgpr69
	s_cbranch_vccnz .LBB19_247
; %bb.246:                              ;   in Loop: Header=BB19_245 Depth=3
	s_trap 2
	ds_read_b64 v[2:3], v0
	s_andn2_b64 s[66:67], s[66:67], exec
	s_mov_b32 s78, 0
	s_mov_b64 s[68:69], -1
	s_waitcnt vmcnt(0) lgkmcnt(0)
	flat_load_dword v1, v[2:3] sc0 sc1
	s_waitcnt vmcnt(0) lgkmcnt(0)
	buffer_inv sc0 sc1
	v_cmp_eq_u32_e32 vcc, 0, v1
	s_and_b64 vcc, vcc, exec
	s_or_b64 s[66:67], s[66:67], vcc
.LBB19_247:                             ;   in Loop: Header=BB19_245 Depth=3
	s_andn2_b64 s[64:65], s[64:65], exec
	s_and_b64 s[68:69], s[68:69], exec
	s_mov_b64 vcc, -1
	s_or_b64 s[64:65], s[64:65], s[68:69]
	s_and_saveexec_b64 s[68:69], s[66:67]
	s_cbranch_execz .LBB19_244
; %bb.248:                              ;   in Loop: Header=BB19_245 Depth=3
	s_sleep 1
	s_trap 2
	ds_read_b64 v[2:3], v0
	s_andn2_b64 s[64:65], s[64:65], exec
	s_waitcnt lgkmcnt(0)
	v_cmp_ge_u64_e32 vcc, v[2:3], v[14:15]
	s_orn2_b64 vcc, vcc, exec
	s_branch .LBB19_244
.LBB19_249:                             ;   in Loop: Header=BB19_86 Depth=2
	s_or_b64 exec, exec, s[60:61]
	s_and_saveexec_b64 vcc, s[62:63]
	s_xor_b64 vcc, exec, vcc
	s_cbranch_execz .LBB19_251
; %bb.250:                              ;   in Loop: Header=BB19_86 Depth=2
	ds_write_b32 v0, v46
	s_trap 2
.LBB19_251:                             ;   in Loop: Header=BB19_86 Depth=2
	s_or_b64 exec, exec, s[58:59]
	;;#ASMSTART
	s_wakeup
	;;#ASMEND
.LBB19_252:                             ;   in Loop: Header=BB19_86 Depth=2
	s_or_b64 exec, exec, s[28:29]
.LBB19_253:                             ;   in Loop: Header=BB19_86 Depth=2
	s_andn2_saveexec_b64 s[26:27], s[26:27]
	s_cbranch_execz .LBB19_255
; %bb.254:                              ;   in Loop: Header=BB19_86 Depth=2
	;;#ASMSTART
	s_waitcnt lgkmcnt(0) vmcnt(0)
	;;#ASMEND
	s_barrier
.LBB19_255:                             ;   in Loop: Header=BB19_86 Depth=2
	s_or_b64 exec, exec, s[26:27]
	s_or_b64 exec, exec, s[24:25]
	v_cmp_ne_u32_e32 vcc, 0, v0
	s_and_saveexec_b64 s[24:25], vcc
	s_cbranch_execz .LBB19_85
.LBB19_256:                             ;   in Loop: Header=BB19_86 Depth=2
	s_and_saveexec_b64 s[26:27], s[10:11]
	s_cbranch_execz .LBB19_84
; %bb.257:                              ;   in Loop: Header=BB19_86 Depth=2
	flat_store_dword v[58:59], v46 sc0 sc1
	s_branch .LBB19_84
.LBB19_258:                             ;   in Loop: Header=BB19_81 Depth=1
	s_andn2_saveexec_b64 s[26:27], s[50:51]
	s_cbranch_execz .LBB19_546
.LBB19_259:                             ;   in Loop: Header=BB19_81 Depth=1
	v_mov_b32_e32 v0, 0
	v_mov_b32_e32 v22, v45
	;; [unrolled: 1-line block ×3, first 2 shown]
	s_and_saveexec_b64 s[28:29], s[22:23]
	s_cbranch_execz .LBB19_473
; %bb.260:                              ;   in Loop: Header=BB19_81 Depth=1
	s_mov_b32 s77, 1
	s_mov_b64 s[52:53], -1
	s_mov_b64 s[50:51], 0
	v_mov_b32_e32 v2, 0
	v_mov_b32_e32 v22, v45
	s_branch .LBB19_263
.LBB19_261:                             ;   in Loop: Header=BB19_263 Depth=2
	s_or_b64 exec, exec, vcc
	v_lshl_add_u64 v[50:51], v[50:51], 0, 2
	flat_store_dwordx2 v[26:27], v[50:51] sc0 sc1
.LBB19_262:                             ;   in Loop: Header=BB19_263 Depth=2
	s_or_b64 exec, exec, s[24:25]
	v_add_u32_e32 v2, v22, v2
	v_cmp_ge_i32_e32 vcc, v2, v44
	s_xor_b64 s[24:25], s[52:53], -1
	s_or_b64 s[24:25], s[24:25], vcc
	s_and_b64 s[24:25], exec, s[24:25]
	s_or_b64 s[50:51], s[24:25], s[50:51]
	s_mov_b64 s[52:53], 0
	v_mov_b32_e32 v0, s77
	s_mov_b32 s77, 2
	s_andn2_b64 exec, exec, s[50:51]
	s_cbranch_execz .LBB19_472
.LBB19_263:                             ;   Parent Loop BB19_81 Depth=1
                                        ; =>  This Loop Header: Depth=2
                                        ;       Child Loop BB19_271 Depth 3
                                        ;       Child Loop BB19_295 Depth 3
	;; [unrolled: 1-line block ×9, first 2 shown]
	s_and_saveexec_b64 s[24:25], s[0:1]
	s_cbranch_execz .LBB19_265
; %bb.264:                              ;   in Loop: Header=BB19_263 Depth=2
	s_trap 2
	ds_read_b64 v[0:1], v0
	v_accvgpr_read_b32 v4, a56
	v_accvgpr_read_b32 v5, a57
	v_ashrrev_i32_e32 v3, 31, v2
	v_mov_b32_e32 v38, v39
	s_waitcnt lgkmcnt(0)
	v_lshl_add_u64 v[0:1], v[0:1], 0, v[4:5]
	v_lshl_add_u64 v[0:1], v[0:1], 0, v[2:3]
	ds_write_b64 v0, v[0:1]
	ds_write_b64 v0, v[38:39]
.LBB19_265:                             ;   in Loop: Header=BB19_263 Depth=2
	s_or_b64 exec, exec, s[24:25]
	v_and_b32_e32 v0, 8, v62
	v_cmp_ne_u32_e32 vcc, 0, v0
	s_mov_b64 s[54:55], -1
	v_lshl_add_u64 v[8:9], v[50:51], 0, 2
	s_and_saveexec_b64 s[24:25], vcc
	s_cbranch_execz .LBB19_277
; %bb.266:                              ;   in Loop: Header=BB19_263 Depth=2
	v_lshl_add_u64 v[0:1], v[36:37], 0, 8
	v_lshl_add_u64 v[6:7], v[50:51], 0, 2
	v_cmp_lt_u64_e32 vcc, v[0:1], v[6:7]
	v_mov_b32_e32 v0, 1
	s_and_saveexec_b64 s[54:55], vcc
	s_cbranch_execz .LBB19_276
; %bb.267:                              ;   in Loop: Header=BB19_263 Depth=2
	s_mov_b64 s[56:57], 0
	v_mov_b32_e32 v0, 0
                                        ; implicit-def: $sgpr58_sgpr59
	s_branch .LBB19_271
.LBB19_268:                             ;   in Loop: Header=BB19_271 Depth=3
	s_or_b64 exec, exec, s[66:67]
	v_mov_b32_e32 v1, 0
	s_orn2_b64 s[64:65], s[64:65], exec
.LBB19_269:                             ;   in Loop: Header=BB19_271 Depth=3
	s_or_b64 exec, exec, s[62:63]
	s_andn2_b64 vcc, s[58:59], exec
	s_and_b64 s[58:59], s[64:65], exec
	s_or_b64 s[58:59], vcc, s[58:59]
	v_mov_b32_e32 v0, v1
.LBB19_270:                             ;   in Loop: Header=BB19_271 Depth=3
	s_or_b64 exec, exec, s[60:61]
	s_waitcnt vmcnt(0) lgkmcnt(0)
	v_lshl_add_u64 v[10:11], v[36:37], 0, 8
	v_cmp_ge_u64_e32 vcc, v[10:11], v[6:7]
	s_xor_b64 s[60:61], s[58:59], -1
	s_or_b64 vcc, s[60:61], vcc
	s_and_b64 vcc, exec, vcc
	s_or_b64 s[56:57], vcc, s[56:57]
	s_andn2_b64 exec, exec, s[56:57]
	s_cbranch_execz .LBB19_275
.LBB19_271:                             ;   Parent Loop BB19_81 Depth=1
                                        ;     Parent Loop BB19_263 Depth=2
                                        ; =>    This Inner Loop Header: Depth=3
	s_sleep 1
	flat_load_dwordx2 v[36:37], v[26:27] sc0 sc1
	v_and_b32_e32 v1, 64, v62
	v_cmp_eq_u32_e32 vcc, 0, v1
	s_andn2_b64 s[58:59], s[58:59], exec
	s_and_saveexec_b64 s[60:61], vcc
	s_cbranch_execz .LBB19_270
; %bb.272:                              ;   in Loop: Header=BB19_271 Depth=3
	v_add_u32_e32 v1, 1, v0
	v_cmp_lt_i32_e32 vcc, s73, v0
	s_mov_b64 s[64:65], -1
	s_and_saveexec_b64 s[62:63], vcc
	s_cbranch_execz .LBB19_269
; %bb.273:                              ;   in Loop: Header=BB19_271 Depth=3
	s_trap 2
	ds_read_b64 v[0:1], v0
	s_waitcnt vmcnt(0) lgkmcnt(0)
	flat_load_dword v0, v[0:1] sc0 sc1
	s_waitcnt vmcnt(0) lgkmcnt(0)
	buffer_inv sc0 sc1
	v_cmp_ne_u32_e32 vcc, 0, v0
	s_and_saveexec_b64 s[66:67], vcc
	s_cbranch_execz .LBB19_268
; %bb.274:                              ;   in Loop: Header=BB19_271 Depth=3
	v_or_b32_e32 v62, 64, v62
	s_xor_b64 s[64:65], exec, -1
	ds_write_b32 v0, v0
	s_trap 2
	s_branch .LBB19_268
.LBB19_275:                             ;   in Loop: Header=BB19_263 Depth=2
	s_or_b64 exec, exec, s[56:57]
	v_and_b32_e32 v0, 8, v62
.LBB19_276:                             ;   in Loop: Header=BB19_263 Depth=2
	s_or_b64 exec, exec, s[54:55]
	v_cmp_eq_u32_e32 vcc, 0, v0
	s_orn2_b64 s[54:55], vcc, exec
	;;#ASMSTART
	s_wakeup
	;;#ASMEND
.LBB19_277:                             ;   in Loop: Header=BB19_263 Depth=2
	s_or_b64 exec, exec, s[24:25]
	v_sub_u32_e32 v0, v44, v2
	s_xor_b64 s[24:25], s[54:55], -1
	v_min_i32_e32 v22, v22, v0
	s_and_saveexec_b64 s[54:55], s[24:25]
	s_cbranch_execz .LBB19_287
; %bb.278:                              ;   in Loop: Header=BB19_263 Depth=2
	v_and_b32_e32 v0, 0x100, v62
	v_cmp_ne_u32_e32 vcc, 0, v0
	v_and_b32_e32 v0, 7, v50
	s_mov_b64 s[24:25], -1
                                        ; implicit-def: $vgpr6_vgpr7
	s_and_saveexec_b64 s[56:57], vcc
	s_cbranch_execz .LBB19_282
; %bb.279:                              ;   in Loop: Header=BB19_263 Depth=2
	v_mad_u64_u32 v[10:11], s[24:25], v0, 24, v[32:33]
	flat_load_dword v1, v[10:11]
	v_ashrrev_i32_e32 v23, 31, v22
	flat_store_dwordx2 v[10:11], v[22:23] offset:8
                                        ; implicit-def: $vgpr6_vgpr7
	s_waitcnt vmcnt(0) lgkmcnt(0)
	v_cmp_ne_u32_e32 vcc, 1, v1
	v_cmp_eq_u32_e64 s[24:25], 1, v1
	s_and_saveexec_b64 s[58:59], s[24:25]
	s_cbranch_execz .LBB19_281
; %bb.280:                              ;   in Loop: Header=BB19_263 Depth=2
	flat_load_dword v6, v[10:11] offset:4 sc0 sc1
	s_waitcnt vmcnt(0) lgkmcnt(0)
	v_ashrrev_i32_e32 v7, 31, v6
.LBB19_281:                             ;   in Loop: Header=BB19_263 Depth=2
	s_or_b64 exec, exec, s[58:59]
	s_orn2_b64 s[24:25], vcc, exec
.LBB19_282:                             ;   in Loop: Header=BB19_263 Depth=2
	s_or_b64 exec, exec, s[56:57]
	s_and_saveexec_b64 vcc, s[24:25]
; %bb.283:                              ;   in Loop: Header=BB19_263 Depth=2
	v_mad_i64_i32 v[6:7], s[24:25], v0, v40, 0
; %bb.284:                              ;   in Loop: Header=BB19_263 Depth=2
	s_or_b64 exec, exec, vcc
	v_lshl_add_u64 v[0:1], v[42:43], 0, v[6:7]
	ds_write_b64 v0, v[0:1] offset:784
	v_and_b32_e32 v0, 0x2000, v62
	v_cmp_ne_u32_e32 vcc, 0, v0
	s_and_saveexec_b64 s[24:25], vcc
	s_cbranch_execz .LBB19_286
; %bb.285:                              ;   in Loop: Header=BB19_263 Depth=2
	ds_read_b64 v[0:1], v0 offset:584
	s_waitcnt lgkmcnt(0)
	v_lshl_add_u64 v[0:1], v[0:1], 0, 1
	ds_write_b64 v0, v[0:1] offset:584
.LBB19_286:                             ;   in Loop: Header=BB19_263 Depth=2
	s_or_b64 exec, exec, s[24:25]
	v_mov_b64_e32 v[50:51], v[8:9]
.LBB19_287:                             ;   in Loop: Header=BB19_263 Depth=2
	s_or_b64 exec, exec, s[54:55]
	s_and_saveexec_b64 s[24:25], s[4:5]
	s_cbranch_execz .LBB19_306
; %bb.288:                              ;   in Loop: Header=BB19_263 Depth=2
	s_and_saveexec_b64 vcc, s[40:41]
	s_xor_b64 s[54:55], exec, vcc
	s_cbranch_execz .LBB19_303
; %bb.289:                              ;   in Loop: Header=BB19_263 Depth=2
	s_and_saveexec_b64 s[56:57], s[12:13]
	s_cbranch_execz .LBB19_302
; %bb.290:                              ;   in Loop: Header=BB19_263 Depth=2
	s_mov_b64 s[60:61], exec
	v_mbcnt_lo_u32_b32 v0, s60, 0
	v_mbcnt_hi_u32_b32 v0, s61, v0
	v_cmp_eq_u32_e32 vcc, 0, v0
	s_waitcnt lgkmcnt(0)
	s_and_saveexec_b64 s[58:59], vcc
	s_cbranch_execz .LBB19_292
; %bb.291:                              ;   in Loop: Header=BB19_263 Depth=2
	s_bcnt1_i32_b64 vcc_lo, s[60:61]
	v_mov_b32_e32 v38, vcc_lo
	ds_add_u64 v0, v[38:39]
	s_trap 2
.LBB19_292:                             ;   in Loop: Header=BB19_263 Depth=2
	s_or_b64 exec, exec, s[58:59]
	s_trap 2
	ds_read_b64 v[0:1], v0
	v_lshl_add_u64 v[14:15], v[14:15], 0, v[48:49]
	s_waitcnt lgkmcnt(0)
	v_cmp_lt_u64_e32 vcc, v[0:1], v[14:15]
	s_and_saveexec_b64 s[58:59], vcc
	s_cbranch_execz .LBB19_301
; %bb.293:                              ;   in Loop: Header=BB19_263 Depth=2
	s_mov_b32 s78, 0
	s_mov_b64 s[60:61], 0
                                        ; implicit-def: $sgpr62_sgpr63
                                        ; implicit-def: $sgpr64_sgpr65
	s_branch .LBB19_295
.LBB19_294:                             ;   in Loop: Header=BB19_295 Depth=3
	s_or_b64 exec, exec, s[68:69]
	s_and_b64 vcc, exec, vcc
	s_or_b64 s[60:61], vcc, s[60:61]
	s_andn2_b64 vcc, s[62:63], exec
	s_and_b64 s[62:63], s[64:65], exec
	s_or_b64 s[62:63], vcc, s[62:63]
	s_andn2_b64 exec, exec, s[60:61]
	s_cbranch_execz .LBB19_299
.LBB19_295:                             ;   Parent Loop BB19_81 Depth=1
                                        ;     Parent Loop BB19_263 Depth=2
                                        ; =>    This Inner Loop Header: Depth=3
	s_add_i32 s78, s78, 1
	s_cmpk_lg_i32 s78, 0x2710
	s_cselect_b64 s[66:67], -1, 0
	s_and_b64 vcc, exec, s[66:67]
                                        ; implicit-def: $sgpr68_sgpr69
	s_cbranch_vccnz .LBB19_297
; %bb.296:                              ;   in Loop: Header=BB19_295 Depth=3
	s_trap 2
	ds_read_b64 v[0:1], v0
	s_andn2_b64 s[66:67], s[66:67], exec
	s_mov_b32 s78, 0
	s_mov_b64 s[68:69], -1
	s_waitcnt vmcnt(0) lgkmcnt(0)
	flat_load_dword v0, v[0:1] sc0 sc1
	s_waitcnt vmcnt(0) lgkmcnt(0)
	buffer_inv sc0 sc1
	v_cmp_eq_u32_e32 vcc, 0, v0
	s_and_b64 vcc, vcc, exec
	s_or_b64 s[66:67], s[66:67], vcc
.LBB19_297:                             ;   in Loop: Header=BB19_295 Depth=3
	s_andn2_b64 s[64:65], s[64:65], exec
	s_and_b64 s[68:69], s[68:69], exec
	s_mov_b64 vcc, -1
	s_or_b64 s[64:65], s[64:65], s[68:69]
	s_and_saveexec_b64 s[68:69], s[66:67]
	s_cbranch_execz .LBB19_294
; %bb.298:                              ;   in Loop: Header=BB19_295 Depth=3
	s_sleep 1
	s_trap 2
	ds_read_b64 v[0:1], v0
	s_andn2_b64 s[64:65], s[64:65], exec
	s_waitcnt lgkmcnt(0)
	v_cmp_ge_u64_e32 vcc, v[0:1], v[14:15]
	s_orn2_b64 vcc, vcc, exec
	s_branch .LBB19_294
.LBB19_299:                             ;   in Loop: Header=BB19_263 Depth=2
	s_or_b64 exec, exec, s[60:61]
	s_and_saveexec_b64 vcc, s[62:63]
	s_xor_b64 vcc, exec, vcc
	s_cbranch_execz .LBB19_301
; %bb.300:                              ;   in Loop: Header=BB19_263 Depth=2
	ds_write_b32 v0, v46
	s_trap 2
.LBB19_301:                             ;   in Loop: Header=BB19_263 Depth=2
	s_or_b64 exec, exec, s[58:59]
	;;#ASMSTART
	s_wakeup
	;;#ASMEND
.LBB19_302:                             ;   in Loop: Header=BB19_263 Depth=2
	s_or_b64 exec, exec, s[56:57]
.LBB19_303:                             ;   in Loop: Header=BB19_263 Depth=2
	s_andn2_saveexec_b64 vcc, s[54:55]
	s_cbranch_execz .LBB19_305
; %bb.304:                              ;   in Loop: Header=BB19_263 Depth=2
	s_waitcnt lgkmcnt(0)
	s_barrier
.LBB19_305:                             ;   in Loop: Header=BB19_263 Depth=2
	s_or_b64 exec, exec, vcc
.LBB19_306:                             ;   in Loop: Header=BB19_263 Depth=2
	s_or_b64 exec, exec, s[24:25]
	s_trap 2
	ds_read_b32 v6, v0
	v_and_b32_e32 v0, 0x4000, v62
	v_cmp_ne_u32_e32 vcc, 0, v0
	s_xor_b64 s[24:25], s[2:3], -1
	s_and_b64 vcc, s[24:25], vcc
	s_and_saveexec_b64 s[24:25], vcc
	s_cbranch_execz .LBB19_325
; %bb.307:                              ;   in Loop: Header=BB19_263 Depth=2
	s_and_saveexec_b64 vcc, s[40:41]
	s_xor_b64 s[54:55], exec, vcc
	s_cbranch_execz .LBB19_322
; %bb.308:                              ;   in Loop: Header=BB19_263 Depth=2
	s_and_saveexec_b64 s[56:57], s[12:13]
	s_cbranch_execz .LBB19_321
; %bb.309:                              ;   in Loop: Header=BB19_263 Depth=2
	s_mov_b64 s[60:61], exec
	v_mbcnt_lo_u32_b32 v0, s60, 0
	v_mbcnt_hi_u32_b32 v0, s61, v0
	v_cmp_eq_u32_e32 vcc, 0, v0
	s_waitcnt lgkmcnt(0)
	s_and_saveexec_b64 s[58:59], vcc
	s_cbranch_execz .LBB19_311
; %bb.310:                              ;   in Loop: Header=BB19_263 Depth=2
	s_bcnt1_i32_b64 vcc_lo, s[60:61]
	v_mov_b32_e32 v38, vcc_lo
	ds_add_u64 v0, v[38:39]
	s_trap 2
.LBB19_311:                             ;   in Loop: Header=BB19_263 Depth=2
	s_or_b64 exec, exec, s[58:59]
	s_trap 2
	ds_read_b64 v[0:1], v0
	v_lshl_add_u64 v[14:15], v[14:15], 0, v[48:49]
	s_waitcnt lgkmcnt(0)
	v_cmp_lt_u64_e32 vcc, v[0:1], v[14:15]
	s_and_saveexec_b64 s[58:59], vcc
	s_cbranch_execz .LBB19_320
; %bb.312:                              ;   in Loop: Header=BB19_263 Depth=2
	s_mov_b32 s78, 0
	s_mov_b64 s[60:61], 0
                                        ; implicit-def: $sgpr62_sgpr63
                                        ; implicit-def: $sgpr64_sgpr65
	s_branch .LBB19_314
.LBB19_313:                             ;   in Loop: Header=BB19_314 Depth=3
	s_or_b64 exec, exec, s[68:69]
	s_and_b64 vcc, exec, vcc
	s_or_b64 s[60:61], vcc, s[60:61]
	s_andn2_b64 vcc, s[62:63], exec
	s_and_b64 s[62:63], s[64:65], exec
	s_or_b64 s[62:63], vcc, s[62:63]
	s_andn2_b64 exec, exec, s[60:61]
	s_cbranch_execz .LBB19_318
.LBB19_314:                             ;   Parent Loop BB19_81 Depth=1
                                        ;     Parent Loop BB19_263 Depth=2
                                        ; =>    This Inner Loop Header: Depth=3
	s_add_i32 s78, s78, 1
	s_cmpk_lg_i32 s78, 0x2710
	s_cselect_b64 s[66:67], -1, 0
	s_and_b64 vcc, exec, s[66:67]
                                        ; implicit-def: $sgpr68_sgpr69
	s_cbranch_vccnz .LBB19_316
; %bb.315:                              ;   in Loop: Header=BB19_314 Depth=3
	s_trap 2
	ds_read_b64 v[0:1], v0
	s_andn2_b64 s[66:67], s[66:67], exec
	s_mov_b32 s78, 0
	s_mov_b64 s[68:69], -1
	s_waitcnt vmcnt(0) lgkmcnt(0)
	flat_load_dword v0, v[0:1] sc0 sc1
	s_waitcnt vmcnt(0) lgkmcnt(0)
	buffer_inv sc0 sc1
	v_cmp_eq_u32_e32 vcc, 0, v0
	s_and_b64 vcc, vcc, exec
	s_or_b64 s[66:67], s[66:67], vcc
.LBB19_316:                             ;   in Loop: Header=BB19_314 Depth=3
	s_andn2_b64 s[64:65], s[64:65], exec
	s_and_b64 s[68:69], s[68:69], exec
	s_mov_b64 vcc, -1
	s_or_b64 s[64:65], s[64:65], s[68:69]
	s_and_saveexec_b64 s[68:69], s[66:67]
	s_cbranch_execz .LBB19_313
; %bb.317:                              ;   in Loop: Header=BB19_314 Depth=3
	s_sleep 1
	s_trap 2
	ds_read_b64 v[0:1], v0
	s_andn2_b64 s[64:65], s[64:65], exec
	s_waitcnt lgkmcnt(0)
	v_cmp_ge_u64_e32 vcc, v[0:1], v[14:15]
	s_orn2_b64 vcc, vcc, exec
	s_branch .LBB19_313
.LBB19_318:                             ;   in Loop: Header=BB19_263 Depth=2
	s_or_b64 exec, exec, s[60:61]
	s_and_saveexec_b64 vcc, s[62:63]
	s_xor_b64 vcc, exec, vcc
	s_cbranch_execz .LBB19_320
; %bb.319:                              ;   in Loop: Header=BB19_263 Depth=2
	ds_write_b32 v0, v46
	s_trap 2
.LBB19_320:                             ;   in Loop: Header=BB19_263 Depth=2
	s_or_b64 exec, exec, s[58:59]
	;;#ASMSTART
	s_wakeup
	;;#ASMEND
.LBB19_321:                             ;   in Loop: Header=BB19_263 Depth=2
	s_or_b64 exec, exec, s[56:57]
.LBB19_322:                             ;   in Loop: Header=BB19_263 Depth=2
	s_andn2_saveexec_b64 vcc, s[54:55]
	s_cbranch_execz .LBB19_324
; %bb.323:                              ;   in Loop: Header=BB19_263 Depth=2
	s_waitcnt lgkmcnt(0)
	s_barrier
.LBB19_324:                             ;   in Loop: Header=BB19_263 Depth=2
	s_or_b64 exec, exec, vcc
.LBB19_325:                             ;   in Loop: Header=BB19_263 Depth=2
	s_or_b64 exec, exec, s[24:25]
	s_trap 2
	ds_read_b64 v[0:1], v0
	v_mov_b32_e32 v3, 0
	s_waitcnt lgkmcnt(0)
	v_readfirstlane_b32 s24, v0
	v_readfirstlane_b32 s25, v1
	s_cmp_eq_u64 s[24:25], 0
	s_cselect_b64 s[24:25], -1, 0
	s_or_b64 s[24:25], s[24:25], s[24:25]
	s_and_b64 vcc, exec, s[24:25]
	s_cbranch_vccnz .LBB19_355
; %bb.326:                              ;   in Loop: Header=BB19_263 Depth=2
	s_mov_b64 s[24:25], -1
	s_and_saveexec_b64 s[54:55], s[14:15]
	s_cbranch_execz .LBB19_328
; %bb.327:                              ;   in Loop: Header=BB19_263 Depth=2
	ds_read_b32 v0, v0 offset:720
	s_waitcnt lgkmcnt(0)
	v_and_b32_e32 v0, 15, v0
	v_cmp_eq_u32_e32 vcc, 0, v0
	s_orn2_b64 s[24:25], vcc, exec
.LBB19_328:                             ;   in Loop: Header=BB19_263 Depth=2
	s_or_b64 exec, exec, s[54:55]
	s_and_saveexec_b64 s[54:55], s[18:19]
	s_cbranch_execz .LBB19_330
; %bb.329:                              ;   in Loop: Header=BB19_263 Depth=2
	ds_read_b32 v0, v0 offset:784
	s_waitcnt lgkmcnt(0)
	v_and_b32_e32 v0, 15, v0
	v_cmp_eq_u32_e32 vcc, 0, v0
	s_and_b64 vcc, s[24:25], vcc
	s_andn2_b64 s[24:25], s[24:25], exec
	s_and_b64 vcc, vcc, exec
	s_or_b64 s[24:25], s[24:25], vcc
.LBB19_330:                             ;   in Loop: Header=BB19_263 Depth=2
	s_or_b64 exec, exec, s[54:55]
	v_cmp_eq_u32_e32 vcc, 0, v6
	s_xor_b64 s[24:25], s[24:25], -1
	v_cndmask_b32_e64 v0, 0, 1, s[24:25]
	v_cndmask_b32_e32 v3, 0, v22, vcc
	v_mov_b32_e32 v5, 0
	s_mov_b64 s[56:57], -1
	;;#ASMSTART
	;;#ASMEND
	v_mov_b32_e32 v18, v3
	v_cmp_ne_u32_e32 vcc, 0, v0
	v_mov_b32_e32 v19, v60
	v_mov_b32_e32 v8, v41
	s_cbranch_vccz .LBB19_332
; %bb.331:                              ;   in Loop: Header=BB19_263 Depth=2
	s_and_saveexec_b64 s[24:25], s[56:57]
	s_cbranch_execnz .LBB19_345
	s_branch .LBB19_354
.LBB19_332:                             ;   in Loop: Header=BB19_263 Depth=2
	v_ashrrev_i32_e32 v0, 31, v3
	v_lshrrev_b32_e32 v0, 19, v0
	v_add_u32_e32 v0, v3, v0
	v_ashrrev_i32_e32 v0, 13, v0
	v_sub_u32_e32 v1, v0, v41
	v_cmp_lt_i32_e32 vcc, 0, v1
	s_and_saveexec_b64 s[54:55], vcc
	s_cbranch_execz .LBB19_336
; %bb.333:                              ;   in Loop: Header=BB19_263 Depth=2
	s_trap 2
	ds_read_b64 v[6:7], v0
	v_mov_b32_e32 v38, v22
	s_mov_b64 s[56:57], 0
	v_mov_b64_e32 v[4:5], v[54:55]
	s_waitcnt lgkmcnt(0)
	v_mov_b64_e32 v[8:9], v[6:7]
.LBB19_334:                             ;   Parent Loop BB19_81 Depth=1
                                        ;     Parent Loop BB19_263 Depth=2
                                        ; =>    This Inner Loop Header: Depth=3
	s_waitcnt vmcnt(0)
	v_lshl_add_u64 v[24:25], v[30:31], 0, v[8:9]
	global_load_dwordx4 v[10:13], v[24:25], off nt
	global_load_dwordx4 v[16:19], v[24:25], off offset:1024 nt
	global_load_dwordx4 v[20:23], v[24:25], off offset:2048 nt
	;; [unrolled: 1-line block ×3, first 2 shown]
	v_add_co_u32_e32 v24, vcc, 0x1000, v24
	v_sub_u32_e32 v1, v1, v48
	s_nop 0
	v_addc_co_u32_e32 v25, vcc, 0, v25, vcc
	global_load_dwordx4 v[32:35], v[24:25], off nt
	global_load_dwordx4 v[52:55], v[24:25], off offset:1024 nt
	global_load_dwordx4 v[40:43], v[24:25], off offset:2048 nt
	;; [unrolled: 1-line block ×3, first 2 shown]
	s_nop 0
	scratch_load_dwordx2 v[24:25], off, s33 offset:172 ; 8-byte Folded Reload
	v_cmp_gt_i32_e64 s[24:25], 1, v1
	v_lshl_add_u64 v[8:9], v[8:9], 0, v[4:5]
	s_or_b64 s[56:57], s[24:25], s[56:57]
	s_waitcnt vmcnt(0)
	v_lshl_add_u64 v[24:25], v[24:25], 0, v[6:7]
	global_store_dwordx4 v[24:25], v[10:13], off nt
	global_store_dwordx4 v[24:25], v[16:19], off offset:1024 nt
	global_store_dwordx4 v[24:25], v[20:23], off offset:2048 nt
	;; [unrolled: 1-line block ×3, first 2 shown]
	scratch_load_dwordx2 v[30:31], off, s33 offset:172 ; 8-byte Folded Reload
	v_add_co_u32_e32 v44, vcc, 0x1000, v24
	v_lshl_add_u64 v[6:7], v[6:7], 0, v[4:5]
	s_nop 0
	v_addc_co_u32_e32 v45, vcc, 0, v25, vcc
	global_store_dwordx4 v[44:45], v[32:35], off nt
	global_store_dwordx4 v[44:45], v[52:55], off offset:1024 nt
	global_store_dwordx4 v[44:45], v[40:43], off offset:2048 nt
	global_store_dwordx4 v[44:45], v[58:61], off offset:3072 nt
	s_andn2_b64 exec, exec, s[56:57]
	s_cbranch_execnz .LBB19_334
; %bb.335:                              ;   in Loop: Header=BB19_263 Depth=2
	s_or_b64 exec, exec, s[56:57]
	v_accvgpr_read_b32 v33, a21
	v_accvgpr_read_b32 v43, a25
	;; [unrolled: 1-line block ×18, first 2 shown]
	v_mov_b64_e32 v[54:55], v[4:5]
	v_accvgpr_read_b32 v52, a48
	v_accvgpr_read_b32 v44, a52
	v_accvgpr_read_b32 v45, a53
	v_mov_b32_e32 v22, v38
.LBB19_336:                             ;   in Loop: Header=BB19_263 Depth=2
	s_or_b64 exec, exec, s[54:55]
	v_lshlrev_b32_e32 v0, 13, v0
	v_cmp_ne_u32_e32 vcc, v3, v0
	s_mov_b64 s[56:57], 0
	v_mov_b32_e32 v5, 0
                                        ; implicit-def: $vgpr18
                                        ; implicit-def: $vgpr19
                                        ; implicit-def: $vgpr8
	s_and_saveexec_b64 s[54:55], vcc
	s_cbranch_execz .LBB19_344
; %bb.337:                              ;   in Loop: Header=BB19_263 Depth=2
	v_lshlrev_b32_e32 v1, 6, v1
	v_accvgpr_read_b32 v4, a41
	v_sub_u32_e32 v1, v4, v1
	v_sub_u32_e32 v6, v3, v0
	v_ashrrev_i32_e32 v5, 31, v1
	v_lshrrev_b32_e32 v5, 26, v5
	v_ashrrev_i32_e32 v9, 31, v6
	v_add_u32_e32 v5, v1, v5
	v_lshrrev_b32_e32 v9, 22, v9
	v_ashrrev_i32_e32 v7, 6, v5
	v_and_b32_e32 v5, 0xffffffc0, v5
	v_add_u32_e32 v9, v6, v9
	v_sub_u32_e32 v1, v1, v5
	v_and_b32_e32 v10, 0xfffffc00, v9
	v_lshlrev_b32_e32 v5, 4, v1
	v_sub_u32_e32 v12, v6, v10
	v_lshl_add_u32 v8, v7, 10, v5
	v_ashrrev_i32_e32 v11, 10, v9
	v_cmp_lt_i32_e32 vcc, 15, v12
	v_sub_u32_e32 v5, v6, v8
	s_nop 0
	v_addc_co_u32_e64 v6, s[24:25], 0, v11, vcc
	v_sub_u32_e32 v11, v6, v7
	v_cmp_lt_i32_e64 s[24:25], 15, v5
	s_and_saveexec_b64 s[56:57], s[24:25]
	s_cbranch_execz .LBB19_341
; %bb.338:                              ;   in Loop: Header=BB19_263 Depth=2
	s_trap 2
	ds_read_b64 v[6:7], v0
	v_add_u32_e32 v8, v8, v0
	v_ashrrev_i32_e32 v9, 31, v8
	s_mov_b64 s[58:59], 0
.LBB19_339:                             ;   Parent Loop BB19_81 Depth=1
                                        ;     Parent Loop BB19_263 Depth=2
                                        ; =>    This Inner Loop Header: Depth=3
	s_waitcnt lgkmcnt(0)
	v_lshl_add_u64 v[20:21], v[6:7], 0, v[8:9]
	global_load_dwordx4 v[16:19], v[20:21], off nt
	v_sub_u32_e32 v5, v5, v61
	v_cmp_gt_i32_e64 s[24:25], 16, v5
	v_sub_u32_e32 v11, v11, v48
	v_lshl_add_u64 v[8:9], v[8:9], 0, v[52:53]
	s_or_b64 s[58:59], s[24:25], s[58:59]
	s_waitcnt vmcnt(0)
	global_store_dwordx4 v[20:21], v[16:19], off nt
	s_andn2_b64 exec, exec, s[58:59]
	s_cbranch_execnz .LBB19_339
; %bb.340:                              ;   in Loop: Header=BB19_263 Depth=2
	s_or_b64 exec, exec, s[58:59]
.LBB19_341:                             ;   in Loop: Header=BB19_263 Depth=2
	s_or_b64 exec, exec, s[56:57]
	v_and_b32_e32 v6, 15, v3
	v_cndmask_b32_e32 v18, v12, v6, vcc
	v_cmp_ne_u32_e64 s[24:25], 0, v18
	s_mov_b64 s[56:57], 0
	v_mov_b32_e32 v5, 0
                                        ; implicit-def: $vgpr19
                                        ; implicit-def: $vgpr8
	s_and_saveexec_b64 s[58:59], s[24:25]
	s_cbranch_execz .LBB19_343
; %bb.342:                              ;   in Loop: Header=BB19_263 Depth=2
	v_sub_u32_e32 v5, v12, v6
	v_cndmask_b32_e32 v5, 0, v5, vcc
	v_cmp_lt_i32_e32 vcc, 0, v11
	v_add3_u32 v5, v10, v0, v5
	s_mov_b64 s[56:57], exec
	v_cndmask_b32_e32 v0, 0, v48, vcc
	v_sub_u32_e32 v0, v0, v11
	v_lshl_add_u32 v19, v0, 6, v1
	v_ashrrev_i32_e32 v0, 31, v19
	v_lshrrev_b32_e32 v0, 26, v0
	v_add_u32_e32 v0, v19, v0
	v_ashrrev_i32_e32 v8, 6, v0
.LBB19_343:                             ;   in Loop: Header=BB19_263 Depth=2
	s_or_b64 exec, exec, s[58:59]
	v_accvgpr_read_b32 v12, a42
	s_and_b64 s[56:57], s[56:57], exec
	v_accvgpr_read_b32 v13, a43
.LBB19_344:                             ;   in Loop: Header=BB19_263 Depth=2
	s_or_b64 exec, exec, s[54:55]
	s_and_saveexec_b64 s[24:25], s[56:57]
	s_cbranch_execz .LBB19_354
.LBB19_345:                             ;   in Loop: Header=BB19_263 Depth=2
	v_ashrrev_i32_e32 v0, 31, v18
	v_lshrrev_b32_e32 v0, 21, v0
	v_add_u32_e32 v0, v18, v0
	v_ashrrev_i32_e32 v1, 11, v0
	v_sub_u32_e32 v0, v1, v8
	v_cmp_lt_i32_e32 vcc, 0, v0
	s_and_saveexec_b64 s[54:55], vcc
	s_cbranch_execz .LBB19_349
; %bb.346:                              ;   in Loop: Header=BB19_263 Depth=2
	v_ashrrev_i32_e32 v9, 31, v19
	s_trap 2
	ds_read_b64 v[6:7], v0
	v_lshrrev_b32_e32 v9, 26, v9
	v_add_u32_e32 v9, v19, v9
	v_and_b32_e32 v9, 0xffffffc0, v9
	v_sub_u32_e32 v9, v19, v9
	v_lshlrev_b32_e32 v8, 11, v8
	v_add3_u32 v8, v5, v9, v8
	v_mov_b32_e32 v4, v22
	v_ashrrev_i32_e32 v9, 31, v8
	s_mov_b64 s[56:57], 0
	s_waitcnt lgkmcnt(0)
	v_mov_b64_e32 v[10:11], v[6:7]
.LBB19_347:                             ;   Parent Loop BB19_81 Depth=1
                                        ;     Parent Loop BB19_263 Depth=2
                                        ; =>    This Inner Loop Header: Depth=3
	v_lshl_add_u64 v[12:13], v[8:9], 0, v[10:11]
	flat_load_ubyte v20, v[12:13] nt
	flat_load_ubyte v21, v[12:13] offset:64 nt
	flat_load_ubyte v22, v[12:13] offset:128 nt
	;; [unrolled: 1-line block ×7, first 2 shown]
	s_waitcnt vmcnt(0)
	flat_load_ubyte v30, v[12:13] offset:512 nt
	flat_load_ubyte v31, v[12:13] offset:576 nt
	;; [unrolled: 1-line block ×23, first 2 shown]
	s_nop 0
	flat_load_ubyte v12, v[12:13] offset:1984 nt
	v_sub_u32_e32 v0, v0, v48
	v_cmp_gt_i32_e32 vcc, 1, v0
	v_lshl_add_u64 v[16:17], v[8:9], 0, v[6:7]
	v_lshl_add_u64 v[10:11], v[10:11], 0, v[56:57]
	;; [unrolled: 1-line block ×3, first 2 shown]
	s_or_b64 s[56:57], vcc, s[56:57]
	s_waitcnt lgkmcnt(0)
	flat_store_byte v[16:17], v20 nt
	flat_store_byte v[16:17], v21 offset:64 nt
	flat_store_byte v[16:17], v22 offset:128 nt
	;; [unrolled: 1-line block ×7, first 2 shown]
	s_waitcnt vmcnt(0)
	flat_store_byte v[16:17], v30 offset:512 nt
	flat_store_byte v[16:17], v31 offset:576 nt
	;; [unrolled: 1-line block ×24, first 2 shown]
	s_andn2_b64 exec, exec, s[56:57]
	s_cbranch_execnz .LBB19_347
; %bb.348:                              ;   in Loop: Header=BB19_263 Depth=2
	s_or_b64 exec, exec, s[56:57]
	scratch_load_dwordx2 v[30:31], off, s33 offset:172 ; 8-byte Folded Reload
	v_accvgpr_read_b32 v33, a21
	v_accvgpr_read_b32 v43, a25
	;; [unrolled: 1-line block ×15, first 2 shown]
	v_mov_b32_e32 v46, 1
	v_accvgpr_read_b32 v61, a29
	v_accvgpr_read_b32 v25, a35
	;; [unrolled: 1-line block ×9, first 2 shown]
	v_mov_b32_e32 v22, v4
.LBB19_349:                             ;   in Loop: Header=BB19_263 Depth=2
	s_or_b64 exec, exec, s[54:55]
	v_lshlrev_b32_e32 v1, 11, v1
	v_cmp_ne_u32_e32 vcc, v18, v1
	s_and_saveexec_b64 s[54:55], vcc
	s_cbranch_execz .LBB19_353
; %bb.350:                              ;   in Loop: Header=BB19_263 Depth=2
	v_ashrrev_i32_e32 v6, 31, v19
	v_lshrrev_b32_e32 v6, 26, v6
	v_add_u32_e32 v6, v19, v6
	v_and_b32_e32 v6, 0xffffffc0, v6
	v_sub_u32_e32 v6, v19, v6
	v_lshlrev_b32_e32 v0, 6, v0
	v_sub_u32_e32 v0, v6, v0
	v_add_u32_e32 v1, v1, v0
	v_sub_u32_e32 v0, v18, v1
	v_cmp_lt_i32_e32 vcc, 0, v0
	s_and_b64 exec, exec, vcc
	s_cbranch_execz .LBB19_353
; %bb.351:                              ;   in Loop: Header=BB19_263 Depth=2
	s_trap 2
	ds_read_b64 v[6:7], v0
	v_add_u32_e32 v8, v1, v5
	v_ashrrev_i32_e32 v9, 31, v8
	s_mov_b64 s[56:57], 0
.LBB19_352:                             ;   Parent Loop BB19_81 Depth=1
                                        ;     Parent Loop BB19_263 Depth=2
                                        ; =>    This Inner Loop Header: Depth=3
	s_waitcnt lgkmcnt(0)
	v_lshl_add_u64 v[10:11], v[6:7], 0, v[8:9]
	flat_load_ubyte v1, v[10:11] nt
	v_sub_u32_e32 v0, v0, v34
	v_cmp_gt_i32_e32 vcc, 1, v0
	v_lshl_add_u64 v[8:9], v[8:9], 0, v[28:29]
	s_or_b64 s[56:57], vcc, s[56:57]
	s_waitcnt vmcnt(0) lgkmcnt(0)
	flat_store_byte v[10:11], v1 nt
	s_andn2_b64 exec, exec, s[56:57]
	s_cbranch_execnz .LBB19_352
.LBB19_353:                             ;   in Loop: Header=BB19_263 Depth=2
	s_or_b64 exec, exec, s[54:55]
.LBB19_354:                             ;   in Loop: Header=BB19_263 Depth=2
	s_or_b64 exec, exec, s[24:25]
.LBB19_355:                             ;   in Loop: Header=BB19_263 Depth=2
	s_and_saveexec_b64 s[24:25], s[4:5]
	s_cbranch_execz .LBB19_374
; %bb.356:                              ;   in Loop: Header=BB19_263 Depth=2
	s_and_saveexec_b64 vcc, s[40:41]
	s_xor_b64 s[54:55], exec, vcc
	s_cbranch_execz .LBB19_371
; %bb.357:                              ;   in Loop: Header=BB19_263 Depth=2
	s_and_saveexec_b64 s[56:57], s[12:13]
	s_cbranch_execz .LBB19_370
; %bb.358:                              ;   in Loop: Header=BB19_263 Depth=2
	s_mov_b64 s[60:61], exec
	v_mbcnt_lo_u32_b32 v0, s60, 0
	v_mbcnt_hi_u32_b32 v0, s61, v0
	v_cmp_eq_u32_e32 vcc, 0, v0
	s_waitcnt lgkmcnt(0)
	s_and_saveexec_b64 s[58:59], vcc
	s_cbranch_execz .LBB19_360
; %bb.359:                              ;   in Loop: Header=BB19_263 Depth=2
	s_bcnt1_i32_b64 vcc_lo, s[60:61]
	v_mov_b32_e32 v38, vcc_lo
	ds_add_u64 v0, v[38:39]
	s_trap 2
.LBB19_360:                             ;   in Loop: Header=BB19_263 Depth=2
	s_or_b64 exec, exec, s[58:59]
	s_trap 2
	ds_read_b64 v[0:1], v0
	v_lshl_add_u64 v[14:15], v[14:15], 0, v[48:49]
	s_waitcnt lgkmcnt(0)
	v_cmp_lt_u64_e32 vcc, v[0:1], v[14:15]
	s_and_saveexec_b64 s[58:59], vcc
	s_cbranch_execz .LBB19_369
; %bb.361:                              ;   in Loop: Header=BB19_263 Depth=2
	s_mov_b32 s78, 0
	s_mov_b64 s[60:61], 0
                                        ; implicit-def: $sgpr62_sgpr63
                                        ; implicit-def: $sgpr64_sgpr65
	s_branch .LBB19_363
.LBB19_362:                             ;   in Loop: Header=BB19_363 Depth=3
	s_or_b64 exec, exec, s[68:69]
	s_and_b64 vcc, exec, vcc
	s_or_b64 s[60:61], vcc, s[60:61]
	s_andn2_b64 vcc, s[62:63], exec
	s_and_b64 s[62:63], s[64:65], exec
	s_or_b64 s[62:63], vcc, s[62:63]
	s_andn2_b64 exec, exec, s[60:61]
	s_cbranch_execz .LBB19_367
.LBB19_363:                             ;   Parent Loop BB19_81 Depth=1
                                        ;     Parent Loop BB19_263 Depth=2
                                        ; =>    This Inner Loop Header: Depth=3
	s_add_i32 s78, s78, 1
	s_cmpk_lg_i32 s78, 0x2710
	s_cselect_b64 s[66:67], -1, 0
	s_and_b64 vcc, exec, s[66:67]
                                        ; implicit-def: $sgpr68_sgpr69
	s_cbranch_vccnz .LBB19_365
; %bb.364:                              ;   in Loop: Header=BB19_363 Depth=3
	s_trap 2
	ds_read_b64 v[0:1], v0
	s_andn2_b64 s[66:67], s[66:67], exec
	s_mov_b32 s78, 0
	s_mov_b64 s[68:69], -1
	s_waitcnt vmcnt(0) lgkmcnt(0)
	flat_load_dword v0, v[0:1] sc0 sc1
	s_waitcnt vmcnt(0) lgkmcnt(0)
	buffer_inv sc0 sc1
	v_cmp_eq_u32_e32 vcc, 0, v0
	s_and_b64 vcc, vcc, exec
	s_or_b64 s[66:67], s[66:67], vcc
.LBB19_365:                             ;   in Loop: Header=BB19_363 Depth=3
	s_andn2_b64 s[64:65], s[64:65], exec
	s_and_b64 s[68:69], s[68:69], exec
	s_mov_b64 vcc, -1
	s_or_b64 s[64:65], s[64:65], s[68:69]
	s_and_saveexec_b64 s[68:69], s[66:67]
	s_cbranch_execz .LBB19_362
; %bb.366:                              ;   in Loop: Header=BB19_363 Depth=3
	s_sleep 1
	s_trap 2
	ds_read_b64 v[0:1], v0
	s_andn2_b64 s[64:65], s[64:65], exec
	s_waitcnt lgkmcnt(0)
	v_cmp_ge_u64_e32 vcc, v[0:1], v[14:15]
	s_orn2_b64 vcc, vcc, exec
	s_branch .LBB19_362
.LBB19_367:                             ;   in Loop: Header=BB19_263 Depth=2
	s_or_b64 exec, exec, s[60:61]
	s_and_saveexec_b64 vcc, s[62:63]
	s_xor_b64 vcc, exec, vcc
	s_cbranch_execz .LBB19_369
; %bb.368:                              ;   in Loop: Header=BB19_263 Depth=2
	ds_write_b32 v0, v46
	s_trap 2
.LBB19_369:                             ;   in Loop: Header=BB19_263 Depth=2
	s_or_b64 exec, exec, s[58:59]
	;;#ASMSTART
	s_wakeup
	;;#ASMEND
.LBB19_370:                             ;   in Loop: Header=BB19_263 Depth=2
	s_or_b64 exec, exec, s[56:57]
.LBB19_371:                             ;   in Loop: Header=BB19_263 Depth=2
	s_andn2_saveexec_b64 vcc, s[54:55]
	s_cbranch_execz .LBB19_373
; %bb.372:                              ;   in Loop: Header=BB19_263 Depth=2
	s_waitcnt lgkmcnt(0)
	s_barrier
.LBB19_373:                             ;   in Loop: Header=BB19_263 Depth=2
	s_or_b64 exec, exec, vcc
.LBB19_374:                             ;   in Loop: Header=BB19_263 Depth=2
	s_or_b64 exec, exec, s[24:25]
	v_and_b32_e32 v0, 16, v62
	s_and_saveexec_b64 s[24:25], s[20:21]
	s_xor_b64 s[54:55], exec, s[24:25]
	s_cbranch_execz .LBB19_379
; %bb.375:                              ;   in Loop: Header=BB19_263 Depth=2
	v_and_b32_e32 v1, 16, v62
	v_cmp_lt_i32_e32 vcc, 0, v3
	v_cmp_ne_u32_e64 s[24:25], 0, v1
	v_and_b32_e32 v0, 16, v62
	s_and_b64 vcc, s[24:25], vcc
	s_and_saveexec_b64 s[24:25], vcc
	s_cbranch_execz .LBB19_377
; %bb.376:                              ;   in Loop: Header=BB19_263 Depth=2
	v_mov_b32_e32 v0, 1
	buffer_wbl2 sc1
	s_waitcnt vmcnt(0) lgkmcnt(0)
	buffer_inv sc1
.LBB19_377:                             ;   in Loop: Header=BB19_263 Depth=2
	s_or_b64 exec, exec, s[24:25]
	s_andn2_saveexec_b64 s[24:25], s[54:55]
	s_cbranch_execnz .LBB19_380
.LBB19_378:                             ;   in Loop: Header=BB19_263 Depth=2
	s_or_b64 exec, exec, s[24:25]
	v_cmp_ne_u32_e32 vcc, 0, v0
	s_and_saveexec_b64 s[24:25], vcc
	s_cbranch_execz .LBB19_262
	s_branch .LBB19_398
.LBB19_379:                             ;   in Loop: Header=BB19_263 Depth=2
	s_andn2_saveexec_b64 s[24:25], s[54:55]
	s_cbranch_execz .LBB19_378
.LBB19_380:                             ;   in Loop: Header=BB19_263 Depth=2
	s_and_saveexec_b64 vcc, s[40:41]
	s_xor_b64 s[54:55], exec, vcc
	s_cbranch_execz .LBB19_395
; %bb.381:                              ;   in Loop: Header=BB19_263 Depth=2
	s_and_saveexec_b64 s[56:57], s[12:13]
	s_cbranch_execz .LBB19_394
; %bb.382:                              ;   in Loop: Header=BB19_263 Depth=2
	s_mov_b64 s[60:61], exec
	v_mbcnt_lo_u32_b32 v1, s60, 0
	v_mbcnt_hi_u32_b32 v1, s61, v1
	v_cmp_eq_u32_e32 vcc, 0, v1
	;;#ASMSTART
	s_waitcnt lgkmcnt(0) vmcnt(0)
	;;#ASMEND
	s_and_saveexec_b64 s[58:59], vcc
	s_cbranch_execz .LBB19_384
; %bb.383:                              ;   in Loop: Header=BB19_263 Depth=2
	s_bcnt1_i32_b64 vcc_lo, s[60:61]
	v_mov_b32_e32 v38, vcc_lo
	ds_add_u64 v0, v[38:39]
	s_trap 2
.LBB19_384:                             ;   in Loop: Header=BB19_263 Depth=2
	s_or_b64 exec, exec, s[58:59]
	s_trap 2
	ds_read_b64 v[6:7], v0
	v_lshl_add_u64 v[14:15], v[14:15], 0, v[48:49]
	s_waitcnt lgkmcnt(0)
	v_cmp_lt_u64_e32 vcc, v[6:7], v[14:15]
	s_and_saveexec_b64 s[58:59], vcc
	s_cbranch_execz .LBB19_393
; %bb.385:                              ;   in Loop: Header=BB19_263 Depth=2
	s_mov_b32 s78, 0
	s_mov_b64 s[60:61], 0
                                        ; implicit-def: $sgpr62_sgpr63
                                        ; implicit-def: $sgpr64_sgpr65
	s_branch .LBB19_387
.LBB19_386:                             ;   in Loop: Header=BB19_387 Depth=3
	s_or_b64 exec, exec, s[68:69]
	s_and_b64 vcc, exec, vcc
	s_or_b64 s[60:61], vcc, s[60:61]
	s_andn2_b64 vcc, s[62:63], exec
	s_and_b64 s[62:63], s[64:65], exec
	s_or_b64 s[62:63], vcc, s[62:63]
	s_andn2_b64 exec, exec, s[60:61]
	s_cbranch_execz .LBB19_391
.LBB19_387:                             ;   Parent Loop BB19_81 Depth=1
                                        ;     Parent Loop BB19_263 Depth=2
                                        ; =>    This Inner Loop Header: Depth=3
	s_add_i32 s78, s78, 1
	s_cmpk_lg_i32 s78, 0x2710
	s_cselect_b64 s[66:67], -1, 0
	s_and_b64 vcc, exec, s[66:67]
                                        ; implicit-def: $sgpr68_sgpr69
	s_cbranch_vccnz .LBB19_389
; %bb.388:                              ;   in Loop: Header=BB19_387 Depth=3
	s_trap 2
	ds_read_b64 v[6:7], v0
	s_andn2_b64 s[66:67], s[66:67], exec
	s_mov_b32 s78, 0
	s_mov_b64 s[68:69], -1
	s_waitcnt vmcnt(0) lgkmcnt(0)
	flat_load_dword v1, v[6:7] sc0 sc1
	s_waitcnt vmcnt(0) lgkmcnt(0)
	buffer_inv sc0 sc1
	v_cmp_eq_u32_e32 vcc, 0, v1
	s_and_b64 vcc, vcc, exec
	s_or_b64 s[66:67], s[66:67], vcc
.LBB19_389:                             ;   in Loop: Header=BB19_387 Depth=3
	s_andn2_b64 s[64:65], s[64:65], exec
	s_and_b64 s[68:69], s[68:69], exec
	s_mov_b64 vcc, -1
	s_or_b64 s[64:65], s[64:65], s[68:69]
	s_and_saveexec_b64 s[68:69], s[66:67]
	s_cbranch_execz .LBB19_386
; %bb.390:                              ;   in Loop: Header=BB19_387 Depth=3
	s_sleep 1
	s_trap 2
	ds_read_b64 v[6:7], v0
	s_andn2_b64 s[64:65], s[64:65], exec
	s_waitcnt lgkmcnt(0)
	v_cmp_ge_u64_e32 vcc, v[6:7], v[14:15]
	s_orn2_b64 vcc, vcc, exec
	s_branch .LBB19_386
.LBB19_391:                             ;   in Loop: Header=BB19_263 Depth=2
	s_or_b64 exec, exec, s[60:61]
	s_and_saveexec_b64 vcc, s[62:63]
	s_xor_b64 vcc, exec, vcc
	s_cbranch_execz .LBB19_393
; %bb.392:                              ;   in Loop: Header=BB19_263 Depth=2
	ds_write_b32 v0, v46
	s_trap 2
.LBB19_393:                             ;   in Loop: Header=BB19_263 Depth=2
	s_or_b64 exec, exec, s[58:59]
	;;#ASMSTART
	s_wakeup
	;;#ASMEND
.LBB19_394:                             ;   in Loop: Header=BB19_263 Depth=2
	s_or_b64 exec, exec, s[56:57]
.LBB19_395:                             ;   in Loop: Header=BB19_263 Depth=2
	s_andn2_saveexec_b64 vcc, s[54:55]
	s_cbranch_execz .LBB19_397
; %bb.396:                              ;   in Loop: Header=BB19_263 Depth=2
	;;#ASMSTART
	s_waitcnt lgkmcnt(0) vmcnt(0)
	;;#ASMEND
	s_barrier
.LBB19_397:                             ;   in Loop: Header=BB19_263 Depth=2
	s_or_b64 exec, exec, vcc
	s_or_b64 exec, exec, s[24:25]
	v_cmp_ne_u32_e32 vcc, 0, v0
	s_and_saveexec_b64 s[24:25], vcc
	s_cbranch_execz .LBB19_262
.LBB19_398:                             ;   in Loop: Header=BB19_263 Depth=2
	s_and_saveexec_b64 vcc, s[10:11]
	s_cbranch_execz .LBB19_261
; %bb.399:                              ;   in Loop: Header=BB19_263 Depth=2
	flat_store_dword v[58:59], v46 sc0 sc1
	s_branch .LBB19_261
.LBB19_400:                             ;   in Loop: Header=BB19_81 Depth=1
	s_or_b64 exec, exec, s[54:55]
.LBB19_401:                             ;   in Loop: Header=BB19_81 Depth=1
	s_or_b64 exec, exec, s[52:53]
	v_cmp_gt_i32_e32 vcc, 2, v0
	s_and_saveexec_b64 s[26:27], vcc
	s_cbranch_execz .LBB19_545
; %bb.402:                              ;   in Loop: Header=BB19_81 Depth=1
	v_cmp_eq_u32_e64 s[24:25], 0, v0
	s_mov_b64 s[28:29], 0
	s_branch .LBB19_405
.LBB19_403:                             ;   in Loop: Header=BB19_405 Depth=2
	s_or_b64 exec, exec, vcc
	v_lshl_add_u64 v[50:51], v[50:51], 0, 2
	flat_store_dwordx2 v[26:27], v[50:51] sc0 sc1
.LBB19_404:                             ;   in Loop: Header=BB19_405 Depth=2
	s_or_b64 exec, exec, s[24:25]
	v_add_u32_e32 v18, v22, v18
	s_mov_b64 s[24:25], 0
	s_andn2_b64 exec, exec, s[28:29]
	s_cbranch_execz .LBB19_544
.LBB19_405:                             ;   Parent Loop BB19_81 Depth=1
                                        ; =>  This Loop Header: Depth=2
                                        ;       Child Loop BB19_411 Depth 3
                                        ;       Child Loop BB19_435 Depth 3
	;; [unrolled: 1-line block ×3, first 2 shown]
	v_and_b32_e32 v0, 8, v62
	s_mov_b64 s[54:55], -1
	v_cmp_ne_u32_e32 vcc, 0, v0
	v_lshl_add_u64 v[2:3], v[50:51], 0, 2
	s_and_saveexec_b64 s[52:53], vcc
	s_cbranch_execz .LBB19_417
; %bb.406:                              ;   in Loop: Header=BB19_405 Depth=2
	v_lshl_add_u64 v[0:1], v[36:37], 0, 8
	v_lshl_add_u64 v[4:5], v[50:51], 0, 2
	v_cmp_lt_u64_e32 vcc, v[0:1], v[4:5]
	v_mov_b32_e32 v0, 1
	s_and_saveexec_b64 s[54:55], vcc
	s_cbranch_execz .LBB19_416
; %bb.407:                              ;   in Loop: Header=BB19_405 Depth=2
	s_mov_b64 s[56:57], 0
	v_mov_b32_e32 v0, 0
                                        ; implicit-def: $sgpr58_sgpr59
	s_branch .LBB19_411
.LBB19_408:                             ;   in Loop: Header=BB19_411 Depth=3
	s_or_b64 exec, exec, s[66:67]
	v_mov_b32_e32 v1, 0
	s_orn2_b64 s[64:65], s[64:65], exec
.LBB19_409:                             ;   in Loop: Header=BB19_411 Depth=3
	s_or_b64 exec, exec, s[62:63]
	s_andn2_b64 vcc, s[58:59], exec
	s_and_b64 s[58:59], s[64:65], exec
	s_or_b64 s[58:59], vcc, s[58:59]
	v_mov_b32_e32 v0, v1
.LBB19_410:                             ;   in Loop: Header=BB19_411 Depth=3
	s_or_b64 exec, exec, s[60:61]
	s_waitcnt vmcnt(0) lgkmcnt(0)
	v_lshl_add_u64 v[6:7], v[36:37], 0, 8
	v_cmp_ge_u64_e32 vcc, v[6:7], v[4:5]
	s_xor_b64 s[60:61], s[58:59], -1
	s_or_b64 vcc, s[60:61], vcc
	s_and_b64 vcc, exec, vcc
	s_or_b64 s[56:57], vcc, s[56:57]
	s_andn2_b64 exec, exec, s[56:57]
	s_cbranch_execz .LBB19_415
.LBB19_411:                             ;   Parent Loop BB19_81 Depth=1
                                        ;     Parent Loop BB19_405 Depth=2
                                        ; =>    This Inner Loop Header: Depth=3
	s_sleep 1
	flat_load_dwordx2 v[36:37], v[26:27] sc0 sc1
	v_and_b32_e32 v1, 64, v62
	v_cmp_eq_u32_e32 vcc, 0, v1
	s_andn2_b64 s[58:59], s[58:59], exec
	s_and_saveexec_b64 s[60:61], vcc
	s_cbranch_execz .LBB19_410
; %bb.412:                              ;   in Loop: Header=BB19_411 Depth=3
	v_add_u32_e32 v1, 1, v0
	v_cmp_lt_i32_e32 vcc, s73, v0
	s_mov_b64 s[64:65], -1
	s_and_saveexec_b64 s[62:63], vcc
	s_cbranch_execz .LBB19_409
; %bb.413:                              ;   in Loop: Header=BB19_411 Depth=3
	s_trap 2
	ds_read_b64 v[0:1], v0
	s_waitcnt vmcnt(0) lgkmcnt(0)
	flat_load_dword v0, v[0:1] sc0 sc1
	s_waitcnt vmcnt(0) lgkmcnt(0)
	buffer_inv sc0 sc1
	v_cmp_ne_u32_e32 vcc, 0, v0
	s_and_saveexec_b64 s[66:67], vcc
	s_cbranch_execz .LBB19_408
; %bb.414:                              ;   in Loop: Header=BB19_411 Depth=3
	v_or_b32_e32 v62, 64, v62
	s_xor_b64 s[64:65], exec, -1
	ds_write_b32 v0, v0
	s_trap 2
	s_branch .LBB19_408
.LBB19_415:                             ;   in Loop: Header=BB19_405 Depth=2
	s_or_b64 exec, exec, s[56:57]
	v_and_b32_e32 v0, 8, v62
.LBB19_416:                             ;   in Loop: Header=BB19_405 Depth=2
	s_or_b64 exec, exec, s[54:55]
	v_cmp_eq_u32_e32 vcc, 0, v0
	s_orn2_b64 s[54:55], vcc, exec
	;;#ASMSTART
	s_wakeup
	;;#ASMEND
.LBB19_417:                             ;   in Loop: Header=BB19_405 Depth=2
	s_or_b64 exec, exec, s[52:53]
	s_xor_b64 s[24:25], s[24:25], -1
	s_and_b64 s[24:25], exec, s[24:25]
	s_or_b64 s[28:29], s[24:25], s[28:29]
	v_sub_u32_e32 v0, v44, v18
	s_xor_b64 s[24:25], s[54:55], -1
	v_min_i32_e32 v22, v22, v0
	s_and_saveexec_b64 s[52:53], s[24:25]
	s_cbranch_execz .LBB19_427
; %bb.418:                              ;   in Loop: Header=BB19_405 Depth=2
	v_and_b32_e32 v0, 0x100, v62
	v_cmp_ne_u32_e32 vcc, 0, v0
	v_and_b32_e32 v0, 7, v50
	s_mov_b64 s[24:25], -1
                                        ; implicit-def: $vgpr4_vgpr5
	s_and_saveexec_b64 s[54:55], vcc
	s_cbranch_execz .LBB19_422
; %bb.419:                              ;   in Loop: Header=BB19_405 Depth=2
	v_mad_u64_u32 v[6:7], s[24:25], v0, 24, v[32:33]
	flat_load_dword v1, v[6:7]
	v_ashrrev_i32_e32 v23, 31, v22
	flat_store_dwordx2 v[6:7], v[22:23] offset:8
                                        ; implicit-def: $vgpr4_vgpr5
	s_waitcnt vmcnt(0) lgkmcnt(0)
	v_cmp_ne_u32_e32 vcc, 1, v1
	v_cmp_eq_u32_e64 s[24:25], 1, v1
	s_and_saveexec_b64 s[56:57], s[24:25]
	s_cbranch_execz .LBB19_421
; %bb.420:                              ;   in Loop: Header=BB19_405 Depth=2
	flat_load_dword v4, v[6:7] offset:4 sc0 sc1
	s_waitcnt vmcnt(0) lgkmcnt(0)
	v_ashrrev_i32_e32 v5, 31, v4
.LBB19_421:                             ;   in Loop: Header=BB19_405 Depth=2
	s_or_b64 exec, exec, s[56:57]
	s_orn2_b64 s[24:25], vcc, exec
.LBB19_422:                             ;   in Loop: Header=BB19_405 Depth=2
	s_or_b64 exec, exec, s[54:55]
	s_and_saveexec_b64 vcc, s[24:25]
; %bb.423:                              ;   in Loop: Header=BB19_405 Depth=2
	v_mad_i64_i32 v[4:5], s[24:25], v0, v40, 0
; %bb.424:                              ;   in Loop: Header=BB19_405 Depth=2
	s_or_b64 exec, exec, vcc
	v_lshl_add_u64 v[0:1], v[42:43], 0, v[4:5]
	ds_write_b64 v0, v[0:1] offset:792
	v_and_b32_e32 v0, 0x2000, v62
	v_cmp_ne_u32_e32 vcc, 0, v0
	s_and_saveexec_b64 s[24:25], vcc
	s_cbranch_execz .LBB19_426
; %bb.425:                              ;   in Loop: Header=BB19_405 Depth=2
	ds_read_b64 v[0:1], v0 offset:584
	s_waitcnt lgkmcnt(0)
	v_lshl_add_u64 v[0:1], v[0:1], 0, 1
	ds_write_b64 v0, v[0:1] offset:584
.LBB19_426:                             ;   in Loop: Header=BB19_405 Depth=2
	s_or_b64 exec, exec, s[24:25]
	v_mov_b64_e32 v[50:51], v[2:3]
.LBB19_427:                             ;   in Loop: Header=BB19_405 Depth=2
	s_or_b64 exec, exec, s[52:53]
	s_and_saveexec_b64 s[24:25], s[4:5]
	s_cbranch_execz .LBB19_446
; %bb.428:                              ;   in Loop: Header=BB19_405 Depth=2
	s_and_saveexec_b64 vcc, s[40:41]
	s_xor_b64 s[52:53], exec, vcc
	s_cbranch_execz .LBB19_443
; %bb.429:                              ;   in Loop: Header=BB19_405 Depth=2
	s_and_saveexec_b64 s[54:55], s[12:13]
	s_cbranch_execz .LBB19_442
; %bb.430:                              ;   in Loop: Header=BB19_405 Depth=2
	s_mov_b64 s[58:59], exec
	v_mbcnt_lo_u32_b32 v0, s58, 0
	v_mbcnt_hi_u32_b32 v0, s59, v0
	v_cmp_eq_u32_e32 vcc, 0, v0
	s_waitcnt lgkmcnt(0)
	s_and_saveexec_b64 s[56:57], vcc
	s_cbranch_execz .LBB19_432
; %bb.431:                              ;   in Loop: Header=BB19_405 Depth=2
	s_bcnt1_i32_b64 vcc_lo, s[58:59]
	v_mov_b32_e32 v38, vcc_lo
	ds_add_u64 v0, v[38:39]
	s_trap 2
.LBB19_432:                             ;   in Loop: Header=BB19_405 Depth=2
	s_or_b64 exec, exec, s[56:57]
	s_trap 2
	ds_read_b64 v[0:1], v0
	v_lshl_add_u64 v[14:15], v[14:15], 0, v[48:49]
	s_waitcnt lgkmcnt(0)
	v_cmp_lt_u64_e32 vcc, v[0:1], v[14:15]
	s_and_saveexec_b64 s[56:57], vcc
	s_cbranch_execz .LBB19_441
; %bb.433:                              ;   in Loop: Header=BB19_405 Depth=2
	s_mov_b32 s68, 0
	s_mov_b64 s[58:59], 0
                                        ; implicit-def: $sgpr60_sgpr61
                                        ; implicit-def: $sgpr62_sgpr63
	s_branch .LBB19_435
.LBB19_434:                             ;   in Loop: Header=BB19_435 Depth=3
	s_or_b64 exec, exec, s[66:67]
	s_and_b64 vcc, exec, vcc
	s_or_b64 s[58:59], vcc, s[58:59]
	s_andn2_b64 vcc, s[60:61], exec
	s_and_b64 s[60:61], s[62:63], exec
	s_or_b64 s[60:61], vcc, s[60:61]
	s_andn2_b64 exec, exec, s[58:59]
	s_cbranch_execz .LBB19_439
.LBB19_435:                             ;   Parent Loop BB19_81 Depth=1
                                        ;     Parent Loop BB19_405 Depth=2
                                        ; =>    This Inner Loop Header: Depth=3
	s_add_i32 s68, s68, 1
	s_cmpk_lg_i32 s68, 0x2710
	s_cselect_b64 s[64:65], -1, 0
	s_and_b64 vcc, exec, s[64:65]
                                        ; implicit-def: $sgpr66_sgpr67
	s_cbranch_vccnz .LBB19_437
; %bb.436:                              ;   in Loop: Header=BB19_435 Depth=3
	s_trap 2
	ds_read_b64 v[0:1], v0
	s_andn2_b64 s[64:65], s[64:65], exec
	s_mov_b32 s68, 0
	s_mov_b64 s[66:67], -1
	s_waitcnt vmcnt(0) lgkmcnt(0)
	flat_load_dword v0, v[0:1] sc0 sc1
	s_waitcnt vmcnt(0) lgkmcnt(0)
	buffer_inv sc0 sc1
	v_cmp_eq_u32_e32 vcc, 0, v0
	s_and_b64 vcc, vcc, exec
	s_or_b64 s[64:65], s[64:65], vcc
.LBB19_437:                             ;   in Loop: Header=BB19_435 Depth=3
	s_andn2_b64 s[62:63], s[62:63], exec
	s_and_b64 s[66:67], s[66:67], exec
	s_mov_b64 vcc, -1
	s_or_b64 s[62:63], s[62:63], s[66:67]
	s_and_saveexec_b64 s[66:67], s[64:65]
	s_cbranch_execz .LBB19_434
; %bb.438:                              ;   in Loop: Header=BB19_435 Depth=3
	s_sleep 1
	s_trap 2
	ds_read_b64 v[0:1], v0
	s_andn2_b64 s[62:63], s[62:63], exec
	s_waitcnt lgkmcnt(0)
	v_cmp_ge_u64_e32 vcc, v[0:1], v[14:15]
	s_orn2_b64 vcc, vcc, exec
	s_branch .LBB19_434
.LBB19_439:                             ;   in Loop: Header=BB19_405 Depth=2
	s_or_b64 exec, exec, s[58:59]
	s_and_saveexec_b64 vcc, s[60:61]
	s_xor_b64 vcc, exec, vcc
	s_cbranch_execz .LBB19_441
; %bb.440:                              ;   in Loop: Header=BB19_405 Depth=2
	ds_write_b32 v0, v46
	s_trap 2
.LBB19_441:                             ;   in Loop: Header=BB19_405 Depth=2
	s_or_b64 exec, exec, s[56:57]
	;;#ASMSTART
	s_wakeup
	;;#ASMEND
.LBB19_442:                             ;   in Loop: Header=BB19_405 Depth=2
	s_or_b64 exec, exec, s[54:55]
.LBB19_443:                             ;   in Loop: Header=BB19_405 Depth=2
	s_andn2_saveexec_b64 vcc, s[52:53]
	s_cbranch_execz .LBB19_445
; %bb.444:                              ;   in Loop: Header=BB19_405 Depth=2
	s_waitcnt lgkmcnt(0)
	s_barrier
.LBB19_445:                             ;   in Loop: Header=BB19_405 Depth=2
	s_or_b64 exec, exec, vcc
.LBB19_446:                             ;   in Loop: Header=BB19_405 Depth=2
	s_or_b64 exec, exec, s[24:25]
	v_and_b32_e32 v0, 16, v62
	s_and_saveexec_b64 s[24:25], s[20:21]
	s_xor_b64 s[24:25], exec, s[24:25]
	s_cbranch_execz .LBB19_451
; %bb.447:                              ;   in Loop: Header=BB19_405 Depth=2
	s_trap 2
	ds_read_b32 v1, v0
	v_cmp_lt_i32_e32 vcc, 0, v22
	v_and_b32_e32 v2, 16, v62
	v_and_b32_e32 v0, 16, v62
	s_waitcnt lgkmcnt(0)
	v_readfirstlane_b32 s52, v1
	s_cmp_eq_u32 s52, 0
	s_cselect_b64 s[52:53], -1, 0
	s_and_b64 s[52:53], vcc, s[52:53]
	v_cmp_ne_u32_e32 vcc, 0, v2
	s_and_b64 s[52:53], vcc, s[52:53]
	s_and_saveexec_b64 vcc, s[52:53]
	s_cbranch_execz .LBB19_449
; %bb.448:                              ;   in Loop: Header=BB19_405 Depth=2
	v_mov_b32_e32 v0, 1
	buffer_wbl2 sc1
	s_waitcnt vmcnt(0)
	buffer_inv sc1
.LBB19_449:                             ;   in Loop: Header=BB19_405 Depth=2
	s_or_b64 exec, exec, vcc
	s_andn2_saveexec_b64 s[24:25], s[24:25]
	s_cbranch_execnz .LBB19_452
.LBB19_450:                             ;   in Loop: Header=BB19_405 Depth=2
	s_or_b64 exec, exec, s[24:25]
	v_cmp_ne_u32_e32 vcc, 0, v0
	s_and_saveexec_b64 s[24:25], vcc
	s_cbranch_execz .LBB19_404
	s_branch .LBB19_470
.LBB19_451:                             ;   in Loop: Header=BB19_405 Depth=2
	s_andn2_saveexec_b64 s[24:25], s[24:25]
	s_cbranch_execz .LBB19_450
.LBB19_452:                             ;   in Loop: Header=BB19_405 Depth=2
	s_and_saveexec_b64 vcc, s[40:41]
	s_xor_b64 s[52:53], exec, vcc
	s_cbranch_execz .LBB19_467
; %bb.453:                              ;   in Loop: Header=BB19_405 Depth=2
	s_and_saveexec_b64 s[54:55], s[12:13]
	s_cbranch_execz .LBB19_466
; %bb.454:                              ;   in Loop: Header=BB19_405 Depth=2
	s_mov_b64 s[58:59], exec
	v_mbcnt_lo_u32_b32 v1, s58, 0
	v_mbcnt_hi_u32_b32 v1, s59, v1
	v_cmp_eq_u32_e32 vcc, 0, v1
	;;#ASMSTART
	s_waitcnt lgkmcnt(0) vmcnt(0)
	;;#ASMEND
	s_and_saveexec_b64 s[56:57], vcc
	s_cbranch_execz .LBB19_456
; %bb.455:                              ;   in Loop: Header=BB19_405 Depth=2
	s_bcnt1_i32_b64 vcc_lo, s[58:59]
	v_mov_b32_e32 v38, vcc_lo
	ds_add_u64 v0, v[38:39]
	s_trap 2
.LBB19_456:                             ;   in Loop: Header=BB19_405 Depth=2
	s_or_b64 exec, exec, s[56:57]
	s_trap 2
	ds_read_b64 v[2:3], v0
	v_lshl_add_u64 v[14:15], v[14:15], 0, v[48:49]
	s_waitcnt lgkmcnt(0)
	v_cmp_lt_u64_e32 vcc, v[2:3], v[14:15]
	s_and_saveexec_b64 s[56:57], vcc
	s_cbranch_execz .LBB19_465
; %bb.457:                              ;   in Loop: Header=BB19_405 Depth=2
	s_mov_b32 s68, 0
	s_mov_b64 s[58:59], 0
                                        ; implicit-def: $sgpr60_sgpr61
                                        ; implicit-def: $sgpr62_sgpr63
	s_branch .LBB19_459
.LBB19_458:                             ;   in Loop: Header=BB19_459 Depth=3
	s_or_b64 exec, exec, s[66:67]
	s_and_b64 vcc, exec, vcc
	s_or_b64 s[58:59], vcc, s[58:59]
	s_andn2_b64 vcc, s[60:61], exec
	s_and_b64 s[60:61], s[62:63], exec
	s_or_b64 s[60:61], vcc, s[60:61]
	s_andn2_b64 exec, exec, s[58:59]
	s_cbranch_execz .LBB19_463
.LBB19_459:                             ;   Parent Loop BB19_81 Depth=1
                                        ;     Parent Loop BB19_405 Depth=2
                                        ; =>    This Inner Loop Header: Depth=3
	s_add_i32 s68, s68, 1
	s_cmpk_lg_i32 s68, 0x2710
	s_cselect_b64 s[64:65], -1, 0
	s_and_b64 vcc, exec, s[64:65]
                                        ; implicit-def: $sgpr66_sgpr67
	s_cbranch_vccnz .LBB19_461
; %bb.460:                              ;   in Loop: Header=BB19_459 Depth=3
	s_trap 2
	ds_read_b64 v[2:3], v0
	s_andn2_b64 s[64:65], s[64:65], exec
	s_mov_b32 s68, 0
	s_mov_b64 s[66:67], -1
	s_waitcnt vmcnt(0) lgkmcnt(0)
	flat_load_dword v1, v[2:3] sc0 sc1
	s_waitcnt vmcnt(0) lgkmcnt(0)
	buffer_inv sc0 sc1
	v_cmp_eq_u32_e32 vcc, 0, v1
	s_and_b64 vcc, vcc, exec
	s_or_b64 s[64:65], s[64:65], vcc
.LBB19_461:                             ;   in Loop: Header=BB19_459 Depth=3
	s_andn2_b64 s[62:63], s[62:63], exec
	s_and_b64 s[66:67], s[66:67], exec
	s_mov_b64 vcc, -1
	s_or_b64 s[62:63], s[62:63], s[66:67]
	s_and_saveexec_b64 s[66:67], s[64:65]
	s_cbranch_execz .LBB19_458
; %bb.462:                              ;   in Loop: Header=BB19_459 Depth=3
	s_sleep 1
	s_trap 2
	ds_read_b64 v[2:3], v0
	s_andn2_b64 s[62:63], s[62:63], exec
	s_waitcnt lgkmcnt(0)
	v_cmp_ge_u64_e32 vcc, v[2:3], v[14:15]
	s_orn2_b64 vcc, vcc, exec
	s_branch .LBB19_458
.LBB19_463:                             ;   in Loop: Header=BB19_405 Depth=2
	s_or_b64 exec, exec, s[58:59]
	s_and_saveexec_b64 vcc, s[60:61]
	s_xor_b64 vcc, exec, vcc
	s_cbranch_execz .LBB19_465
; %bb.464:                              ;   in Loop: Header=BB19_405 Depth=2
	ds_write_b32 v0, v46
	s_trap 2
.LBB19_465:                             ;   in Loop: Header=BB19_405 Depth=2
	s_or_b64 exec, exec, s[56:57]
	;;#ASMSTART
	s_wakeup
	;;#ASMEND
.LBB19_466:                             ;   in Loop: Header=BB19_405 Depth=2
	s_or_b64 exec, exec, s[54:55]
.LBB19_467:                             ;   in Loop: Header=BB19_405 Depth=2
	s_andn2_saveexec_b64 vcc, s[52:53]
	s_cbranch_execz .LBB19_469
; %bb.468:                              ;   in Loop: Header=BB19_405 Depth=2
	;;#ASMSTART
	s_waitcnt lgkmcnt(0) vmcnt(0)
	;;#ASMEND
	s_barrier
.LBB19_469:                             ;   in Loop: Header=BB19_405 Depth=2
	s_or_b64 exec, exec, vcc
	s_or_b64 exec, exec, s[24:25]
	v_cmp_ne_u32_e32 vcc, 0, v0
	s_and_saveexec_b64 s[24:25], vcc
	s_cbranch_execz .LBB19_404
.LBB19_470:                             ;   in Loop: Header=BB19_405 Depth=2
	s_and_saveexec_b64 vcc, s[10:11]
	s_cbranch_execz .LBB19_403
; %bb.471:                              ;   in Loop: Header=BB19_405 Depth=2
	flat_store_dword v[58:59], v46 sc0 sc1
	s_branch .LBB19_403
.LBB19_472:                             ;   in Loop: Header=BB19_81 Depth=1
	s_or_b64 exec, exec, s[50:51]
.LBB19_473:                             ;   in Loop: Header=BB19_81 Depth=1
	s_or_b64 exec, exec, s[28:29]
	v_cmp_gt_i32_e32 vcc, 2, v0
	s_and_saveexec_b64 s[28:29], vcc
	s_cbranch_execz .LBB19_806
; %bb.474:                              ;   in Loop: Header=BB19_81 Depth=1
	v_cmp_eq_u32_e64 s[24:25], 0, v0
	s_mov_b64 s[50:51], 0
	s_branch .LBB19_477
.LBB19_475:                             ;   in Loop: Header=BB19_477 Depth=2
	s_or_b64 exec, exec, vcc
	v_lshl_add_u64 v[50:51], v[50:51], 0, 2
	flat_store_dwordx2 v[26:27], v[50:51] sc0 sc1
.LBB19_476:                             ;   in Loop: Header=BB19_477 Depth=2
	s_or_b64 exec, exec, s[24:25]
	v_add_u32_e32 v2, v22, v2
	s_mov_b64 s[24:25], 0
	s_andn2_b64 exec, exec, s[50:51]
	s_cbranch_execz .LBB19_805
.LBB19_477:                             ;   Parent Loop BB19_81 Depth=1
                                        ; =>  This Loop Header: Depth=2
                                        ;       Child Loop BB19_483 Depth 3
                                        ;       Child Loop BB19_507 Depth 3
	;; [unrolled: 1-line block ×3, first 2 shown]
	v_and_b32_e32 v0, 8, v62
	s_mov_b64 s[54:55], -1
	v_cmp_ne_u32_e32 vcc, 0, v0
	v_lshl_add_u64 v[8:9], v[50:51], 0, 2
	s_and_saveexec_b64 s[52:53], vcc
	s_cbranch_execz .LBB19_489
; %bb.478:                              ;   in Loop: Header=BB19_477 Depth=2
	v_lshl_add_u64 v[0:1], v[36:37], 0, 8
	v_lshl_add_u64 v[6:7], v[50:51], 0, 2
	v_cmp_lt_u64_e32 vcc, v[0:1], v[6:7]
	v_mov_b32_e32 v0, 1
	s_and_saveexec_b64 s[54:55], vcc
	s_cbranch_execz .LBB19_488
; %bb.479:                              ;   in Loop: Header=BB19_477 Depth=2
	s_mov_b64 s[56:57], 0
	v_mov_b32_e32 v0, 0
                                        ; implicit-def: $sgpr58_sgpr59
	s_branch .LBB19_483
.LBB19_480:                             ;   in Loop: Header=BB19_483 Depth=3
	s_or_b64 exec, exec, s[66:67]
	v_mov_b32_e32 v1, 0
	s_orn2_b64 s[64:65], s[64:65], exec
.LBB19_481:                             ;   in Loop: Header=BB19_483 Depth=3
	s_or_b64 exec, exec, s[62:63]
	s_andn2_b64 vcc, s[58:59], exec
	s_and_b64 s[58:59], s[64:65], exec
	s_or_b64 s[58:59], vcc, s[58:59]
	v_mov_b32_e32 v0, v1
.LBB19_482:                             ;   in Loop: Header=BB19_483 Depth=3
	s_or_b64 exec, exec, s[60:61]
	s_waitcnt vmcnt(0) lgkmcnt(0)
	v_lshl_add_u64 v[10:11], v[36:37], 0, 8
	v_cmp_ge_u64_e32 vcc, v[10:11], v[6:7]
	s_xor_b64 s[60:61], s[58:59], -1
	s_or_b64 vcc, s[60:61], vcc
	s_and_b64 vcc, exec, vcc
	s_or_b64 s[56:57], vcc, s[56:57]
	s_andn2_b64 exec, exec, s[56:57]
	s_cbranch_execz .LBB19_487
.LBB19_483:                             ;   Parent Loop BB19_81 Depth=1
                                        ;     Parent Loop BB19_477 Depth=2
                                        ; =>    This Inner Loop Header: Depth=3
	s_sleep 1
	flat_load_dwordx2 v[36:37], v[26:27] sc0 sc1
	v_and_b32_e32 v1, 64, v62
	v_cmp_eq_u32_e32 vcc, 0, v1
	s_andn2_b64 s[58:59], s[58:59], exec
	s_and_saveexec_b64 s[60:61], vcc
	s_cbranch_execz .LBB19_482
; %bb.484:                              ;   in Loop: Header=BB19_483 Depth=3
	v_add_u32_e32 v1, 1, v0
	v_cmp_lt_i32_e32 vcc, s73, v0
	s_mov_b64 s[64:65], -1
	s_and_saveexec_b64 s[62:63], vcc
	s_cbranch_execz .LBB19_481
; %bb.485:                              ;   in Loop: Header=BB19_483 Depth=3
	s_trap 2
	ds_read_b64 v[0:1], v0
	s_waitcnt vmcnt(0) lgkmcnt(0)
	flat_load_dword v0, v[0:1] sc0 sc1
	s_waitcnt vmcnt(0) lgkmcnt(0)
	buffer_inv sc0 sc1
	v_cmp_ne_u32_e32 vcc, 0, v0
	s_and_saveexec_b64 s[66:67], vcc
	s_cbranch_execz .LBB19_480
; %bb.486:                              ;   in Loop: Header=BB19_483 Depth=3
	v_or_b32_e32 v62, 64, v62
	s_xor_b64 s[64:65], exec, -1
	ds_write_b32 v0, v0
	s_trap 2
	s_branch .LBB19_480
.LBB19_487:                             ;   in Loop: Header=BB19_477 Depth=2
	s_or_b64 exec, exec, s[56:57]
	v_and_b32_e32 v0, 8, v62
.LBB19_488:                             ;   in Loop: Header=BB19_477 Depth=2
	s_or_b64 exec, exec, s[54:55]
	v_cmp_eq_u32_e32 vcc, 0, v0
	s_orn2_b64 s[54:55], vcc, exec
	;;#ASMSTART
	s_wakeup
	;;#ASMEND
.LBB19_489:                             ;   in Loop: Header=BB19_477 Depth=2
	s_or_b64 exec, exec, s[52:53]
	s_xor_b64 s[24:25], s[24:25], -1
	s_and_b64 s[24:25], exec, s[24:25]
	s_or_b64 s[50:51], s[24:25], s[50:51]
	v_sub_u32_e32 v0, v44, v2
	s_xor_b64 s[24:25], s[54:55], -1
	v_min_i32_e32 v22, v22, v0
	s_and_saveexec_b64 s[52:53], s[24:25]
	s_cbranch_execz .LBB19_499
; %bb.490:                              ;   in Loop: Header=BB19_477 Depth=2
	v_and_b32_e32 v0, 0x100, v62
	v_cmp_ne_u32_e32 vcc, 0, v0
	v_and_b32_e32 v0, 7, v50
	s_mov_b64 s[24:25], -1
                                        ; implicit-def: $vgpr6_vgpr7
	s_and_saveexec_b64 s[54:55], vcc
	s_cbranch_execz .LBB19_494
; %bb.491:                              ;   in Loop: Header=BB19_477 Depth=2
	v_mad_u64_u32 v[10:11], s[24:25], v0, 24, v[32:33]
	flat_load_dword v1, v[10:11]
	v_ashrrev_i32_e32 v23, 31, v22
	flat_store_dwordx2 v[10:11], v[22:23] offset:8
                                        ; implicit-def: $vgpr6_vgpr7
	s_waitcnt vmcnt(0) lgkmcnt(0)
	v_cmp_ne_u32_e32 vcc, 1, v1
	v_cmp_eq_u32_e64 s[24:25], 1, v1
	s_and_saveexec_b64 s[56:57], s[24:25]
	s_cbranch_execz .LBB19_493
; %bb.492:                              ;   in Loop: Header=BB19_477 Depth=2
	flat_load_dword v6, v[10:11] offset:4 sc0 sc1
	s_waitcnt vmcnt(0) lgkmcnt(0)
	v_ashrrev_i32_e32 v7, 31, v6
.LBB19_493:                             ;   in Loop: Header=BB19_477 Depth=2
	s_or_b64 exec, exec, s[56:57]
	s_orn2_b64 s[24:25], vcc, exec
.LBB19_494:                             ;   in Loop: Header=BB19_477 Depth=2
	s_or_b64 exec, exec, s[54:55]
	s_and_saveexec_b64 vcc, s[24:25]
; %bb.495:                              ;   in Loop: Header=BB19_477 Depth=2
	v_mad_i64_i32 v[6:7], s[24:25], v0, v40, 0
; %bb.496:                              ;   in Loop: Header=BB19_477 Depth=2
	s_or_b64 exec, exec, vcc
	v_lshl_add_u64 v[0:1], v[42:43], 0, v[6:7]
	ds_write_b64 v0, v[0:1] offset:784
	v_and_b32_e32 v0, 0x2000, v62
	v_cmp_ne_u32_e32 vcc, 0, v0
	s_and_saveexec_b64 s[24:25], vcc
	s_cbranch_execz .LBB19_498
; %bb.497:                              ;   in Loop: Header=BB19_477 Depth=2
	ds_read_b64 v[0:1], v0 offset:584
	s_waitcnt lgkmcnt(0)
	v_lshl_add_u64 v[0:1], v[0:1], 0, 1
	ds_write_b64 v0, v[0:1] offset:584
.LBB19_498:                             ;   in Loop: Header=BB19_477 Depth=2
	s_or_b64 exec, exec, s[24:25]
	v_mov_b64_e32 v[50:51], v[8:9]
.LBB19_499:                             ;   in Loop: Header=BB19_477 Depth=2
	s_or_b64 exec, exec, s[52:53]
	s_and_saveexec_b64 s[24:25], s[4:5]
	s_cbranch_execz .LBB19_518
; %bb.500:                              ;   in Loop: Header=BB19_477 Depth=2
	s_and_saveexec_b64 vcc, s[40:41]
	s_xor_b64 s[52:53], exec, vcc
	s_cbranch_execz .LBB19_515
; %bb.501:                              ;   in Loop: Header=BB19_477 Depth=2
	s_and_saveexec_b64 s[54:55], s[12:13]
	s_cbranch_execz .LBB19_514
; %bb.502:                              ;   in Loop: Header=BB19_477 Depth=2
	s_mov_b64 s[58:59], exec
	v_mbcnt_lo_u32_b32 v0, s58, 0
	v_mbcnt_hi_u32_b32 v0, s59, v0
	v_cmp_eq_u32_e32 vcc, 0, v0
	s_waitcnt lgkmcnt(0)
	s_and_saveexec_b64 s[56:57], vcc
	s_cbranch_execz .LBB19_504
; %bb.503:                              ;   in Loop: Header=BB19_477 Depth=2
	s_bcnt1_i32_b64 vcc_lo, s[58:59]
	v_mov_b32_e32 v38, vcc_lo
	ds_add_u64 v0, v[38:39]
	s_trap 2
.LBB19_504:                             ;   in Loop: Header=BB19_477 Depth=2
	s_or_b64 exec, exec, s[56:57]
	s_trap 2
	ds_read_b64 v[0:1], v0
	v_lshl_add_u64 v[14:15], v[14:15], 0, v[48:49]
	s_waitcnt lgkmcnt(0)
	v_cmp_lt_u64_e32 vcc, v[0:1], v[14:15]
	s_and_saveexec_b64 s[56:57], vcc
	s_cbranch_execz .LBB19_513
; %bb.505:                              ;   in Loop: Header=BB19_477 Depth=2
	s_mov_b32 s68, 0
	s_mov_b64 s[58:59], 0
                                        ; implicit-def: $sgpr60_sgpr61
                                        ; implicit-def: $sgpr62_sgpr63
	s_branch .LBB19_507
.LBB19_506:                             ;   in Loop: Header=BB19_507 Depth=3
	s_or_b64 exec, exec, s[66:67]
	s_and_b64 vcc, exec, vcc
	s_or_b64 s[58:59], vcc, s[58:59]
	s_andn2_b64 vcc, s[60:61], exec
	s_and_b64 s[60:61], s[62:63], exec
	s_or_b64 s[60:61], vcc, s[60:61]
	s_andn2_b64 exec, exec, s[58:59]
	s_cbranch_execz .LBB19_511
.LBB19_507:                             ;   Parent Loop BB19_81 Depth=1
                                        ;     Parent Loop BB19_477 Depth=2
                                        ; =>    This Inner Loop Header: Depth=3
	s_add_i32 s68, s68, 1
	s_cmpk_lg_i32 s68, 0x2710
	s_cselect_b64 s[64:65], -1, 0
	s_and_b64 vcc, exec, s[64:65]
                                        ; implicit-def: $sgpr66_sgpr67
	s_cbranch_vccnz .LBB19_509
; %bb.508:                              ;   in Loop: Header=BB19_507 Depth=3
	s_trap 2
	ds_read_b64 v[0:1], v0
	s_andn2_b64 s[64:65], s[64:65], exec
	s_mov_b32 s68, 0
	s_mov_b64 s[66:67], -1
	s_waitcnt vmcnt(0) lgkmcnt(0)
	flat_load_dword v0, v[0:1] sc0 sc1
	s_waitcnt vmcnt(0) lgkmcnt(0)
	buffer_inv sc0 sc1
	v_cmp_eq_u32_e32 vcc, 0, v0
	s_and_b64 vcc, vcc, exec
	s_or_b64 s[64:65], s[64:65], vcc
.LBB19_509:                             ;   in Loop: Header=BB19_507 Depth=3
	s_andn2_b64 s[62:63], s[62:63], exec
	s_and_b64 s[66:67], s[66:67], exec
	s_mov_b64 vcc, -1
	s_or_b64 s[62:63], s[62:63], s[66:67]
	s_and_saveexec_b64 s[66:67], s[64:65]
	s_cbranch_execz .LBB19_506
; %bb.510:                              ;   in Loop: Header=BB19_507 Depth=3
	s_sleep 1
	s_trap 2
	ds_read_b64 v[0:1], v0
	s_andn2_b64 s[62:63], s[62:63], exec
	s_waitcnt lgkmcnt(0)
	v_cmp_ge_u64_e32 vcc, v[0:1], v[14:15]
	s_orn2_b64 vcc, vcc, exec
	s_branch .LBB19_506
.LBB19_511:                             ;   in Loop: Header=BB19_477 Depth=2
	s_or_b64 exec, exec, s[58:59]
	s_and_saveexec_b64 vcc, s[60:61]
	s_xor_b64 vcc, exec, vcc
	s_cbranch_execz .LBB19_513
; %bb.512:                              ;   in Loop: Header=BB19_477 Depth=2
	ds_write_b32 v0, v46
	s_trap 2
.LBB19_513:                             ;   in Loop: Header=BB19_477 Depth=2
	s_or_b64 exec, exec, s[56:57]
	;;#ASMSTART
	s_wakeup
	;;#ASMEND
.LBB19_514:                             ;   in Loop: Header=BB19_477 Depth=2
	s_or_b64 exec, exec, s[54:55]
.LBB19_515:                             ;   in Loop: Header=BB19_477 Depth=2
	s_andn2_saveexec_b64 vcc, s[52:53]
	s_cbranch_execz .LBB19_517
; %bb.516:                              ;   in Loop: Header=BB19_477 Depth=2
	s_waitcnt lgkmcnt(0)
	s_barrier
.LBB19_517:                             ;   in Loop: Header=BB19_477 Depth=2
	s_or_b64 exec, exec, vcc
.LBB19_518:                             ;   in Loop: Header=BB19_477 Depth=2
	s_or_b64 exec, exec, s[24:25]
	v_and_b32_e32 v0, 16, v62
	s_and_saveexec_b64 s[24:25], s[20:21]
	s_xor_b64 s[24:25], exec, s[24:25]
	s_cbranch_execz .LBB19_523
; %bb.519:                              ;   in Loop: Header=BB19_477 Depth=2
	s_trap 2
	ds_read_b32 v1, v0
	v_cmp_lt_i32_e32 vcc, 0, v22
	v_and_b32_e32 v3, 16, v62
	v_and_b32_e32 v0, 16, v62
	s_waitcnt lgkmcnt(0)
	v_readfirstlane_b32 s52, v1
	s_cmp_eq_u32 s52, 0
	s_cselect_b64 s[52:53], -1, 0
	s_and_b64 s[52:53], vcc, s[52:53]
	v_cmp_ne_u32_e32 vcc, 0, v3
	s_and_b64 s[52:53], vcc, s[52:53]
	s_and_saveexec_b64 vcc, s[52:53]
	s_cbranch_execz .LBB19_521
; %bb.520:                              ;   in Loop: Header=BB19_477 Depth=2
	v_mov_b32_e32 v0, 1
	buffer_wbl2 sc1
	s_waitcnt vmcnt(0)
	buffer_inv sc1
.LBB19_521:                             ;   in Loop: Header=BB19_477 Depth=2
	s_or_b64 exec, exec, vcc
	s_andn2_saveexec_b64 s[24:25], s[24:25]
	s_cbranch_execnz .LBB19_524
.LBB19_522:                             ;   in Loop: Header=BB19_477 Depth=2
	s_or_b64 exec, exec, s[24:25]
	v_cmp_ne_u32_e32 vcc, 0, v0
	s_and_saveexec_b64 s[24:25], vcc
	s_cbranch_execz .LBB19_476
	s_branch .LBB19_542
.LBB19_523:                             ;   in Loop: Header=BB19_477 Depth=2
	s_andn2_saveexec_b64 s[24:25], s[24:25]
	s_cbranch_execz .LBB19_522
.LBB19_524:                             ;   in Loop: Header=BB19_477 Depth=2
	s_and_saveexec_b64 vcc, s[40:41]
	s_xor_b64 s[52:53], exec, vcc
	s_cbranch_execz .LBB19_539
; %bb.525:                              ;   in Loop: Header=BB19_477 Depth=2
	s_and_saveexec_b64 s[54:55], s[12:13]
	s_cbranch_execz .LBB19_538
; %bb.526:                              ;   in Loop: Header=BB19_477 Depth=2
	s_mov_b64 s[58:59], exec
	v_mbcnt_lo_u32_b32 v1, s58, 0
	v_mbcnt_hi_u32_b32 v1, s59, v1
	v_cmp_eq_u32_e32 vcc, 0, v1
	;;#ASMSTART
	s_waitcnt lgkmcnt(0) vmcnt(0)
	;;#ASMEND
	s_and_saveexec_b64 s[56:57], vcc
	s_cbranch_execz .LBB19_528
; %bb.527:                              ;   in Loop: Header=BB19_477 Depth=2
	s_bcnt1_i32_b64 vcc_lo, s[58:59]
	v_mov_b32_e32 v38, vcc_lo
	ds_add_u64 v0, v[38:39]
	s_trap 2
.LBB19_528:                             ;   in Loop: Header=BB19_477 Depth=2
	s_or_b64 exec, exec, s[56:57]
	s_trap 2
	ds_read_b64 v[6:7], v0
	v_lshl_add_u64 v[14:15], v[14:15], 0, v[48:49]
	s_waitcnt lgkmcnt(0)
	v_cmp_lt_u64_e32 vcc, v[6:7], v[14:15]
	s_and_saveexec_b64 s[56:57], vcc
	s_cbranch_execz .LBB19_537
; %bb.529:                              ;   in Loop: Header=BB19_477 Depth=2
	s_mov_b32 s68, 0
	s_mov_b64 s[58:59], 0
                                        ; implicit-def: $sgpr60_sgpr61
                                        ; implicit-def: $sgpr62_sgpr63
	s_branch .LBB19_531
.LBB19_530:                             ;   in Loop: Header=BB19_531 Depth=3
	s_or_b64 exec, exec, s[66:67]
	s_and_b64 vcc, exec, vcc
	s_or_b64 s[58:59], vcc, s[58:59]
	s_andn2_b64 vcc, s[60:61], exec
	s_and_b64 s[60:61], s[62:63], exec
	s_or_b64 s[60:61], vcc, s[60:61]
	s_andn2_b64 exec, exec, s[58:59]
	s_cbranch_execz .LBB19_535
.LBB19_531:                             ;   Parent Loop BB19_81 Depth=1
                                        ;     Parent Loop BB19_477 Depth=2
                                        ; =>    This Inner Loop Header: Depth=3
	s_add_i32 s68, s68, 1
	s_cmpk_lg_i32 s68, 0x2710
	s_cselect_b64 s[64:65], -1, 0
	s_and_b64 vcc, exec, s[64:65]
                                        ; implicit-def: $sgpr66_sgpr67
	s_cbranch_vccnz .LBB19_533
; %bb.532:                              ;   in Loop: Header=BB19_531 Depth=3
	s_trap 2
	ds_read_b64 v[6:7], v0
	s_andn2_b64 s[64:65], s[64:65], exec
	s_mov_b32 s68, 0
	s_mov_b64 s[66:67], -1
	s_waitcnt vmcnt(0) lgkmcnt(0)
	flat_load_dword v1, v[6:7] sc0 sc1
	s_waitcnt vmcnt(0) lgkmcnt(0)
	buffer_inv sc0 sc1
	v_cmp_eq_u32_e32 vcc, 0, v1
	s_and_b64 vcc, vcc, exec
	s_or_b64 s[64:65], s[64:65], vcc
.LBB19_533:                             ;   in Loop: Header=BB19_531 Depth=3
	s_andn2_b64 s[62:63], s[62:63], exec
	s_and_b64 s[66:67], s[66:67], exec
	s_mov_b64 vcc, -1
	s_or_b64 s[62:63], s[62:63], s[66:67]
	s_and_saveexec_b64 s[66:67], s[64:65]
	s_cbranch_execz .LBB19_530
; %bb.534:                              ;   in Loop: Header=BB19_531 Depth=3
	s_sleep 1
	s_trap 2
	ds_read_b64 v[6:7], v0
	s_andn2_b64 s[62:63], s[62:63], exec
	s_waitcnt lgkmcnt(0)
	v_cmp_ge_u64_e32 vcc, v[6:7], v[14:15]
	s_orn2_b64 vcc, vcc, exec
	s_branch .LBB19_530
.LBB19_535:                             ;   in Loop: Header=BB19_477 Depth=2
	s_or_b64 exec, exec, s[58:59]
	s_and_saveexec_b64 vcc, s[60:61]
	s_xor_b64 vcc, exec, vcc
	s_cbranch_execz .LBB19_537
; %bb.536:                              ;   in Loop: Header=BB19_477 Depth=2
	ds_write_b32 v0, v46
	s_trap 2
.LBB19_537:                             ;   in Loop: Header=BB19_477 Depth=2
	s_or_b64 exec, exec, s[56:57]
	;;#ASMSTART
	s_wakeup
	;;#ASMEND
.LBB19_538:                             ;   in Loop: Header=BB19_477 Depth=2
	s_or_b64 exec, exec, s[54:55]
.LBB19_539:                             ;   in Loop: Header=BB19_477 Depth=2
	s_andn2_saveexec_b64 vcc, s[52:53]
	s_cbranch_execz .LBB19_541
; %bb.540:                              ;   in Loop: Header=BB19_477 Depth=2
	;;#ASMSTART
	s_waitcnt lgkmcnt(0) vmcnt(0)
	;;#ASMEND
	s_barrier
.LBB19_541:                             ;   in Loop: Header=BB19_477 Depth=2
	s_or_b64 exec, exec, vcc
	s_or_b64 exec, exec, s[24:25]
	v_cmp_ne_u32_e32 vcc, 0, v0
	s_and_saveexec_b64 s[24:25], vcc
	s_cbranch_execz .LBB19_476
.LBB19_542:                             ;   in Loop: Header=BB19_477 Depth=2
	s_and_saveexec_b64 vcc, s[10:11]
	s_cbranch_execz .LBB19_475
; %bb.543:                              ;   in Loop: Header=BB19_477 Depth=2
	flat_store_dword v[58:59], v46 sc0 sc1
	s_branch .LBB19_475
.LBB19_544:                             ;   in Loop: Header=BB19_81 Depth=1
	s_or_b64 exec, exec, s[28:29]
.LBB19_545:                             ;   in Loop: Header=BB19_81 Depth=1
	s_or_b64 exec, exec, s[26:27]
	s_andn2_saveexec_b64 s[26:27], s[50:51]
	s_cbranch_execnz .LBB19_259
.LBB19_546:                             ;   in Loop: Header=BB19_81 Depth=1
	s_or_b64 exec, exec, s[26:27]
	s_andn2_b64 vcc, exec, s[46:47]
	s_cbranch_vccnz .LBB19_807
.LBB19_547:                             ;   in Loop: Header=BB19_81 Depth=1
	s_mov_b32 s68, 1
.LBB19_548:                             ;   Parent Loop BB19_81 Depth=1
                                        ; =>  This Loop Header: Depth=2
                                        ;       Child Loop BB19_551 Depth 3
                                        ;         Child Loop BB19_559 Depth 4
                                        ;         Child Loop BB19_585 Depth 4
	;; [unrolled: 1-line block ×9, first 2 shown]
                                        ;           Child Loop BB19_645 Depth 5
                                        ;         Child Loop BB19_654 Depth 4
                                        ;         Child Loop BB19_659 Depth 4
                                        ;           Child Loop BB19_660 Depth 5
                                        ;         Child Loop BB19_632 Depth 4
                                        ;         Child Loop BB19_711 Depth 4
                                        ;       Child Loop BB19_729 Depth 3
                                        ;         Child Loop BB19_735 Depth 4
                                        ;         Child Loop BB19_773 Depth 4
	;; [unrolled: 1-line block ×3, first 2 shown]
	v_mov_b32_e32 v0, 0
	v_mov_b32_e32 v18, v45
	;; [unrolled: 1-line block ×3, first 2 shown]
	s_and_saveexec_b64 s[50:51], s[22:23]
	s_cbranch_execz .LBB19_726
; %bb.549:                              ;   in Loop: Header=BB19_548 Depth=2
	s_sub_i32 s24, s70, s68
	s_ashr_i32 s25, s24, 31
	v_accvgpr_read_b32 v0, a6
	s_lshl_b64 s[24:25], s[24:25], 2
	v_accvgpr_read_b32 v1, a7
	v_lshl_add_u64 v[0:1], v[0:1], 0, s[24:25]
	flat_load_dword v0, v[0:1]
	v_accvgpr_read_b32 v4, a14
	v_accvgpr_read_b32 v6, a56
	v_accvgpr_read_b32 v5, a15
	v_accvgpr_read_b32 v7, a57
	s_mov_b32 s69, 1
	s_mov_b64 s[54:55], -1
	s_mov_b64 s[52:53], 0
	v_mov_b32_e32 v54, 0
	v_mov_b32_e32 v18, v45
	s_waitcnt vmcnt(0) lgkmcnt(0)
	v_ashrrev_i32_e32 v1, 31, v0
	v_mul_lo_u32 v2, v5, v0
	v_mad_u64_u32 v[6:7], s[24:25], v4, v0, v[6:7]
	v_mul_lo_u32 v0, v4, v1
	v_add3_u32 v7, v2, v7, v0
	v_accvgpr_write_b32 a55, v7
	v_accvgpr_write_b32 a54, v6
	s_branch .LBB19_551
.LBB19_550:                             ;   in Loop: Header=BB19_551 Depth=3
	s_or_b64 exec, exec, s[24:25]
	v_add_u32_e32 v54, v18, v54
	v_cmp_ge_i32_e32 vcc, v54, v44
	s_xor_b64 s[24:25], s[54:55], -1
	s_or_b64 s[24:25], s[24:25], vcc
	s_and_b64 s[24:25], exec, s[24:25]
	s_or_b64 s[52:53], s[24:25], s[52:53]
	s_mov_b64 s[54:55], 0
	v_mov_b32_e32 v0, s69
	s_mov_b32 s69, 2
	s_andn2_b64 exec, exec, s[52:53]
	s_cbranch_execz .LBB19_799
.LBB19_551:                             ;   Parent Loop BB19_81 Depth=1
                                        ;     Parent Loop BB19_548 Depth=2
                                        ; =>    This Loop Header: Depth=3
                                        ;         Child Loop BB19_559 Depth 4
                                        ;         Child Loop BB19_585 Depth 4
	;; [unrolled: 1-line block ×9, first 2 shown]
                                        ;           Child Loop BB19_645 Depth 5
                                        ;         Child Loop BB19_654 Depth 4
                                        ;         Child Loop BB19_659 Depth 4
                                        ;           Child Loop BB19_660 Depth 5
                                        ;         Child Loop BB19_632 Depth 4
                                        ;         Child Loop BB19_711 Depth 4
	s_and_saveexec_b64 s[24:25], s[0:1]
	s_cbranch_execz .LBB19_553
; %bb.552:                              ;   in Loop: Header=BB19_551 Depth=3
	s_trap 2
	ds_read_b128 v[0:3], v0
	v_accvgpr_read_b32 v4, a54
	v_accvgpr_read_b32 v5, a55
	v_ashrrev_i32_e32 v55, 31, v54
	s_waitcnt lgkmcnt(0)
	v_lshl_add_u64 v[0:1], v[0:1], 0, v[4:5]
	v_lshl_add_u64 v[4:5], v[2:3], 0, v[4:5]
	;; [unrolled: 1-line block ×4, first 2 shown]
	v_cmp_ne_u64_e32 vcc, 0, v[2:3]
	ds_write_b64 v0, v[0:1]
	s_nop 0
	v_cndmask_b32_e32 v1, 0, v5, vcc
	v_cndmask_b32_e32 v0, 0, v4, vcc
	ds_write_b64 v0, v[0:1]
.LBB19_553:                             ;   in Loop: Header=BB19_551 Depth=3
	s_or_b64 exec, exec, s[24:25]
	v_and_b32_e32 v0, 12, v62
	v_cmp_ne_u32_e32 vcc, 0, v0
	s_mov_b64 s[26:27], -1
	s_and_saveexec_b64 s[24:25], vcc
	s_cbranch_execz .LBB19_565
; %bb.554:                              ;   in Loop: Header=BB19_551 Depth=3
	v_and_b32_e32 v38, 8, v62
	v_lshl_add_u64 v[0:1], v[36:37], 0, v[38:39]
	v_lshl_add_u64 v[2:3], v[50:51], 0, 2
	v_cmp_lt_u64_e32 vcc, v[0:1], v[2:3]
	v_mov_b32_e32 v0, 1
	s_and_saveexec_b64 s[26:27], vcc
	s_cbranch_execz .LBB19_564
; %bb.555:                              ;   in Loop: Header=BB19_551 Depth=3
	s_mov_b64 s[28:29], 0
	v_mov_b32_e32 v0, 0
                                        ; implicit-def: $sgpr56_sgpr57
	s_branch .LBB19_559
.LBB19_556:                             ;   in Loop: Header=BB19_559 Depth=4
	s_or_b64 exec, exec, s[64:65]
	v_mov_b32_e32 v1, 0
	s_orn2_b64 s[62:63], s[62:63], exec
.LBB19_557:                             ;   in Loop: Header=BB19_559 Depth=4
	s_or_b64 exec, exec, s[60:61]
	s_andn2_b64 vcc, s[56:57], exec
	s_and_b64 s[56:57], s[62:63], exec
	s_or_b64 s[56:57], vcc, s[56:57]
	v_mov_b32_e32 v0, v1
.LBB19_558:                             ;   in Loop: Header=BB19_559 Depth=4
	s_or_b64 exec, exec, s[58:59]
	s_waitcnt vmcnt(0) lgkmcnt(0)
	v_lshl_add_u64 v[4:5], v[36:37], 0, v[38:39]
	v_cmp_ge_u64_e32 vcc, v[4:5], v[2:3]
	s_xor_b64 s[58:59], s[56:57], -1
	s_or_b64 vcc, s[58:59], vcc
	s_and_b64 vcc, exec, vcc
	s_or_b64 s[28:29], vcc, s[28:29]
	s_andn2_b64 exec, exec, s[28:29]
	s_cbranch_execz .LBB19_563
.LBB19_559:                             ;   Parent Loop BB19_81 Depth=1
                                        ;     Parent Loop BB19_548 Depth=2
                                        ;       Parent Loop BB19_551 Depth=3
                                        ; =>      This Inner Loop Header: Depth=4
	s_sleep 1
	flat_load_dwordx2 v[36:37], v[26:27] sc0 sc1
	v_and_b32_e32 v1, 64, v62
	v_cmp_eq_u32_e32 vcc, 0, v1
	s_andn2_b64 s[56:57], s[56:57], exec
	s_and_saveexec_b64 s[58:59], vcc
	s_cbranch_execz .LBB19_558
; %bb.560:                              ;   in Loop: Header=BB19_559 Depth=4
	v_add_u32_e32 v1, 1, v0
	v_cmp_lt_i32_e32 vcc, s73, v0
	s_mov_b64 s[62:63], -1
	s_and_saveexec_b64 s[60:61], vcc
	s_cbranch_execz .LBB19_557
; %bb.561:                              ;   in Loop: Header=BB19_559 Depth=4
	s_trap 2
	ds_read_b64 v[0:1], v0
	s_waitcnt vmcnt(0) lgkmcnt(0)
	flat_load_dword v0, v[0:1] sc0 sc1
	s_waitcnt vmcnt(0) lgkmcnt(0)
	buffer_inv sc0 sc1
	v_cmp_ne_u32_e32 vcc, 0, v0
	s_and_saveexec_b64 s[64:65], vcc
	s_cbranch_execz .LBB19_556
; %bb.562:                              ;   in Loop: Header=BB19_559 Depth=4
	v_or_b32_e32 v62, 64, v62
	s_xor_b64 s[62:63], exec, -1
	ds_write_b32 v0, v0
	s_trap 2
	s_branch .LBB19_556
.LBB19_563:                             ;   in Loop: Header=BB19_551 Depth=3
	s_or_b64 exec, exec, s[28:29]
	v_and_b32_e32 v0, 12, v62
.LBB19_564:                             ;   in Loop: Header=BB19_551 Depth=3
	s_or_b64 exec, exec, s[26:27]
	v_cmp_eq_u32_e32 vcc, 0, v0
	s_orn2_b64 s[26:27], vcc, exec
	;;#ASMSTART
	s_wakeup
	;;#ASMEND
.LBB19_565:                             ;   in Loop: Header=BB19_551 Depth=3
	s_or_b64 exec, exec, s[24:25]
	v_sub_u32_e32 v0, v44, v54
	s_xor_b64 s[24:25], s[26:27], -1
	v_min_i32_e32 v18, v18, v0
	s_and_saveexec_b64 s[26:27], s[24:25]
	s_cbranch_execz .LBB19_577
; %bb.566:                              ;   in Loop: Header=BB19_551 Depth=3
	v_and_b32_e32 v0, 0x108, v62
	v_cmp_ne_u32_e32 vcc, s74, v0
	v_and_b32_e32 v2, 7, v50
	s_and_saveexec_b64 s[24:25], vcc
	s_xor_b64 s[24:25], exec, s[24:25]
	s_andn2_saveexec_b64 s[24:25], s[24:25]
	s_cbranch_execz .LBB19_568
; %bb.567:                              ;   in Loop: Header=BB19_551 Depth=3
	v_mad_u64_u32 v[0:1], s[28:29], v2, 24, v[32:33]
	v_ashrrev_i32_e32 v19, 31, v18
	flat_store_dwordx2 v[0:1], v[18:19] offset:8
.LBB19_568:                             ;   in Loop: Header=BB19_551 Depth=3
	s_or_b64 exec, exec, s[24:25]
	v_and_b32_e32 v0, 0x100, v62
	v_cmp_ne_u32_e32 vcc, 0, v0
	s_mov_b64 s[24:25], -1
                                        ; implicit-def: $vgpr4_vgpr5
	s_and_saveexec_b64 s[28:29], vcc
	s_cbranch_execz .LBB19_572
; %bb.569:                              ;   in Loop: Header=BB19_551 Depth=3
	v_mad_u64_u32 v[6:7], s[24:25], v2, 24, v[32:33]
	v_mov_b32_e32 v0, v7
	v_mad_u64_u32 v[0:1], s[24:25], v39, 24, v[0:1]
	v_mov_b32_e32 v7, v0
	flat_load_dword v0, v[6:7]
                                        ; implicit-def: $vgpr4_vgpr5
	s_waitcnt vmcnt(0) lgkmcnt(0)
	v_cmp_ne_u32_e32 vcc, 1, v0
	v_cmp_eq_u32_e64 s[24:25], 1, v0
	s_and_saveexec_b64 s[56:57], s[24:25]
	s_cbranch_execz .LBB19_571
; %bb.570:                              ;   in Loop: Header=BB19_551 Depth=3
	flat_load_dword v4, v[6:7] offset:4 sc0 sc1
	s_waitcnt vmcnt(0) lgkmcnt(0)
	v_ashrrev_i32_e32 v5, 31, v4
.LBB19_571:                             ;   in Loop: Header=BB19_551 Depth=3
	s_or_b64 exec, exec, s[56:57]
	s_orn2_b64 s[24:25], vcc, exec
.LBB19_572:                             ;   in Loop: Header=BB19_551 Depth=3
	s_or_b64 exec, exec, s[28:29]
	s_and_saveexec_b64 s[28:29], s[24:25]
; %bb.573:                              ;   in Loop: Header=BB19_551 Depth=3
	v_mul_lo_u32 v0, v39, v40
	v_mul_lo_u32 v1, v2, v47
	v_mad_u64_u32 v[4:5], s[24:25], v2, v40, 0
	v_add3_u32 v5, v5, v1, v0
; %bb.574:                              ;   in Loop: Header=BB19_551 Depth=3
	s_or_b64 exec, exec, s[28:29]
	v_lshl_add_u64 v[0:1], v[42:43], 0, v[4:5]
	s_trap 2
	ds_write_b64 v0, v[0:1]
	v_and_b32_e32 v0, 0x2000, v62
	v_cmp_ne_u32_e32 vcc, 0, v0
	s_and_saveexec_b64 s[24:25], vcc
	s_cbranch_execz .LBB19_576
; %bb.575:                              ;   in Loop: Header=BB19_551 Depth=3
	ds_read_b64 v[0:1], v0 offset:584
	s_waitcnt lgkmcnt(0)
	v_lshl_add_u64 v[0:1], v[0:1], 0, 1
	ds_write_b64 v0, v[0:1] offset:584
.LBB19_576:                             ;   in Loop: Header=BB19_551 Depth=3
	s_or_b64 exec, exec, s[24:25]
	v_lshl_add_u64 v[50:51], v[50:51], 0, 2
.LBB19_577:                             ;   in Loop: Header=BB19_551 Depth=3
	s_or_b64 exec, exec, s[26:27]
	s_and_saveexec_b64 s[24:25], s[4:5]
	s_cbranch_execz .LBB19_596
; %bb.578:                              ;   in Loop: Header=BB19_551 Depth=3
	s_and_saveexec_b64 s[26:27], s[40:41]
	s_xor_b64 s[26:27], exec, s[26:27]
	s_cbranch_execz .LBB19_593
; %bb.579:                              ;   in Loop: Header=BB19_551 Depth=3
	s_and_saveexec_b64 s[28:29], s[12:13]
	s_cbranch_execz .LBB19_592
; %bb.580:                              ;   in Loop: Header=BB19_551 Depth=3
	s_mov_b64 s[58:59], exec
	v_mbcnt_lo_u32_b32 v0, s58, 0
	v_mbcnt_hi_u32_b32 v0, s59, v0
	v_cmp_eq_u32_e32 vcc, 0, v0
	s_waitcnt lgkmcnt(0)
	s_and_saveexec_b64 s[56:57], vcc
	s_cbranch_execz .LBB19_582
; %bb.581:                              ;   in Loop: Header=BB19_551 Depth=3
	s_bcnt1_i32_b64 vcc_lo, s[58:59]
	v_mov_b32_e32 v38, vcc_lo
	ds_add_u64 v0, v[38:39]
	s_trap 2
.LBB19_582:                             ;   in Loop: Header=BB19_551 Depth=3
	s_or_b64 exec, exec, s[56:57]
	s_trap 2
	ds_read_b64 v[0:1], v0
	v_lshl_add_u64 v[14:15], v[14:15], 0, v[48:49]
	s_waitcnt lgkmcnt(0)
	v_cmp_lt_u64_e32 vcc, v[0:1], v[14:15]
	s_and_saveexec_b64 s[56:57], vcc
	s_cbranch_execz .LBB19_591
; %bb.583:                              ;   in Loop: Header=BB19_551 Depth=3
	s_mov_b32 s77, 0
	s_mov_b64 s[58:59], 0
                                        ; implicit-def: $sgpr60_sgpr61
                                        ; implicit-def: $sgpr62_sgpr63
	s_branch .LBB19_585
.LBB19_584:                             ;   in Loop: Header=BB19_585 Depth=4
	s_or_b64 exec, exec, s[66:67]
	s_and_b64 vcc, exec, vcc
	s_or_b64 s[58:59], vcc, s[58:59]
	s_andn2_b64 vcc, s[60:61], exec
	s_and_b64 s[60:61], s[62:63], exec
	s_or_b64 s[60:61], vcc, s[60:61]
	s_andn2_b64 exec, exec, s[58:59]
	s_cbranch_execz .LBB19_589
.LBB19_585:                             ;   Parent Loop BB19_81 Depth=1
                                        ;     Parent Loop BB19_548 Depth=2
                                        ;       Parent Loop BB19_551 Depth=3
                                        ; =>      This Inner Loop Header: Depth=4
	s_add_i32 s77, s77, 1
	s_cmpk_lg_i32 s77, 0x2710
	s_cselect_b64 s[64:65], -1, 0
	s_and_b64 vcc, exec, s[64:65]
                                        ; implicit-def: $sgpr66_sgpr67
	s_cbranch_vccnz .LBB19_587
; %bb.586:                              ;   in Loop: Header=BB19_585 Depth=4
	s_trap 2
	ds_read_b64 v[0:1], v0
	s_andn2_b64 s[64:65], s[64:65], exec
	s_mov_b32 s77, 0
	s_mov_b64 s[66:67], -1
	s_waitcnt vmcnt(0) lgkmcnt(0)
	flat_load_dword v0, v[0:1] sc0 sc1
	s_waitcnt vmcnt(0) lgkmcnt(0)
	buffer_inv sc0 sc1
	v_cmp_eq_u32_e32 vcc, 0, v0
	s_and_b64 vcc, vcc, exec
	s_or_b64 s[64:65], s[64:65], vcc
.LBB19_587:                             ;   in Loop: Header=BB19_585 Depth=4
	s_andn2_b64 s[62:63], s[62:63], exec
	s_and_b64 s[66:67], s[66:67], exec
	s_mov_b64 vcc, -1
	s_or_b64 s[62:63], s[62:63], s[66:67]
	s_and_saveexec_b64 s[66:67], s[64:65]
	s_cbranch_execz .LBB19_584
; %bb.588:                              ;   in Loop: Header=BB19_585 Depth=4
	s_sleep 1
	s_trap 2
	ds_read_b64 v[0:1], v0
	s_andn2_b64 s[62:63], s[62:63], exec
	s_waitcnt lgkmcnt(0)
	v_cmp_ge_u64_e32 vcc, v[0:1], v[14:15]
	s_orn2_b64 vcc, vcc, exec
	s_branch .LBB19_584
.LBB19_589:                             ;   in Loop: Header=BB19_551 Depth=3
	s_or_b64 exec, exec, s[58:59]
	s_and_saveexec_b64 vcc, s[60:61]
	s_xor_b64 vcc, exec, vcc
	s_cbranch_execz .LBB19_591
; %bb.590:                              ;   in Loop: Header=BB19_551 Depth=3
	ds_write_b32 v0, v46
	s_trap 2
.LBB19_591:                             ;   in Loop: Header=BB19_551 Depth=3
	s_or_b64 exec, exec, s[56:57]
	;;#ASMSTART
	s_wakeup
	;;#ASMEND
.LBB19_592:                             ;   in Loop: Header=BB19_551 Depth=3
	s_or_b64 exec, exec, s[28:29]
.LBB19_593:                             ;   in Loop: Header=BB19_551 Depth=3
	s_andn2_saveexec_b64 s[26:27], s[26:27]
	s_cbranch_execz .LBB19_595
; %bb.594:                              ;   in Loop: Header=BB19_551 Depth=3
	s_waitcnt lgkmcnt(0)
	s_barrier
.LBB19_595:                             ;   in Loop: Header=BB19_551 Depth=3
	s_or_b64 exec, exec, s[26:27]
.LBB19_596:                             ;   in Loop: Header=BB19_551 Depth=3
	s_or_b64 exec, exec, s[24:25]
	s_trap 2
	ds_read_b32 v0, v0
	v_and_b32_e32 v1, 0x4000, v62
	v_cmp_ne_u32_e32 vcc, 0, v1
	s_xor_b64 s[24:25], s[2:3], -1
	s_and_b64 s[26:27], s[24:25], vcc
	s_and_saveexec_b64 s[24:25], s[26:27]
	s_cbranch_execz .LBB19_615
; %bb.597:                              ;   in Loop: Header=BB19_551 Depth=3
	s_and_saveexec_b64 s[26:27], s[40:41]
	s_xor_b64 s[26:27], exec, s[26:27]
	s_cbranch_execz .LBB19_612
; %bb.598:                              ;   in Loop: Header=BB19_551 Depth=3
	s_and_saveexec_b64 s[28:29], s[12:13]
	s_cbranch_execz .LBB19_611
; %bb.599:                              ;   in Loop: Header=BB19_551 Depth=3
	s_mov_b64 s[58:59], exec
	v_mbcnt_lo_u32_b32 v1, s58, 0
	v_mbcnt_hi_u32_b32 v1, s59, v1
	v_cmp_eq_u32_e32 vcc, 0, v1
	s_waitcnt lgkmcnt(0)
	s_and_saveexec_b64 s[56:57], vcc
	s_cbranch_execz .LBB19_601
; %bb.600:                              ;   in Loop: Header=BB19_551 Depth=3
	s_bcnt1_i32_b64 vcc_lo, s[58:59]
	v_mov_b32_e32 v38, vcc_lo
	ds_add_u64 v0, v[38:39]
	s_trap 2
.LBB19_601:                             ;   in Loop: Header=BB19_551 Depth=3
	s_or_b64 exec, exec, s[56:57]
	s_trap 2
	ds_read_b64 v[2:3], v0
	v_lshl_add_u64 v[14:15], v[14:15], 0, v[48:49]
	s_waitcnt lgkmcnt(0)
	v_cmp_lt_u64_e32 vcc, v[2:3], v[14:15]
	s_and_saveexec_b64 s[56:57], vcc
	s_cbranch_execz .LBB19_610
; %bb.602:                              ;   in Loop: Header=BB19_551 Depth=3
	s_mov_b32 s77, 0
	s_mov_b64 s[58:59], 0
                                        ; implicit-def: $sgpr60_sgpr61
                                        ; implicit-def: $sgpr62_sgpr63
	s_branch .LBB19_604
.LBB19_603:                             ;   in Loop: Header=BB19_604 Depth=4
	s_or_b64 exec, exec, s[66:67]
	s_and_b64 vcc, exec, vcc
	s_or_b64 s[58:59], vcc, s[58:59]
	s_andn2_b64 vcc, s[60:61], exec
	s_and_b64 s[60:61], s[62:63], exec
	s_or_b64 s[60:61], vcc, s[60:61]
	s_andn2_b64 exec, exec, s[58:59]
	s_cbranch_execz .LBB19_608
.LBB19_604:                             ;   Parent Loop BB19_81 Depth=1
                                        ;     Parent Loop BB19_548 Depth=2
                                        ;       Parent Loop BB19_551 Depth=3
                                        ; =>      This Inner Loop Header: Depth=4
	s_add_i32 s77, s77, 1
	s_cmpk_lg_i32 s77, 0x2710
	s_cselect_b64 s[64:65], -1, 0
	s_and_b64 vcc, exec, s[64:65]
                                        ; implicit-def: $sgpr66_sgpr67
	s_cbranch_vccnz .LBB19_606
; %bb.605:                              ;   in Loop: Header=BB19_604 Depth=4
	s_trap 2
	ds_read_b64 v[2:3], v0
	s_andn2_b64 s[64:65], s[64:65], exec
	s_mov_b32 s77, 0
	s_mov_b64 s[66:67], -1
	s_waitcnt vmcnt(0) lgkmcnt(0)
	flat_load_dword v1, v[2:3] sc0 sc1
	s_waitcnt vmcnt(0) lgkmcnt(0)
	buffer_inv sc0 sc1
	v_cmp_eq_u32_e32 vcc, 0, v1
	s_and_b64 vcc, vcc, exec
	s_or_b64 s[64:65], s[64:65], vcc
.LBB19_606:                             ;   in Loop: Header=BB19_604 Depth=4
	s_andn2_b64 s[62:63], s[62:63], exec
	s_and_b64 s[66:67], s[66:67], exec
	s_mov_b64 vcc, -1
	s_or_b64 s[62:63], s[62:63], s[66:67]
	s_and_saveexec_b64 s[66:67], s[64:65]
	s_cbranch_execz .LBB19_603
; %bb.607:                              ;   in Loop: Header=BB19_604 Depth=4
	s_sleep 1
	s_trap 2
	ds_read_b64 v[2:3], v0
	s_andn2_b64 s[62:63], s[62:63], exec
	s_waitcnt lgkmcnt(0)
	v_cmp_ge_u64_e32 vcc, v[2:3], v[14:15]
	s_orn2_b64 vcc, vcc, exec
	s_branch .LBB19_603
.LBB19_608:                             ;   in Loop: Header=BB19_551 Depth=3
	s_or_b64 exec, exec, s[58:59]
	s_and_saveexec_b64 vcc, s[60:61]
	s_xor_b64 vcc, exec, vcc
	s_cbranch_execz .LBB19_610
; %bb.609:                              ;   in Loop: Header=BB19_551 Depth=3
	ds_write_b32 v0, v46
	s_trap 2
.LBB19_610:                             ;   in Loop: Header=BB19_551 Depth=3
	s_or_b64 exec, exec, s[56:57]
	;;#ASMSTART
	s_wakeup
	;;#ASMEND
.LBB19_611:                             ;   in Loop: Header=BB19_551 Depth=3
	s_or_b64 exec, exec, s[28:29]
.LBB19_612:                             ;   in Loop: Header=BB19_551 Depth=3
	s_andn2_saveexec_b64 s[26:27], s[26:27]
	s_cbranch_execz .LBB19_614
; %bb.613:                              ;   in Loop: Header=BB19_551 Depth=3
	s_waitcnt lgkmcnt(0)
	s_barrier
.LBB19_614:                             ;   in Loop: Header=BB19_551 Depth=3
	s_or_b64 exec, exec, s[26:27]
.LBB19_615:                             ;   in Loop: Header=BB19_551 Depth=3
	s_or_b64 exec, exec, s[24:25]
	s_trap 2
	s_waitcnt lgkmcnt(0)
	ds_read_b64 v[2:3], v0
	v_mov_b32_e32 v19, 0
	s_waitcnt lgkmcnt(0)
	v_readfirstlane_b32 s24, v2
	v_readfirstlane_b32 s25, v3
	s_cmp_eq_u64 s[24:25], 0
	s_cselect_b64 s[24:25], -1, 0
	s_or_b64 s[24:25], s[24:25], s[24:25]
	s_and_b64 vcc, exec, s[24:25]
	s_cbranch_vccnz .LBB19_624
; %bb.616:                              ;   in Loop: Header=BB19_551 Depth=3
	s_trap 2
	ds_read_b64 v[2:3], v0
	v_cmp_eq_u32_e64 s[24:25], 0, v0
	s_waitcnt lgkmcnt(0)
	v_cmp_ne_u64_e32 vcc, 0, v[2:3]
	v_cndmask_b32_e64 v19, 0, v18, s[24:25]
	s_cbranch_vccz .LBB19_636
; %bb.617:                              ;   in Loop: Header=BB19_551 Depth=3
	s_mov_b64 s[26:27], -1
	s_and_saveexec_b64 s[24:25], s[18:19]
	s_cbranch_execz .LBB19_619
; %bb.618:                              ;   in Loop: Header=BB19_551 Depth=3
	ds_read_b32 v0, v0 offset:720
	s_waitcnt lgkmcnt(0)
	v_and_b32_e32 v0, 15, v0
	v_cmp_eq_u32_e32 vcc, 0, v0
	s_orn2_b64 s[26:27], vcc, exec
.LBB19_619:                             ;   in Loop: Header=BB19_551 Depth=3
	s_or_b64 exec, exec, s[24:25]
	s_and_saveexec_b64 s[24:25], s[16:17]
	s_cbranch_execz .LBB19_621
; %bb.620:                              ;   in Loop: Header=BB19_551 Depth=3
	ds_read_b32 v0, v0 offset:784
	s_waitcnt lgkmcnt(0)
	v_and_b32_e32 v0, 15, v0
	v_cmp_eq_u32_e32 vcc, 0, v0
	s_and_b64 s[28:29], s[26:27], vcc
	s_andn2_b64 s[26:27], s[26:27], exec
	s_and_b64 s[28:29], s[28:29], exec
	s_or_b64 s[26:27], s[26:27], s[28:29]
.LBB19_621:                             ;   in Loop: Header=BB19_551 Depth=3
	s_or_b64 exec, exec, s[24:25]
	s_xor_b64 s[26:27], s[26:27], -1
	v_cndmask_b32_e64 v0, 0, 1, s[26:27]
	s_mov_b64 s[24:25], -1
	;;#ASMSTART
	;;#ASMEND
	v_mov_b32_e32 v16, 0
	v_cmp_ne_u32_e32 vcc, 0, v0
	v_mov_b32_e32 v17, v19
	v_mov_b32_e32 v38, v60
	;; [unrolled: 1-line block ×3, first 2 shown]
	s_cbranch_vccz .LBB19_637
; %bb.622:                              ;   in Loop: Header=BB19_551 Depth=3
	s_and_saveexec_b64 s[28:29], s[24:25]
	s_cbranch_execnz .LBB19_652
.LBB19_623:                             ;   in Loop: Header=BB19_551 Depth=3
	s_or_b64 exec, exec, s[28:29]
.LBB19_624:                             ;   in Loop: Header=BB19_551 Depth=3
	s_and_saveexec_b64 s[24:25], s[4:5]
	s_cbranch_execz .LBB19_670
.LBB19_625:                             ;   in Loop: Header=BB19_551 Depth=3
	s_and_saveexec_b64 s[26:27], s[40:41]
	s_xor_b64 s[26:27], exec, s[26:27]
	s_cbranch_execz .LBB19_700
; %bb.626:                              ;   in Loop: Header=BB19_551 Depth=3
	s_and_saveexec_b64 s[28:29], s[12:13]
	s_cbranch_execz .LBB19_699
; %bb.627:                              ;   in Loop: Header=BB19_551 Depth=3
	s_mov_b64 s[58:59], exec
	v_mbcnt_lo_u32_b32 v0, s58, 0
	v_mbcnt_hi_u32_b32 v0, s59, v0
	v_cmp_eq_u32_e32 vcc, 0, v0
	s_waitcnt lgkmcnt(0)
	s_and_saveexec_b64 s[56:57], vcc
	s_cbranch_execz .LBB19_629
; %bb.628:                              ;   in Loop: Header=BB19_551 Depth=3
	s_bcnt1_i32_b64 vcc_lo, s[58:59]
	v_mov_b32_e32 v38, vcc_lo
	ds_add_u64 v0, v[38:39]
	s_trap 2
.LBB19_629:                             ;   in Loop: Header=BB19_551 Depth=3
	s_or_b64 exec, exec, s[56:57]
	s_trap 2
	ds_read_b64 v[0:1], v0
	v_lshl_add_u64 v[14:15], v[14:15], 0, v[48:49]
	s_waitcnt lgkmcnt(0)
	v_cmp_lt_u64_e32 vcc, v[0:1], v[14:15]
	s_and_saveexec_b64 s[56:57], vcc
	s_cbranch_execz .LBB19_698
; %bb.630:                              ;   in Loop: Header=BB19_551 Depth=3
	s_mov_b32 s77, 0
	s_mov_b64 s[58:59], 0
                                        ; implicit-def: $sgpr60_sgpr61
                                        ; implicit-def: $sgpr62_sgpr63
	s_branch .LBB19_632
.LBB19_631:                             ;   in Loop: Header=BB19_632 Depth=4
	s_or_b64 exec, exec, s[66:67]
	s_and_b64 vcc, exec, vcc
	s_or_b64 s[58:59], vcc, s[58:59]
	s_andn2_b64 vcc, s[60:61], exec
	s_and_b64 s[60:61], s[62:63], exec
	s_or_b64 s[60:61], vcc, s[60:61]
	s_andn2_b64 exec, exec, s[58:59]
	s_cbranch_execz .LBB19_696
.LBB19_632:                             ;   Parent Loop BB19_81 Depth=1
                                        ;     Parent Loop BB19_548 Depth=2
                                        ;       Parent Loop BB19_551 Depth=3
                                        ; =>      This Inner Loop Header: Depth=4
	s_add_i32 s77, s77, 1
	s_cmpk_lg_i32 s77, 0x2710
	s_cselect_b64 s[64:65], -1, 0
	s_and_b64 vcc, exec, s[64:65]
                                        ; implicit-def: $sgpr66_sgpr67
	s_cbranch_vccnz .LBB19_634
; %bb.633:                              ;   in Loop: Header=BB19_632 Depth=4
	s_trap 2
	ds_read_b64 v[0:1], v0
	s_andn2_b64 s[64:65], s[64:65], exec
	s_mov_b32 s77, 0
	s_mov_b64 s[66:67], -1
	s_waitcnt vmcnt(0) lgkmcnt(0)
	flat_load_dword v0, v[0:1] sc0 sc1
	s_waitcnt vmcnt(0) lgkmcnt(0)
	buffer_inv sc0 sc1
	v_cmp_eq_u32_e32 vcc, 0, v0
	s_and_b64 vcc, vcc, exec
	s_or_b64 s[64:65], s[64:65], vcc
.LBB19_634:                             ;   in Loop: Header=BB19_632 Depth=4
	s_andn2_b64 s[62:63], s[62:63], exec
	s_and_b64 s[66:67], s[66:67], exec
	s_mov_b64 vcc, -1
	s_or_b64 s[62:63], s[62:63], s[66:67]
	s_and_saveexec_b64 s[66:67], s[64:65]
	s_cbranch_execz .LBB19_631
; %bb.635:                              ;   in Loop: Header=BB19_632 Depth=4
	s_sleep 1
	s_trap 2
	ds_read_b64 v[0:1], v0
	s_andn2_b64 s[62:63], s[62:63], exec
	s_waitcnt lgkmcnt(0)
	v_cmp_ge_u64_e32 vcc, v[0:1], v[14:15]
	s_orn2_b64 vcc, vcc, exec
	s_branch .LBB19_631
.LBB19_636:                             ;   in Loop: Header=BB19_551 Depth=3
	s_cbranch_execnz .LBB19_663
	s_branch .LBB19_624
.LBB19_637:                             ;   in Loop: Header=BB19_551 Depth=3
	v_ashrrev_i32_e32 v0, 31, v19
	v_lshrrev_b32_e32 v0, 20, v0
	v_add_u32_e32 v0, v19, v0
	v_ashrrev_i32_e32 v0, 12, v0
	v_sub_u32_e32 v1, v0, v41
	v_cmp_lt_i32_e32 vcc, 0, v1
	s_and_saveexec_b64 s[24:25], vcc
	s_cbranch_execz .LBB19_641
; %bb.638:                              ;   in Loop: Header=BB19_551 Depth=3
	s_trap 2
	ds_read_b64 v[2:3], v0
	ds_read_b128 v[4:7], v0
	v_accvgpr_read_b32 v8, a50
	v_accvgpr_read_b32 v9, a51
	v_mov_b32_e32 v38, v34
	v_mov_b64_e32 v[16:17], v[32:33]
	s_waitcnt lgkmcnt(0)
	v_lshl_add_u64 v[2:3], v[2:3], 0, v[8:9]
	v_lshl_add_u64 v[4:5], v[4:5], 0, v[8:9]
	v_lshl_add_u64 v[6:7], v[6:7], 0, v[8:9]
	s_mov_b64 s[26:27], 0
.LBB19_639:                             ;   Parent Loop BB19_81 Depth=1
                                        ;     Parent Loop BB19_548 Depth=2
                                        ;       Parent Loop BB19_551 Depth=3
                                        ; =>      This Inner Loop Header: Depth=4
	global_load_dwordx4 v[8:11], v[2:3], off nt
	global_load_dwordx4 v[20:23], v[2:3], off offset:1024 nt
	global_load_dwordx4 v[28:31], v[2:3], off offset:2048 nt
	;; [unrolled: 1-line block ×3, first 2 shown]
	v_sub_u32_e32 v1, v1, v48
	v_cmp_gt_i32_e32 vcc, 1, v1
	v_lshl_add_u64 v[2:3], v[2:3], 0, v[12:13]
	s_or_b64 s[26:27], vcc, s[26:27]
	s_waitcnt vmcnt(0)
	global_store_dwordx4 v[4:5], v[8:11], off nt
	global_store_dwordx4 v[4:5], v[20:23], off offset:1024 nt
	global_store_dwordx4 v[4:5], v[28:31], off offset:2048 nt
	;; [unrolled: 1-line block ×3, first 2 shown]
	global_store_dwordx4 v[6:7], v[8:11], off nt
	global_store_dwordx4 v[6:7], v[20:23], off offset:1024 nt
	global_store_dwordx4 v[6:7], v[28:31], off offset:2048 nt
	;; [unrolled: 1-line block ×3, first 2 shown]
	v_lshl_add_u64 v[4:5], v[4:5], 0, v[12:13]
	v_lshl_add_u64 v[6:7], v[6:7], 0, v[12:13]
	s_andn2_b64 exec, exec, s[26:27]
	s_cbranch_execnz .LBB19_639
; %bb.640:                              ;   in Loop: Header=BB19_551 Depth=3
	s_or_b64 exec, exec, s[26:27]
	scratch_load_dwordx2 v[30:31], off, s33 offset:172 ; 8-byte Folded Reload
	v_accvgpr_read_b32 v28, a44
	v_accvgpr_read_b32 v29, a45
	v_mov_b64_e32 v[32:33], v[16:17]
	v_mov_b32_e32 v34, v38
.LBB19_641:                             ;   in Loop: Header=BB19_551 Depth=3
	s_or_b64 exec, exec, s[24:25]
	v_lshlrev_b32_e32 v0, 12, v0
	v_cmp_ne_u32_e32 vcc, v19, v0
	s_mov_b64 s[24:25], 0
	v_mov_b32_e32 v16, 0
                                        ; implicit-def: $vgpr17
                                        ; implicit-def: $vgpr38
                                        ; implicit-def: $vgpr2
	s_and_saveexec_b64 s[56:57], vcc
	s_cbranch_execz .LBB19_651
; %bb.642:                              ;   in Loop: Header=BB19_551 Depth=3
	v_lshlrev_b32_e32 v1, 6, v1
	v_accvgpr_read_b32 v2, a41
	v_sub_u32_e32 v1, v2, v1
	v_sub_u32_e32 v3, v19, v0
	v_ashrrev_i32_e32 v2, 31, v1
	v_lshrrev_b32_e32 v2, 26, v2
	v_ashrrev_i32_e32 v5, 31, v3
	v_add_u32_e32 v2, v1, v2
	v_lshrrev_b32_e32 v5, 22, v5
	v_ashrrev_i32_e32 v4, 6, v2
	v_and_b32_e32 v2, 0xffffffc0, v2
	v_add_u32_e32 v5, v3, v5
	v_sub_u32_e32 v12, v1, v2
	v_and_b32_e32 v13, 0xfffffc00, v5
	v_lshlrev_b32_e32 v1, 4, v12
	v_sub_u32_e32 v21, v3, v13
	v_lshl_add_u32 v2, v4, 10, v1
	v_ashrrev_i32_e32 v6, 10, v5
	v_cmp_lt_i32_e64 s[24:25], 15, v21
	v_sub_u32_e32 v1, v3, v2
	s_nop 0
	v_addc_co_u32_e64 v3, vcc, 0, v6, s[24:25]
	v_sub_u32_e32 v20, v3, v4
	v_cmp_lt_i32_e32 vcc, 15, v1
	s_and_saveexec_b64 s[58:59], vcc
	s_cbranch_execz .LBB19_648
; %bb.643:                              ;   in Loop: Header=BB19_551 Depth=3
	s_trap 2
	ds_read_b64 v[4:5], v0
	ds_read_b128 v[22:25], v0
	v_add_u32_e32 v2, v2, v0
	v_ashrrev_i32_e32 v3, 31, v2
	s_mov_b64 s[60:61], 0
	s_waitcnt lgkmcnt(0)
	v_lshl_add_u64 v[6:7], v[4:5], 0, v[2:3]
	v_lshl_add_u64 v[10:11], v[22:23], 0, v[2:3]
	v_accvgpr_read_b32 v22, a36
	v_lshl_add_u64 v[16:17], v[24:25], 0, v[2:3]
	v_accvgpr_read_b32 v23, a37
.LBB19_644:                             ;   Parent Loop BB19_81 Depth=1
                                        ;     Parent Loop BB19_548 Depth=2
                                        ;       Parent Loop BB19_551 Depth=3
                                        ; =>      This Loop Header: Depth=4
                                        ;           Child Loop BB19_645 Depth 5
	global_load_dwordx4 v[2:5], v[6:7], off nt
	s_mov_b64 s[64:65], -1
	s_mov_b64 s[62:63], 0
	s_waitcnt vmcnt(0)
.LBB19_645:                             ;   Parent Loop BB19_81 Depth=1
                                        ;     Parent Loop BB19_548 Depth=2
                                        ;       Parent Loop BB19_551 Depth=3
                                        ;         Parent Loop BB19_644 Depth=4
                                        ; =>        This Inner Loop Header: Depth=5
	s_cmp_eq_u32 s62, 0
	s_cselect_b64 s[26:27], -1, 0
	s_cmp_eq_u32 s62, 1
	v_cndmask_b32_e64 v8, 0, 1, s[64:65]
	s_cselect_b64 s[28:29], -1, 0
	v_cmp_ne_u32_e32 vcc, 1, v8
	v_cndmask_b32_e64 v9, v11, v17, s[28:29]
	v_cndmask_b32_e64 v8, v10, v16, s[28:29]
	global_store_dwordx4 v[8:9], v[2:5], off nt
	v_lshl_add_u64 v[8:9], v[8:9], 0, s[42:43]
	s_mov_b64 s[64:65], 0
	s_mov_b64 s[62:63], 1
	s_and_b64 vcc, exec, vcc
	v_cndmask_b32_e64 v17, v17, v9, s[28:29]
	v_cndmask_b32_e64 v16, v16, v8, s[28:29]
	;; [unrolled: 1-line block ×4, first 2 shown]
	s_cbranch_vccz .LBB19_645
; %bb.646:                              ;   in Loop: Header=BB19_644 Depth=4
	v_sub_u32_e32 v1, v1, v61
	v_cmp_gt_i32_e32 vcc, 16, v1
	v_lshl_add_u64 v[10:11], v[10:11], 0, v[22:23]
	v_lshl_add_u64 v[16:17], v[16:17], 0, v[22:23]
	;; [unrolled: 1-line block ×3, first 2 shown]
	s_or_b64 s[60:61], vcc, s[60:61]
	v_sub_u32_e32 v20, v20, v48
	s_andn2_b64 exec, exec, s[60:61]
	s_cbranch_execnz .LBB19_644
; %bb.647:                              ;   in Loop: Header=BB19_551 Depth=3
	s_or_b64 exec, exec, s[60:61]
	v_accvgpr_read_b32 v24, a34
	v_accvgpr_read_b32 v25, a35
.LBB19_648:                             ;   in Loop: Header=BB19_551 Depth=3
	s_or_b64 exec, exec, s[58:59]
	v_and_b32_e32 v1, 15, v19
	v_cndmask_b32_e64 v17, v21, v1, s[24:25]
	v_cmp_ne_u32_e32 vcc, 0, v17
	s_mov_b64 s[26:27], 0
	v_mov_b32_e32 v16, 0
                                        ; implicit-def: $vgpr38
                                        ; implicit-def: $vgpr2
	s_and_saveexec_b64 s[28:29], vcc
	s_cbranch_execz .LBB19_650
; %bb.649:                              ;   in Loop: Header=BB19_551 Depth=3
	v_sub_u32_e32 v1, v21, v1
	v_cndmask_b32_e64 v1, 0, v1, s[24:25]
	v_cmp_lt_i32_e32 vcc, 0, v20
	v_add3_u32 v16, v13, v0, v1
	s_mov_b64 s[26:27], exec
	v_cndmask_b32_e32 v0, 0, v48, vcc
	v_sub_u32_e32 v0, v0, v20
	v_lshl_add_u32 v38, v0, 6, v12
	v_ashrrev_i32_e32 v0, 31, v38
	v_lshrrev_b32_e32 v0, 26, v0
	v_add_u32_e32 v0, v38, v0
	v_ashrrev_i32_e32 v2, 6, v0
.LBB19_650:                             ;   in Loop: Header=BB19_551 Depth=3
	s_or_b64 exec, exec, s[28:29]
	v_accvgpr_read_b32 v12, a42
	s_and_b64 s[24:25], s[26:27], exec
	v_accvgpr_read_b32 v13, a43
.LBB19_651:                             ;   in Loop: Header=BB19_551 Depth=3
	s_or_b64 exec, exec, s[56:57]
	s_and_saveexec_b64 s[28:29], s[24:25]
	s_cbranch_execz .LBB19_623
.LBB19_652:                             ;   in Loop: Header=BB19_551 Depth=3
	v_ashrrev_i32_e32 v0, 31, v17
	v_lshrrev_b32_e32 v0, 21, v0
	v_add_u32_e32 v0, v17, v0
	v_ashrrev_i32_e32 v20, 11, v0
	v_sub_u32_e32 v55, v20, v2
	v_ashrrev_i32_e32 v0, 31, v38
	v_cmp_lt_i32_e32 vcc, 0, v55
	v_lshrrev_b32_e32 v1, 26, v0
	s_and_saveexec_b64 s[24:25], vcc
	s_cbranch_execz .LBB19_656
; %bb.653:                              ;   in Loop: Header=BB19_551 Depth=3
	v_add_u32_e32 v0, v38, v1
	s_trap 2
	v_accvgpr_write_b32 a58, v1
	v_and_b32_e32 v3, 0xffffffc0, v0
	ds_read_b64 v[0:1], v0
	v_sub_u32_e32 v3, v38, v3
	v_lshlrev_b32_e32 v2, 11, v2
	v_add3_u32 v8, v16, v3, v2
	v_ashrrev_i32_e32 v9, 31, v8
	s_waitcnt lgkmcnt(0)
	ds_read_b128 v[4:7], v0
	v_lshl_add_u64 v[0:1], v[0:1], 0, s[44:45]
	v_lshl_add_u64 v[10:11], v[0:1], 0, v[8:9]
	s_mov_b64 s[26:27], 0
	s_waitcnt lgkmcnt(0)
	v_lshl_add_u64 v[2:3], v[4:5], 0, v[8:9]
	v_lshl_add_u64 v[4:5], v[6:7], 0, v[8:9]
.LBB19_654:                             ;   Parent Loop BB19_81 Depth=1
                                        ;     Parent Loop BB19_548 Depth=2
                                        ;       Parent Loop BB19_551 Depth=3
                                        ; =>      This Inner Loop Header: Depth=4
	v_add_co_u32_e32 v6, vcc, 0xfffff840, v10
	flat_load_ubyte v21, v[10:11] nt
	s_nop 0
	v_addc_co_u32_e32 v7, vcc, -1, v11, vcc
	v_add_co_u32_e32 v0, vcc, 0xfffff880, v10
	flat_load_ubyte v6, v[6:7] nt
	s_nop 0
	v_addc_co_u32_e32 v1, vcc, -1, v11, vcc
	;; [unrolled: 4-line block ×22, first 2 shown]
	v_add_co_u32_e32 v8, vcc, 0xfffffdc0, v10
	s_waitcnt vmcnt(0)
	flat_load_ubyte v30, v[22:23] nt
	v_addc_co_u32_e32 v9, vcc, -1, v11, vcc
	v_add_co_u32_e32 v22, vcc, 0xfffffe00, v10
	flat_load_ubyte v31, v[8:9] nt
	s_nop 0
	v_addc_co_u32_e32 v23, vcc, -1, v11, vcc
	v_add_co_u32_e32 v8, vcc, 0xfffffe40, v10
	flat_load_ubyte v22, v[22:23] nt
	s_nop 0
	;; [unrolled: 4-line block ×8, first 2 shown]
	v_addc_co_u32_e32 v9, vcc, -1, v11, vcc
	flat_load_ubyte v8, v[8:9] nt
	v_sub_u32_e32 v55, v55, v48
	v_cmp_gt_i32_e32 vcc, 1, v55
	s_or_b64 s[26:27], vcc, s[26:27]
	v_lshl_add_u64 v[10:11], v[10:11], 0, v[56:57]
	s_waitcnt lgkmcnt(0)
	flat_store_byte v[2:3], v21 offset:1984 nt
	flat_store_byte v[2:3], v6 nt
	flat_store_byte v[2:3], v7 offset:64 nt
	flat_store_byte v[2:3], v29 offset:128 nt
	;; [unrolled: 1-line block ×20, first 2 shown]
	s_waitcnt vmcnt(0)
	flat_store_byte v[2:3], v30 offset:1344 nt
	flat_store_byte v[2:3], v31 offset:1408 nt
	flat_store_byte v[2:3], v22 offset:1472 nt
	flat_store_byte v[2:3], v23 offset:1536 nt
	flat_store_byte v[2:3], v58 offset:1600 nt
	flat_store_byte v[2:3], v59 offset:1664 nt
	flat_store_byte v[2:3], v45 offset:1728 nt
	flat_store_byte v[2:3], v60 offset:1792 nt
	flat_store_byte v[2:3], v61 offset:1856 nt
	flat_store_byte v[2:3], v8 offset:1920 nt
	flat_store_byte v[4:5], v6 nt
	flat_store_byte v[4:5], v7 offset:64 nt
	flat_store_byte v[4:5], v29 offset:128 nt
	;; [unrolled: 1-line block ×31, first 2 shown]
	v_lshl_add_u64 v[2:3], v[2:3], 0, v[56:57]
	v_lshl_add_u64 v[4:5], v[4:5], 0, v[56:57]
	s_andn2_b64 exec, exec, s[26:27]
	s_cbranch_execnz .LBB19_654
; %bb.655:                              ;   in Loop: Header=BB19_551 Depth=3
	s_or_b64 exec, exec, s[26:27]
	scratch_load_dwordx2 v[30:31], off, s33 offset:172 ; 8-byte Folded Reload
	v_accvgpr_read_b32 v33, a21
	v_accvgpr_read_b32 v43, a25
	;; [unrolled: 1-line block ×14, first 2 shown]
	v_mov_b32_e32 v46, 1
	v_accvgpr_read_b32 v61, a29
	v_accvgpr_read_b32 v25, a35
	;; [unrolled: 1-line block ×9, first 2 shown]
.LBB19_656:                             ;   in Loop: Header=BB19_551 Depth=3
	s_or_b64 exec, exec, s[24:25]
	v_lshlrev_b32_e32 v0, 11, v20
	v_cmp_ne_u32_e32 vcc, v17, v0
	s_and_saveexec_b64 s[56:57], vcc
	s_cbranch_execz .LBB19_662
; %bb.657:                              ;   in Loop: Header=BB19_551 Depth=3
	v_add_u32_e32 v1, v38, v1
	v_and_b32_e32 v1, 0xffffffc0, v1
	v_sub_u32_e32 v1, v38, v1
	v_lshlrev_b32_e32 v2, 6, v55
	v_sub_u32_e32 v1, v1, v2
	v_add_u32_e32 v1, v0, v1
	v_sub_u32_e32 v0, v17, v1
	v_cmp_lt_i32_e32 vcc, 0, v0
	s_and_b64 exec, exec, vcc
	s_cbranch_execz .LBB19_662
; %bb.658:                              ;   in Loop: Header=BB19_551 Depth=3
	s_trap 2
	ds_read_b64 v[2:3], v0
	ds_read_b128 v[4:7], v0
	v_add_u32_e32 v8, v1, v16
	v_ashrrev_i32_e32 v9, 31, v8
	s_mov_b64 s[58:59], 0
	s_waitcnt lgkmcnt(0)
	v_lshl_add_u64 v[2:3], v[2:3], 0, v[8:9]
	v_lshl_add_u64 v[4:5], v[4:5], 0, v[8:9]
	;; [unrolled: 1-line block ×3, first 2 shown]
.LBB19_659:                             ;   Parent Loop BB19_81 Depth=1
                                        ;     Parent Loop BB19_548 Depth=2
                                        ;       Parent Loop BB19_551 Depth=3
                                        ; =>      This Loop Header: Depth=4
                                        ;           Child Loop BB19_660 Depth 5
	flat_load_ubyte v1, v[2:3] nt
	s_mov_b64 s[60:61], -1
	s_mov_b64 s[62:63], 0
	s_waitcnt vmcnt(0)
.LBB19_660:                             ;   Parent Loop BB19_81 Depth=1
                                        ;     Parent Loop BB19_548 Depth=2
                                        ;       Parent Loop BB19_551 Depth=3
                                        ;         Parent Loop BB19_659 Depth=4
                                        ; =>        This Inner Loop Header: Depth=5
	s_cmp_eq_u32 s62, 1
	s_cselect_b64 vcc, -1, 0
	v_cndmask_b32_e32 v9, v5, v7, vcc
	s_cmp_eq_u32 s62, 0
	v_cndmask_b32_e32 v8, v4, v6, vcc
	s_waitcnt lgkmcnt(0)
	flat_store_byte v[8:9], v1 nt
	v_lshl_add_u64 v[8:9], v[8:9], 0, 64
	s_cselect_b64 s[24:25], -1, 0
	s_and_b64 s[26:27], exec, s[60:61]
	s_mov_b64 s[62:63], 1
	s_mov_b64 s[60:61], 0
	v_cndmask_b32_e32 v7, v7, v9, vcc
	v_cndmask_b32_e32 v6, v6, v8, vcc
	v_cndmask_b32_e64 v5, v5, v9, s[24:25]
	v_cndmask_b32_e64 v4, v4, v8, s[24:25]
	s_mov_b64 vcc, s[26:27]
	s_cbranch_vccnz .LBB19_660
; %bb.661:                              ;   in Loop: Header=BB19_659 Depth=4
	v_sub_u32_e32 v0, v0, v34
	v_cmp_gt_i32_e32 vcc, 1, v0
	v_lshl_add_u64 v[4:5], v[4:5], 0, v[24:25]
	v_lshl_add_u64 v[6:7], v[6:7], 0, v[24:25]
	s_or_b64 s[58:59], vcc, s[58:59]
	v_lshl_add_u64 v[2:3], v[28:29], 0, v[2:3]
	s_andn2_b64 exec, exec, s[58:59]
	s_cbranch_execnz .LBB19_659
.LBB19_662:                             ;   in Loop: Header=BB19_551 Depth=3
	s_or_b64 exec, exec, s[56:57]
	s_or_b64 exec, exec, s[28:29]
	s_branch .LBB19_624
.LBB19_663:                             ;   in Loop: Header=BB19_551 Depth=3
	s_mov_b64 s[24:25], -1
	s_and_saveexec_b64 s[26:27], s[18:19]
	s_cbranch_execz .LBB19_665
; %bb.664:                              ;   in Loop: Header=BB19_551 Depth=3
	ds_read_b32 v0, v0 offset:720
	s_waitcnt lgkmcnt(0)
	v_and_b32_e32 v0, 15, v0
	v_cmp_eq_u32_e32 vcc, 0, v0
	s_orn2_b64 s[24:25], vcc, exec
.LBB19_665:                             ;   in Loop: Header=BB19_551 Depth=3
	s_or_b64 exec, exec, s[26:27]
	s_and_saveexec_b64 s[26:27], s[14:15]
	s_cbranch_execz .LBB19_667
; %bb.666:                              ;   in Loop: Header=BB19_551 Depth=3
	ds_read_b32 v0, v0 offset:784
	s_waitcnt lgkmcnt(0)
	v_and_b32_e32 v0, 15, v0
	v_cmp_eq_u32_e32 vcc, 0, v0
	s_and_b64 s[28:29], s[24:25], vcc
	s_andn2_b64 s[24:25], s[24:25], exec
	s_and_b64 s[28:29], s[28:29], exec
	s_or_b64 s[24:25], s[24:25], s[28:29]
.LBB19_667:                             ;   in Loop: Header=BB19_551 Depth=3
	s_or_b64 exec, exec, s[26:27]
	s_xor_b64 s[24:25], s[24:25], -1
	v_cndmask_b32_e64 v0, 0, 1, s[24:25]
	s_mov_b64 s[28:29], -1
	;;#ASMSTART
	;;#ASMEND
	v_mov_b32_e32 v16, 0
	v_cmp_ne_u32_e32 vcc, 0, v0
	v_mov_b32_e32 v17, v19
	v_mov_b32_e32 v20, v60
	;; [unrolled: 1-line block ×3, first 2 shown]
	s_cbranch_vccz .LBB19_674
; %bb.668:                              ;   in Loop: Header=BB19_551 Depth=3
	s_and_saveexec_b64 s[24:25], s[28:29]
	s_cbranch_execnz .LBB19_687
.LBB19_669:                             ;   in Loop: Header=BB19_551 Depth=3
	s_or_b64 exec, exec, s[24:25]
	s_and_saveexec_b64 s[24:25], s[4:5]
	s_cbranch_execnz .LBB19_625
.LBB19_670:                             ;   in Loop: Header=BB19_551 Depth=3
	s_or_b64 exec, exec, s[24:25]
                                        ; implicit-def: $vgpr0
	s_and_saveexec_b64 s[24:25], s[20:21]
	s_xor_b64 s[26:27], exec, s[24:25]
	s_cbranch_execz .LBB19_703
.LBB19_671:                             ;   in Loop: Header=BB19_551 Depth=3
	v_and_b32_e32 v1, 16, v62
	v_cmp_lt_i32_e32 vcc, 0, v19
	v_cmp_ne_u32_e64 s[24:25], 0, v1
	v_and_b32_e32 v0, 16, v62
	s_and_b64 s[28:29], s[24:25], vcc
	s_and_saveexec_b64 s[24:25], s[28:29]
	s_cbranch_execz .LBB19_673
; %bb.672:                              ;   in Loop: Header=BB19_551 Depth=3
	v_mov_b32_e32 v0, 1
	buffer_wbl2 sc1
	s_waitcnt vmcnt(0) lgkmcnt(0)
	buffer_inv sc1
.LBB19_673:                             ;   in Loop: Header=BB19_551 Depth=3
	s_or_b64 exec, exec, s[24:25]
	s_andn2_saveexec_b64 s[24:25], s[26:27]
	s_cbranch_execz .LBB19_722
	s_branch .LBB19_704
.LBB19_674:                             ;   in Loop: Header=BB19_551 Depth=3
	v_ashrrev_i32_e32 v0, 31, v19
	v_lshrrev_b32_e32 v0, 19, v0
	v_add_u32_e32 v0, v19, v0
	v_ashrrev_i32_e32 v0, 13, v0
	v_sub_u32_e32 v1, v0, v41
	v_cmp_lt_i32_e32 vcc, 0, v1
	s_and_saveexec_b64 s[26:27], vcc
	s_cbranch_execz .LBB19_678
; %bb.675:                              ;   in Loop: Header=BB19_551 Depth=3
	s_trap 2
	ds_read_b64 v[2:3], v0
	v_accvgpr_read_b32 v53, a47
	v_mov_b32_e32 v55, v34
	v_mov_b32_e32 v38, v60
	s_mov_b64 s[28:29], 0
	s_waitcnt lgkmcnt(0)
	v_mov_b64_e32 v[4:5], v[2:3]
	v_accvgpr_read_b32 v52, a46
.LBB19_676:                             ;   Parent Loop BB19_81 Depth=1
                                        ;     Parent Loop BB19_548 Depth=2
                                        ;       Parent Loop BB19_551 Depth=3
                                        ; =>      This Inner Loop Header: Depth=4
	s_waitcnt vmcnt(0)
	v_lshl_add_u64 v[16:17], v[30:31], 0, v[4:5]
	global_load_dwordx4 v[6:9], v[16:17], off nt
	global_load_dwordx4 v[10:13], v[16:17], off offset:1024 nt
	global_load_dwordx4 v[20:23], v[16:17], off offset:2048 nt
	;; [unrolled: 1-line block ×3, first 2 shown]
	v_add_co_u32_e32 v16, vcc, 0x1000, v16
	v_sub_u32_e32 v1, v1, v48
	s_nop 0
	v_addc_co_u32_e32 v17, vcc, 0, v17, vcc
	global_load_dwordx4 v[32:35], v[16:17], off nt
	global_load_dwordx4 v[40:43], v[16:17], off offset:1024 nt
	global_load_dwordx4 v[58:61], v[16:17], off offset:2048 nt
	global_load_dwordx4 v[44:47], v[16:17], off offset:3072 nt
	s_nop 0
	scratch_load_dwordx2 v[16:17], off, s33 offset:172 ; 8-byte Folded Reload
	v_cmp_gt_i32_e64 s[24:25], 1, v1
	v_lshl_add_u64 v[4:5], v[4:5], 0, v[52:53]
	s_or_b64 s[28:29], s[24:25], s[28:29]
	s_waitcnt vmcnt(0)
	v_lshl_add_u64 v[16:17], v[16:17], 0, v[2:3]
	global_store_dwordx4 v[16:17], v[6:9], off nt
	global_store_dwordx4 v[16:17], v[10:13], off offset:1024 nt
	global_store_dwordx4 v[16:17], v[20:23], off offset:2048 nt
	global_store_dwordx4 v[16:17], v[28:31], off offset:3072 nt
	scratch_load_dwordx2 v[30:31], off, s33 offset:172 ; 8-byte Folded Reload
	v_add_co_u32_e32 v24, vcc, 0x1000, v16
	v_lshl_add_u64 v[2:3], v[2:3], 0, v[52:53]
	s_nop 0
	v_addc_co_u32_e32 v25, vcc, 0, v17, vcc
	global_store_dwordx4 v[24:25], v[32:35], off nt
	global_store_dwordx4 v[24:25], v[40:43], off offset:1024 nt
	global_store_dwordx4 v[24:25], v[58:61], off offset:2048 nt
	;; [unrolled: 1-line block ×3, first 2 shown]
	s_andn2_b64 exec, exec, s[28:29]
	s_cbranch_execnz .LBB19_676
; %bb.677:                              ;   in Loop: Header=BB19_551 Depth=3
	s_or_b64 exec, exec, s[28:29]
	v_accvgpr_read_b32 v33, a21
	v_accvgpr_read_b32 v43, a25
	;; [unrolled: 1-line block ×12, first 2 shown]
	v_mov_b32_e32 v46, 1
	v_accvgpr_read_b32 v61, a29
	v_accvgpr_read_b32 v25, a35
	;; [unrolled: 1-line block ×8, first 2 shown]
	v_mov_b32_e32 v60, v38
	v_mov_b32_e32 v34, v55
.LBB19_678:                             ;   in Loop: Header=BB19_551 Depth=3
	s_or_b64 exec, exec, s[26:27]
	v_lshlrev_b32_e32 v0, 13, v0
	v_cmp_ne_u32_e32 vcc, v19, v0
	s_mov_b64 s[28:29], 0
	v_mov_b32_e32 v16, 0
                                        ; implicit-def: $vgpr17
                                        ; implicit-def: $vgpr20
                                        ; implicit-def: $vgpr4
	s_and_saveexec_b64 s[26:27], vcc
	s_cbranch_execz .LBB19_686
; %bb.679:                              ;   in Loop: Header=BB19_551 Depth=3
	v_lshlrev_b32_e32 v1, 6, v1
	v_accvgpr_read_b32 v3, a41
	v_sub_u32_e32 v1, v3, v1
	v_ashrrev_i32_e32 v3, 31, v1
	v_lshrrev_b32_e32 v3, 26, v3
	v_add_u32_e32 v3, v1, v3
	v_ashrrev_i32_e32 v5, 6, v3
	v_and_b32_e32 v3, 0xffffffc0, v3
	v_sub_u32_e32 v1, v1, v3
	v_sub_u32_e32 v2, v19, v0
	v_lshlrev_b32_e32 v3, 4, v1
	v_lshl_add_u32 v4, v5, 10, v3
	v_ashrrev_i32_e32 v3, 31, v2
	v_lshrrev_b32_e32 v3, 22, v3
	v_add_u32_e32 v3, v2, v3
	v_and_b32_e32 v6, 0xfffffc00, v3
	v_sub_u32_e32 v8, v2, v6
	v_ashrrev_i32_e32 v7, 10, v3
	v_cmp_lt_i32_e32 vcc, 15, v8
	v_sub_u32_e32 v9, v2, v4
	s_nop 0
	v_addc_co_u32_e64 v2, s[24:25], 0, v7, vcc
	v_sub_u32_e32 v7, v2, v5
	v_cmp_lt_i32_e64 s[24:25], 15, v9
	s_and_saveexec_b64 s[28:29], s[24:25]
	s_cbranch_execz .LBB19_683
; %bb.680:                              ;   in Loop: Header=BB19_551 Depth=3
	s_trap 2
	ds_read_b64 v[2:3], v0
	v_add_u32_e32 v4, v4, v0
	v_ashrrev_i32_e32 v5, 31, v4
	s_mov_b64 s[56:57], 0
.LBB19_681:                             ;   Parent Loop BB19_81 Depth=1
                                        ;     Parent Loop BB19_548 Depth=2
                                        ;       Parent Loop BB19_551 Depth=3
                                        ; =>      This Inner Loop Header: Depth=4
	s_waitcnt lgkmcnt(0)
	v_lshl_add_u64 v[16:17], v[2:3], 0, v[4:5]
	global_load_dwordx4 v[10:13], v[16:17], off nt
	v_sub_u32_e32 v9, v9, v61
	v_cmp_gt_i32_e64 s[24:25], 16, v9
	v_sub_u32_e32 v7, v7, v48
	v_lshl_add_u64 v[4:5], v[4:5], 0, v[52:53]
	s_or_b64 s[56:57], s[24:25], s[56:57]
	s_waitcnt vmcnt(0)
	global_store_dwordx4 v[16:17], v[10:13], off nt
	s_andn2_b64 exec, exec, s[56:57]
	s_cbranch_execnz .LBB19_681
; %bb.682:                              ;   in Loop: Header=BB19_551 Depth=3
	s_or_b64 exec, exec, s[56:57]
	v_accvgpr_read_b32 v12, a42
	v_accvgpr_read_b32 v13, a43
.LBB19_683:                             ;   in Loop: Header=BB19_551 Depth=3
	s_or_b64 exec, exec, s[28:29]
	v_and_b32_e32 v2, 15, v19
	v_cndmask_b32_e32 v17, v8, v2, vcc
	v_cmp_ne_u32_e64 s[24:25], 0, v17
	s_mov_b64 s[28:29], 0
	v_mov_b32_e32 v16, 0
                                        ; implicit-def: $vgpr20
                                        ; implicit-def: $vgpr4
	s_and_saveexec_b64 s[56:57], s[24:25]
	s_cbranch_execz .LBB19_685
; %bb.684:                              ;   in Loop: Header=BB19_551 Depth=3
	v_sub_u32_e32 v2, v8, v2
	v_cndmask_b32_e32 v2, 0, v2, vcc
	v_cmp_lt_i32_e32 vcc, 0, v7
	v_add3_u32 v16, v6, v0, v2
	s_mov_b64 s[28:29], exec
	v_cndmask_b32_e32 v0, 0, v48, vcc
	v_sub_u32_e32 v0, v0, v7
	v_lshl_add_u32 v20, v0, 6, v1
	v_ashrrev_i32_e32 v0, 31, v20
	v_lshrrev_b32_e32 v0, 26, v0
	v_add_u32_e32 v0, v20, v0
	v_ashrrev_i32_e32 v4, 6, v0
.LBB19_685:                             ;   in Loop: Header=BB19_551 Depth=3
	s_or_b64 exec, exec, s[56:57]
	s_and_b64 s[28:29], s[28:29], exec
.LBB19_686:                             ;   in Loop: Header=BB19_551 Depth=3
	s_or_b64 exec, exec, s[26:27]
	s_and_saveexec_b64 s[24:25], s[28:29]
	s_cbranch_execz .LBB19_669
.LBB19_687:                             ;   in Loop: Header=BB19_551 Depth=3
	v_ashrrev_i32_e32 v0, 31, v17
	v_lshrrev_b32_e32 v0, 21, v0
	v_add_u32_e32 v0, v17, v0
	v_ashrrev_i32_e32 v1, 11, v0
	v_sub_u32_e32 v0, v1, v4
	v_cmp_lt_i32_e32 vcc, 0, v0
	s_and_saveexec_b64 s[26:27], vcc
	s_cbranch_execz .LBB19_691
; %bb.688:                              ;   in Loop: Header=BB19_551 Depth=3
	v_ashrrev_i32_e32 v5, 31, v20
	s_trap 2
	ds_read_b64 v[2:3], v0
	v_lshrrev_b32_e32 v5, 26, v5
	v_add_u32_e32 v5, v20, v5
	v_and_b32_e32 v5, 0xffffffc0, v5
	v_sub_u32_e32 v5, v20, v5
	v_lshlrev_b32_e32 v4, 11, v4
	v_add3_u32 v4, v16, v5, v4
	v_ashrrev_i32_e32 v5, 31, v4
	s_mov_b64 s[28:29], 0
	s_waitcnt lgkmcnt(0)
	v_mov_b64_e32 v[6:7], v[2:3]
.LBB19_689:                             ;   Parent Loop BB19_81 Depth=1
                                        ;     Parent Loop BB19_548 Depth=2
                                        ;       Parent Loop BB19_551 Depth=3
                                        ; =>      This Inner Loop Header: Depth=4
	v_lshl_add_u64 v[8:9], v[4:5], 0, v[6:7]
	flat_load_ubyte v12, v[8:9] nt
	flat_load_ubyte v13, v[8:9] offset:64 nt
	flat_load_ubyte v21, v[8:9] offset:128 nt
	;; [unrolled: 1-line block ×8, first 2 shown]
	s_waitcnt vmcnt(0)
	flat_load_ubyte v30, v[8:9] offset:576 nt
	flat_load_ubyte v31, v[8:9] offset:640 nt
	flat_load_ubyte v32, v[8:9] offset:704 nt
	flat_load_ubyte v33, v[8:9] offset:768 nt
	flat_load_ubyte v34, v[8:9] offset:832 nt
	flat_load_ubyte v35, v[8:9] offset:896 nt
	flat_load_ubyte v38, v[8:9] offset:960 nt
	flat_load_ubyte v52, v[8:9] offset:1024 nt
	flat_load_ubyte v53, v[8:9] offset:1088 nt
	flat_load_ubyte v55, v[8:9] offset:1152 nt
	flat_load_ubyte v40, v[8:9] offset:1216 nt
	flat_load_ubyte v41, v[8:9] offset:1280 nt
	flat_load_ubyte v42, v[8:9] offset:1344 nt
	flat_load_ubyte v43, v[8:9] offset:1408 nt
	flat_load_ubyte v44, v[8:9] offset:1472 nt
	flat_load_ubyte v45, v[8:9] offset:1536 nt
	flat_load_ubyte v46, v[8:9] offset:1600 nt
	flat_load_ubyte v47, v[8:9] offset:1664 nt
	flat_load_ubyte v58, v[8:9] offset:1728 nt
	flat_load_ubyte v59, v[8:9] offset:1792 nt
	flat_load_ubyte v60, v[8:9] offset:1856 nt
	flat_load_ubyte v61, v[8:9] offset:1920 nt
	s_nop 0
	flat_load_ubyte v8, v[8:9] offset:1984 nt
	v_sub_u32_e32 v0, v0, v48
	v_cmp_gt_i32_e32 vcc, 1, v0
	v_lshl_add_u64 v[10:11], v[4:5], 0, v[2:3]
	v_lshl_add_u64 v[6:7], v[6:7], 0, v[56:57]
	;; [unrolled: 1-line block ×3, first 2 shown]
	s_or_b64 s[28:29], vcc, s[28:29]
	s_waitcnt lgkmcnt(0)
	flat_store_byte v[10:11], v12 nt
	flat_store_byte v[10:11], v13 offset:64 nt
	flat_store_byte v[10:11], v21 offset:128 nt
	;; [unrolled: 1-line block ×8, first 2 shown]
	s_waitcnt vmcnt(0)
	flat_store_byte v[10:11], v30 offset:576 nt
	flat_store_byte v[10:11], v31 offset:640 nt
	;; [unrolled: 1-line block ×23, first 2 shown]
	s_andn2_b64 exec, exec, s[28:29]
	s_cbranch_execnz .LBB19_689
; %bb.690:                              ;   in Loop: Header=BB19_551 Depth=3
	s_or_b64 exec, exec, s[28:29]
	scratch_load_dwordx2 v[30:31], off, s33 offset:172 ; 8-byte Folded Reload
	v_accvgpr_read_b32 v33, a21
	v_accvgpr_read_b32 v43, a25
	;; [unrolled: 1-line block ×14, first 2 shown]
	v_mov_b32_e32 v46, 1
	v_accvgpr_read_b32 v61, a29
	v_accvgpr_read_b32 v25, a35
	;; [unrolled: 1-line block ×8, first 2 shown]
.LBB19_691:                             ;   in Loop: Header=BB19_551 Depth=3
	s_or_b64 exec, exec, s[26:27]
	v_lshlrev_b32_e32 v1, 11, v1
	v_cmp_ne_u32_e32 vcc, v17, v1
	s_and_saveexec_b64 s[26:27], vcc
	s_cbranch_execz .LBB19_695
; %bb.692:                              ;   in Loop: Header=BB19_551 Depth=3
	v_ashrrev_i32_e32 v2, 31, v20
	v_lshrrev_b32_e32 v2, 26, v2
	v_add_u32_e32 v2, v20, v2
	v_and_b32_e32 v2, 0xffffffc0, v2
	v_sub_u32_e32 v2, v20, v2
	v_lshlrev_b32_e32 v0, 6, v0
	v_sub_u32_e32 v0, v2, v0
	v_add_u32_e32 v1, v1, v0
	v_sub_u32_e32 v0, v17, v1
	v_cmp_lt_i32_e32 vcc, 0, v0
	s_and_b64 exec, exec, vcc
	s_cbranch_execz .LBB19_695
; %bb.693:                              ;   in Loop: Header=BB19_551 Depth=3
	s_trap 2
	ds_read_b64 v[2:3], v0
	v_add_u32_e32 v4, v1, v16
	v_ashrrev_i32_e32 v5, 31, v4
	s_mov_b64 s[28:29], 0
.LBB19_694:                             ;   Parent Loop BB19_81 Depth=1
                                        ;     Parent Loop BB19_548 Depth=2
                                        ;       Parent Loop BB19_551 Depth=3
                                        ; =>      This Inner Loop Header: Depth=4
	s_waitcnt lgkmcnt(0)
	v_lshl_add_u64 v[6:7], v[2:3], 0, v[4:5]
	flat_load_ubyte v1, v[6:7] nt
	v_sub_u32_e32 v0, v0, v34
	v_cmp_gt_i32_e32 vcc, 1, v0
	v_lshl_add_u64 v[4:5], v[4:5], 0, v[28:29]
	s_or_b64 s[28:29], vcc, s[28:29]
	s_waitcnt vmcnt(0) lgkmcnt(0)
	flat_store_byte v[6:7], v1 nt
	s_andn2_b64 exec, exec, s[28:29]
	s_cbranch_execnz .LBB19_694
.LBB19_695:                             ;   in Loop: Header=BB19_551 Depth=3
	s_or_b64 exec, exec, s[26:27]
	s_or_b64 exec, exec, s[24:25]
	s_and_saveexec_b64 s[24:25], s[4:5]
	s_cbranch_execnz .LBB19_625
	s_branch .LBB19_670
.LBB19_696:                             ;   in Loop: Header=BB19_551 Depth=3
	s_or_b64 exec, exec, s[58:59]
	s_and_saveexec_b64 vcc, s[60:61]
	s_xor_b64 vcc, exec, vcc
	s_cbranch_execz .LBB19_698
; %bb.697:                              ;   in Loop: Header=BB19_551 Depth=3
	ds_write_b32 v0, v46
	s_trap 2
.LBB19_698:                             ;   in Loop: Header=BB19_551 Depth=3
	s_or_b64 exec, exec, s[56:57]
	;;#ASMSTART
	s_wakeup
	;;#ASMEND
.LBB19_699:                             ;   in Loop: Header=BB19_551 Depth=3
	s_or_b64 exec, exec, s[28:29]
.LBB19_700:                             ;   in Loop: Header=BB19_551 Depth=3
	s_andn2_saveexec_b64 s[26:27], s[26:27]
	s_cbranch_execz .LBB19_702
; %bb.701:                              ;   in Loop: Header=BB19_551 Depth=3
	s_waitcnt lgkmcnt(0)
	s_barrier
.LBB19_702:                             ;   in Loop: Header=BB19_551 Depth=3
	s_or_b64 exec, exec, s[26:27]
	s_or_b64 exec, exec, s[24:25]
                                        ; implicit-def: $vgpr0
	s_and_saveexec_b64 s[24:25], s[20:21]
	s_xor_b64 s[26:27], exec, s[24:25]
	s_cbranch_execnz .LBB19_671
.LBB19_703:                             ;   in Loop: Header=BB19_551 Depth=3
	s_andn2_saveexec_b64 s[24:25], s[26:27]
	s_cbranch_execz .LBB19_722
.LBB19_704:                             ;   in Loop: Header=BB19_551 Depth=3
	s_and_saveexec_b64 s[26:27], s[40:41]
	s_xor_b64 s[26:27], exec, s[26:27]
	s_cbranch_execz .LBB19_719
; %bb.705:                              ;   in Loop: Header=BB19_551 Depth=3
	s_and_saveexec_b64 s[28:29], s[12:13]
	s_cbranch_execz .LBB19_718
; %bb.706:                              ;   in Loop: Header=BB19_551 Depth=3
	s_mov_b64 s[58:59], exec
	v_mbcnt_lo_u32_b32 v0, s58, 0
	v_mbcnt_hi_u32_b32 v0, s59, v0
	v_cmp_eq_u32_e32 vcc, 0, v0
	;;#ASMSTART
	s_waitcnt lgkmcnt(0) vmcnt(0)
	;;#ASMEND
	s_and_saveexec_b64 s[56:57], vcc
	s_cbranch_execz .LBB19_708
; %bb.707:                              ;   in Loop: Header=BB19_551 Depth=3
	s_bcnt1_i32_b64 vcc_lo, s[58:59]
	v_mov_b32_e32 v38, vcc_lo
	ds_add_u64 v0, v[38:39]
	s_trap 2
.LBB19_708:                             ;   in Loop: Header=BB19_551 Depth=3
	s_or_b64 exec, exec, s[56:57]
	s_trap 2
	ds_read_b64 v[0:1], v0
	v_lshl_add_u64 v[14:15], v[14:15], 0, v[48:49]
	s_waitcnt lgkmcnt(0)
	v_cmp_lt_u64_e32 vcc, v[0:1], v[14:15]
	s_and_saveexec_b64 s[56:57], vcc
	s_cbranch_execz .LBB19_717
; %bb.709:                              ;   in Loop: Header=BB19_551 Depth=3
	s_mov_b32 s77, 0
	s_mov_b64 s[58:59], 0
                                        ; implicit-def: $sgpr60_sgpr61
                                        ; implicit-def: $sgpr62_sgpr63
	s_branch .LBB19_711
.LBB19_710:                             ;   in Loop: Header=BB19_711 Depth=4
	s_or_b64 exec, exec, s[66:67]
	s_and_b64 vcc, exec, vcc
	s_or_b64 s[58:59], vcc, s[58:59]
	s_andn2_b64 vcc, s[60:61], exec
	s_and_b64 s[60:61], s[62:63], exec
	s_or_b64 s[60:61], vcc, s[60:61]
	s_andn2_b64 exec, exec, s[58:59]
	s_cbranch_execz .LBB19_715
.LBB19_711:                             ;   Parent Loop BB19_81 Depth=1
                                        ;     Parent Loop BB19_548 Depth=2
                                        ;       Parent Loop BB19_551 Depth=3
                                        ; =>      This Inner Loop Header: Depth=4
	s_add_i32 s77, s77, 1
	s_cmpk_lg_i32 s77, 0x2710
	s_cselect_b64 s[64:65], -1, 0
	s_and_b64 vcc, exec, s[64:65]
                                        ; implicit-def: $sgpr66_sgpr67
	s_cbranch_vccnz .LBB19_713
; %bb.712:                              ;   in Loop: Header=BB19_711 Depth=4
	s_trap 2
	ds_read_b64 v[0:1], v0
	s_andn2_b64 s[64:65], s[64:65], exec
	s_mov_b32 s77, 0
	s_mov_b64 s[66:67], -1
	s_waitcnt vmcnt(0) lgkmcnt(0)
	flat_load_dword v0, v[0:1] sc0 sc1
	s_waitcnt vmcnt(0) lgkmcnt(0)
	buffer_inv sc0 sc1
	v_cmp_eq_u32_e32 vcc, 0, v0
	s_and_b64 vcc, vcc, exec
	s_or_b64 s[64:65], s[64:65], vcc
.LBB19_713:                             ;   in Loop: Header=BB19_711 Depth=4
	s_andn2_b64 s[62:63], s[62:63], exec
	s_and_b64 s[66:67], s[66:67], exec
	s_mov_b64 vcc, -1
	s_or_b64 s[62:63], s[62:63], s[66:67]
	s_and_saveexec_b64 s[66:67], s[64:65]
	s_cbranch_execz .LBB19_710
; %bb.714:                              ;   in Loop: Header=BB19_711 Depth=4
	s_sleep 1
	s_trap 2
	ds_read_b64 v[0:1], v0
	s_andn2_b64 s[62:63], s[62:63], exec
	s_waitcnt lgkmcnt(0)
	v_cmp_ge_u64_e32 vcc, v[0:1], v[14:15]
	s_orn2_b64 vcc, vcc, exec
	s_branch .LBB19_710
.LBB19_715:                             ;   in Loop: Header=BB19_551 Depth=3
	s_or_b64 exec, exec, s[58:59]
	s_and_saveexec_b64 vcc, s[60:61]
	s_xor_b64 vcc, exec, vcc
	s_cbranch_execz .LBB19_717
; %bb.716:                              ;   in Loop: Header=BB19_551 Depth=3
	ds_write_b32 v0, v46
	s_trap 2
.LBB19_717:                             ;   in Loop: Header=BB19_551 Depth=3
	s_or_b64 exec, exec, s[56:57]
	;;#ASMSTART
	s_wakeup
	;;#ASMEND
.LBB19_718:                             ;   in Loop: Header=BB19_551 Depth=3
	s_or_b64 exec, exec, s[28:29]
.LBB19_719:                             ;   in Loop: Header=BB19_551 Depth=3
	s_andn2_saveexec_b64 s[26:27], s[26:27]
	s_cbranch_execz .LBB19_721
; %bb.720:                              ;   in Loop: Header=BB19_551 Depth=3
	;;#ASMSTART
	s_waitcnt lgkmcnt(0) vmcnt(0)
	;;#ASMEND
	s_barrier
.LBB19_721:                             ;   in Loop: Header=BB19_551 Depth=3
	s_or_b64 exec, exec, s[26:27]
	v_and_b32_e32 v0, 16, v62
.LBB19_722:                             ;   in Loop: Header=BB19_551 Depth=3
	s_or_b64 exec, exec, s[24:25]
	v_cmp_ne_u32_e32 vcc, 0, v0
	s_xor_b64 s[24:25], s[6:7], -1
	s_and_b64 s[26:27], vcc, s[24:25]
	s_and_saveexec_b64 s[24:25], s[26:27]
	s_cbranch_execz .LBB19_724
; %bb.723:                              ;   in Loop: Header=BB19_551 Depth=3
	flat_store_dword v[58:59], v46 sc0 sc1
.LBB19_724:                             ;   in Loop: Header=BB19_551 Depth=3
	s_or_b64 exec, exec, s[24:25]
	v_and_b32_e32 v0, 48, v62
	v_cmp_ne_u32_e32 vcc, 0, v0
	s_and_saveexec_b64 s[24:25], vcc
	s_cbranch_execz .LBB19_550
; %bb.725:                              ;   in Loop: Header=BB19_551 Depth=3
	v_lshl_add_u64 v[50:51], v[50:51], 0, 2
	flat_store_dwordx2 v[26:27], v[50:51] sc0 sc1
	s_branch .LBB19_550
.LBB19_726:                             ;   in Loop: Header=BB19_548 Depth=2
	s_or_b64 exec, exec, s[50:51]
	v_cmp_gt_i32_e32 vcc, 2, v0
	s_and_saveexec_b64 s[26:27], vcc
	s_cbranch_execz .LBB19_800
.LBB19_727:                             ;   in Loop: Header=BB19_548 Depth=2
	v_cmp_eq_u32_e64 s[24:25], 0, v0
	s_mov_b64 s[28:29], 0
	s_branch .LBB19_729
.LBB19_728:                             ;   in Loop: Header=BB19_729 Depth=3
	s_or_b64 exec, exec, s[24:25]
	v_add_u32_e32 v54, v18, v54
	s_mov_b64 s[24:25], 0
	s_andn2_b64 exec, exec, s[28:29]
	s_cbranch_execz .LBB19_801
.LBB19_729:                             ;   Parent Loop BB19_81 Depth=1
                                        ;     Parent Loop BB19_548 Depth=2
                                        ; =>    This Loop Header: Depth=3
                                        ;         Child Loop BB19_735 Depth 4
                                        ;         Child Loop BB19_773 Depth 4
	;; [unrolled: 1-line block ×3, first 2 shown]
	v_and_b32_e32 v0, 12, v62
	s_mov_b64 s[52:53], -1
	v_cmp_ne_u32_e32 vcc, 0, v0
	s_and_saveexec_b64 s[50:51], vcc
	s_cbranch_execz .LBB19_741
; %bb.730:                              ;   in Loop: Header=BB19_729 Depth=3
	v_and_b32_e32 v38, 8, v62
	v_lshl_add_u64 v[0:1], v[36:37], 0, v[38:39]
	v_lshl_add_u64 v[2:3], v[50:51], 0, 2
	v_cmp_lt_u64_e32 vcc, v[0:1], v[2:3]
	v_mov_b32_e32 v0, 1
	s_and_saveexec_b64 s[52:53], vcc
	s_cbranch_execz .LBB19_740
; %bb.731:                              ;   in Loop: Header=BB19_729 Depth=3
	s_mov_b64 s[54:55], 0
	v_mov_b32_e32 v0, 0
                                        ; implicit-def: $sgpr56_sgpr57
	s_branch .LBB19_735
.LBB19_732:                             ;   in Loop: Header=BB19_735 Depth=4
	s_or_b64 exec, exec, s[64:65]
	v_mov_b32_e32 v1, 0
	s_orn2_b64 s[62:63], s[62:63], exec
.LBB19_733:                             ;   in Loop: Header=BB19_735 Depth=4
	s_or_b64 exec, exec, s[60:61]
	s_andn2_b64 vcc, s[56:57], exec
	s_and_b64 s[56:57], s[62:63], exec
	s_or_b64 s[56:57], vcc, s[56:57]
	v_mov_b32_e32 v0, v1
.LBB19_734:                             ;   in Loop: Header=BB19_735 Depth=4
	s_or_b64 exec, exec, s[58:59]
	s_waitcnt vmcnt(0) lgkmcnt(0)
	v_lshl_add_u64 v[4:5], v[36:37], 0, v[38:39]
	v_cmp_ge_u64_e32 vcc, v[4:5], v[2:3]
	s_xor_b64 s[58:59], s[56:57], -1
	s_or_b64 vcc, s[58:59], vcc
	s_and_b64 vcc, exec, vcc
	s_or_b64 s[54:55], vcc, s[54:55]
	s_andn2_b64 exec, exec, s[54:55]
	s_cbranch_execz .LBB19_739
.LBB19_735:                             ;   Parent Loop BB19_81 Depth=1
                                        ;     Parent Loop BB19_548 Depth=2
                                        ;       Parent Loop BB19_729 Depth=3
                                        ; =>      This Inner Loop Header: Depth=4
	s_sleep 1
	flat_load_dwordx2 v[36:37], v[26:27] sc0 sc1
	v_and_b32_e32 v1, 64, v62
	v_cmp_eq_u32_e32 vcc, 0, v1
	s_andn2_b64 s[56:57], s[56:57], exec
	s_and_saveexec_b64 s[58:59], vcc
	s_cbranch_execz .LBB19_734
; %bb.736:                              ;   in Loop: Header=BB19_735 Depth=4
	v_add_u32_e32 v1, 1, v0
	v_cmp_lt_i32_e32 vcc, s73, v0
	s_mov_b64 s[62:63], -1
	s_and_saveexec_b64 s[60:61], vcc
	s_cbranch_execz .LBB19_733
; %bb.737:                              ;   in Loop: Header=BB19_735 Depth=4
	s_trap 2
	ds_read_b64 v[0:1], v0
	s_waitcnt vmcnt(0) lgkmcnt(0)
	flat_load_dword v0, v[0:1] sc0 sc1
	s_waitcnt vmcnt(0) lgkmcnt(0)
	buffer_inv sc0 sc1
	v_cmp_ne_u32_e32 vcc, 0, v0
	s_and_saveexec_b64 s[64:65], vcc
	s_cbranch_execz .LBB19_732
; %bb.738:                              ;   in Loop: Header=BB19_735 Depth=4
	v_or_b32_e32 v62, 64, v62
	s_xor_b64 s[62:63], exec, -1
	ds_write_b32 v0, v0
	s_trap 2
	s_branch .LBB19_732
.LBB19_739:                             ;   in Loop: Header=BB19_729 Depth=3
	s_or_b64 exec, exec, s[54:55]
	v_and_b32_e32 v0, 12, v62
.LBB19_740:                             ;   in Loop: Header=BB19_729 Depth=3
	s_or_b64 exec, exec, s[52:53]
	v_cmp_eq_u32_e32 vcc, 0, v0
	s_orn2_b64 s[52:53], vcc, exec
	;;#ASMSTART
	s_wakeup
	;;#ASMEND
.LBB19_741:                             ;   in Loop: Header=BB19_729 Depth=3
	s_or_b64 exec, exec, s[50:51]
	s_xor_b64 s[24:25], s[24:25], -1
	s_and_b64 s[24:25], exec, s[24:25]
	s_or_b64 s[28:29], s[24:25], s[28:29]
	v_sub_u32_e32 v0, v44, v54
	s_xor_b64 s[24:25], s[52:53], -1
	v_min_i32_e32 v18, v18, v0
	s_and_saveexec_b64 s[50:51], s[24:25]
	s_cbranch_execz .LBB19_765
; %bb.742:                              ;   in Loop: Header=BB19_729 Depth=3
	v_and_b32_e32 v0, 0x108, v62
	v_cmp_ne_u32_e32 vcc, s74, v0
	v_and_b32_e32 v2, 7, v50
	s_and_saveexec_b64 s[24:25], vcc
	s_xor_b64 s[24:25], exec, s[24:25]
	s_andn2_saveexec_b64 s[24:25], s[24:25]
	s_cbranch_execz .LBB19_744
; %bb.743:                              ;   in Loop: Header=BB19_729 Depth=3
	v_mad_u64_u32 v[0:1], vcc, v2, 24, v[32:33]
	v_ashrrev_i32_e32 v19, 31, v18
	flat_store_dwordx2 v[0:1], v[18:19] offset:8
.LBB19_744:                             ;   in Loop: Header=BB19_729 Depth=3
	s_or_b64 exec, exec, s[24:25]
	v_and_b32_e32 v0, 0x100, v62
	v_cmp_ne_u32_e32 vcc, 0, v0
	s_mov_b64 s[24:25], -1
                                        ; implicit-def: $vgpr4_vgpr5
	s_and_saveexec_b64 s[52:53], vcc
	s_cbranch_execz .LBB19_748
; %bb.745:                              ;   in Loop: Header=BB19_729 Depth=3
	v_mad_u64_u32 v[6:7], s[24:25], v2, 24, v[32:33]
	v_mov_b32_e32 v0, v7
	v_mad_u64_u32 v[0:1], s[24:25], v39, 24, v[0:1]
	v_mov_b32_e32 v7, v0
	flat_load_dword v0, v[6:7]
                                        ; implicit-def: $vgpr4_vgpr5
	s_waitcnt vmcnt(0) lgkmcnt(0)
	v_cmp_ne_u32_e32 vcc, 1, v0
	v_cmp_eq_u32_e64 s[24:25], 1, v0
	s_and_saveexec_b64 s[54:55], s[24:25]
	s_cbranch_execz .LBB19_747
; %bb.746:                              ;   in Loop: Header=BB19_729 Depth=3
	flat_load_dword v4, v[6:7] offset:4 sc0 sc1
	s_waitcnt vmcnt(0) lgkmcnt(0)
	v_ashrrev_i32_e32 v5, 31, v4
.LBB19_747:                             ;   in Loop: Header=BB19_729 Depth=3
	s_or_b64 exec, exec, s[54:55]
	s_orn2_b64 s[24:25], vcc, exec
.LBB19_748:                             ;   in Loop: Header=BB19_729 Depth=3
	s_or_b64 exec, exec, s[52:53]
	s_and_saveexec_b64 vcc, s[24:25]
; %bb.749:                              ;   in Loop: Header=BB19_729 Depth=3
	v_mul_lo_u32 v0, v39, v40
	v_mul_lo_u32 v1, v2, v47
	v_mad_u64_u32 v[4:5], s[24:25], v2, v40, 0
	v_add3_u32 v5, v5, v1, v0
; %bb.750:                              ;   in Loop: Header=BB19_729 Depth=3
	s_or_b64 exec, exec, vcc
	v_lshl_add_u64 v[0:1], v[42:43], 0, v[4:5]
	s_trap 2
	ds_write_b64 v0, v[0:1]
	v_and_b32_e32 v0, 0x2000, v62
	v_cmp_ne_u32_e32 vcc, 0, v0
	s_and_saveexec_b64 s[24:25], vcc
	s_cbranch_execz .LBB19_752
; %bb.751:                              ;   in Loop: Header=BB19_729 Depth=3
	ds_read_b64 v[0:1], v0 offset:584
	s_waitcnt lgkmcnt(0)
	v_lshl_add_u64 v[0:1], v[0:1], 0, 1
	ds_write_b64 v0, v[0:1] offset:584
.LBB19_752:                             ;   in Loop: Header=BB19_729 Depth=3
	s_or_b64 exec, exec, s[24:25]
	v_lshl_add_u64 v[50:51], v[50:51], 0, 2
	s_or_b64 exec, exec, s[50:51]
	s_and_saveexec_b64 s[24:25], s[4:5]
	s_cbranch_execnz .LBB19_766
.LBB19_753:                             ;   in Loop: Header=BB19_729 Depth=3
	s_or_b64 exec, exec, s[24:25]
                                        ; implicit-def: $vgpr0
	s_and_saveexec_b64 s[24:25], s[48:49]
	s_xor_b64 s[24:25], exec, s[24:25]
	s_cbranch_execz .LBB19_791
.LBB19_754:                             ;   in Loop: Header=BB19_729 Depth=3
	s_and_saveexec_b64 vcc, s[40:41]
	s_xor_b64 s[50:51], exec, vcc
	s_cbranch_execz .LBB19_781
; %bb.755:                              ;   in Loop: Header=BB19_729 Depth=3
	s_and_saveexec_b64 s[52:53], s[12:13]
	s_cbranch_execz .LBB19_780
; %bb.756:                              ;   in Loop: Header=BB19_729 Depth=3
	s_mov_b64 s[56:57], exec
	v_mbcnt_lo_u32_b32 v0, s56, 0
	v_mbcnt_hi_u32_b32 v0, s57, v0
	v_cmp_eq_u32_e32 vcc, 0, v0
	;;#ASMSTART
	s_waitcnt lgkmcnt(0) vmcnt(0)
	;;#ASMEND
	s_and_saveexec_b64 s[54:55], vcc
	s_cbranch_execz .LBB19_758
; %bb.757:                              ;   in Loop: Header=BB19_729 Depth=3
	s_bcnt1_i32_b64 vcc_lo, s[56:57]
	v_mov_b32_e32 v38, vcc_lo
	ds_add_u64 v0, v[38:39]
	s_trap 2
.LBB19_758:                             ;   in Loop: Header=BB19_729 Depth=3
	s_or_b64 exec, exec, s[54:55]
	s_trap 2
	ds_read_b64 v[0:1], v0
	v_lshl_add_u64 v[14:15], v[14:15], 0, v[48:49]
	s_waitcnt lgkmcnt(0)
	v_cmp_lt_u64_e32 vcc, v[0:1], v[14:15]
	s_and_saveexec_b64 s[54:55], vcc
	s_cbranch_execz .LBB19_779
; %bb.759:                              ;   in Loop: Header=BB19_729 Depth=3
	s_mov_b32 s66, 0
	s_mov_b64 s[56:57], 0
                                        ; implicit-def: $sgpr58_sgpr59
                                        ; implicit-def: $sgpr60_sgpr61
	s_branch .LBB19_761
.LBB19_760:                             ;   in Loop: Header=BB19_761 Depth=4
	s_or_b64 exec, exec, s[64:65]
	s_and_b64 vcc, exec, vcc
	s_or_b64 s[56:57], vcc, s[56:57]
	s_andn2_b64 vcc, s[58:59], exec
	s_and_b64 s[58:59], s[60:61], exec
	s_or_b64 s[58:59], vcc, s[58:59]
	s_andn2_b64 exec, exec, s[56:57]
	s_cbranch_execz .LBB19_777
.LBB19_761:                             ;   Parent Loop BB19_81 Depth=1
                                        ;     Parent Loop BB19_548 Depth=2
                                        ;       Parent Loop BB19_729 Depth=3
                                        ; =>      This Inner Loop Header: Depth=4
	s_add_i32 s66, s66, 1
	s_cmpk_lg_i32 s66, 0x2710
	s_cselect_b64 s[62:63], -1, 0
	s_and_b64 vcc, exec, s[62:63]
                                        ; implicit-def: $sgpr64_sgpr65
	s_cbranch_vccnz .LBB19_763
; %bb.762:                              ;   in Loop: Header=BB19_761 Depth=4
	s_trap 2
	ds_read_b64 v[0:1], v0
	s_andn2_b64 s[62:63], s[62:63], exec
	s_mov_b32 s66, 0
	s_mov_b64 s[64:65], -1
	s_waitcnt vmcnt(0) lgkmcnt(0)
	flat_load_dword v0, v[0:1] sc0 sc1
	s_waitcnt vmcnt(0) lgkmcnt(0)
	buffer_inv sc0 sc1
	v_cmp_eq_u32_e32 vcc, 0, v0
	s_and_b64 vcc, vcc, exec
	s_or_b64 s[62:63], s[62:63], vcc
.LBB19_763:                             ;   in Loop: Header=BB19_761 Depth=4
	s_andn2_b64 s[60:61], s[60:61], exec
	s_and_b64 s[64:65], s[64:65], exec
	s_mov_b64 vcc, -1
	s_or_b64 s[60:61], s[60:61], s[64:65]
	s_and_saveexec_b64 s[64:65], s[62:63]
	s_cbranch_execz .LBB19_760
; %bb.764:                              ;   in Loop: Header=BB19_761 Depth=4
	s_sleep 1
	s_trap 2
	ds_read_b64 v[0:1], v0
	s_andn2_b64 s[60:61], s[60:61], exec
	s_waitcnt lgkmcnt(0)
	v_cmp_ge_u64_e32 vcc, v[0:1], v[14:15]
	s_orn2_b64 vcc, vcc, exec
	s_branch .LBB19_760
.LBB19_765:                             ;   in Loop: Header=BB19_729 Depth=3
	s_or_b64 exec, exec, s[50:51]
	s_and_saveexec_b64 s[24:25], s[4:5]
	s_cbranch_execz .LBB19_753
.LBB19_766:                             ;   in Loop: Header=BB19_729 Depth=3
	s_and_saveexec_b64 vcc, s[40:41]
	s_xor_b64 s[50:51], exec, vcc
	s_cbranch_execz .LBB19_788
; %bb.767:                              ;   in Loop: Header=BB19_729 Depth=3
	s_and_saveexec_b64 s[52:53], s[12:13]
	s_cbranch_execz .LBB19_787
; %bb.768:                              ;   in Loop: Header=BB19_729 Depth=3
	s_mov_b64 s[56:57], exec
	v_mbcnt_lo_u32_b32 v0, s56, 0
	v_mbcnt_hi_u32_b32 v0, s57, v0
	v_cmp_eq_u32_e32 vcc, 0, v0
	s_waitcnt lgkmcnt(0)
	s_and_saveexec_b64 s[54:55], vcc
	s_cbranch_execz .LBB19_770
; %bb.769:                              ;   in Loop: Header=BB19_729 Depth=3
	s_bcnt1_i32_b64 vcc_lo, s[56:57]
	v_mov_b32_e32 v38, vcc_lo
	ds_add_u64 v0, v[38:39]
	s_trap 2
.LBB19_770:                             ;   in Loop: Header=BB19_729 Depth=3
	s_or_b64 exec, exec, s[54:55]
	s_trap 2
	ds_read_b64 v[0:1], v0
	v_lshl_add_u64 v[14:15], v[14:15], 0, v[48:49]
	s_waitcnt lgkmcnt(0)
	v_cmp_lt_u64_e32 vcc, v[0:1], v[14:15]
	s_and_saveexec_b64 s[54:55], vcc
	s_cbranch_execz .LBB19_786
; %bb.771:                              ;   in Loop: Header=BB19_729 Depth=3
	s_mov_b32 s66, 0
	s_mov_b64 s[56:57], 0
                                        ; implicit-def: $sgpr58_sgpr59
                                        ; implicit-def: $sgpr60_sgpr61
	s_branch .LBB19_773
.LBB19_772:                             ;   in Loop: Header=BB19_773 Depth=4
	s_or_b64 exec, exec, s[64:65]
	s_and_b64 vcc, exec, vcc
	s_or_b64 s[56:57], vcc, s[56:57]
	s_andn2_b64 vcc, s[58:59], exec
	s_and_b64 s[58:59], s[60:61], exec
	s_or_b64 s[58:59], vcc, s[58:59]
	s_andn2_b64 exec, exec, s[56:57]
	s_cbranch_execz .LBB19_784
.LBB19_773:                             ;   Parent Loop BB19_81 Depth=1
                                        ;     Parent Loop BB19_548 Depth=2
                                        ;       Parent Loop BB19_729 Depth=3
                                        ; =>      This Inner Loop Header: Depth=4
	s_add_i32 s66, s66, 1
	s_cmpk_lg_i32 s66, 0x2710
	s_cselect_b64 s[62:63], -1, 0
	s_and_b64 vcc, exec, s[62:63]
                                        ; implicit-def: $sgpr64_sgpr65
	s_cbranch_vccnz .LBB19_775
; %bb.774:                              ;   in Loop: Header=BB19_773 Depth=4
	s_trap 2
	ds_read_b64 v[0:1], v0
	s_andn2_b64 s[62:63], s[62:63], exec
	s_mov_b32 s66, 0
	s_mov_b64 s[64:65], -1
	s_waitcnt vmcnt(0) lgkmcnt(0)
	flat_load_dword v0, v[0:1] sc0 sc1
	s_waitcnt vmcnt(0) lgkmcnt(0)
	buffer_inv sc0 sc1
	v_cmp_eq_u32_e32 vcc, 0, v0
	s_and_b64 vcc, vcc, exec
	s_or_b64 s[62:63], s[62:63], vcc
.LBB19_775:                             ;   in Loop: Header=BB19_773 Depth=4
	s_andn2_b64 s[60:61], s[60:61], exec
	s_and_b64 s[64:65], s[64:65], exec
	s_mov_b64 vcc, -1
	s_or_b64 s[60:61], s[60:61], s[64:65]
	s_and_saveexec_b64 s[64:65], s[62:63]
	s_cbranch_execz .LBB19_772
; %bb.776:                              ;   in Loop: Header=BB19_773 Depth=4
	s_sleep 1
	s_trap 2
	ds_read_b64 v[0:1], v0
	s_andn2_b64 s[60:61], s[60:61], exec
	s_waitcnt lgkmcnt(0)
	v_cmp_ge_u64_e32 vcc, v[0:1], v[14:15]
	s_orn2_b64 vcc, vcc, exec
	s_branch .LBB19_772
.LBB19_777:                             ;   in Loop: Header=BB19_729 Depth=3
	s_or_b64 exec, exec, s[56:57]
	s_and_saveexec_b64 vcc, s[58:59]
	s_xor_b64 vcc, exec, vcc
	s_cbranch_execz .LBB19_779
; %bb.778:                              ;   in Loop: Header=BB19_729 Depth=3
	ds_write_b32 v0, v46
	s_trap 2
.LBB19_779:                             ;   in Loop: Header=BB19_729 Depth=3
	s_or_b64 exec, exec, s[54:55]
	;;#ASMSTART
	s_wakeup
	;;#ASMEND
.LBB19_780:                             ;   in Loop: Header=BB19_729 Depth=3
	s_or_b64 exec, exec, s[52:53]
.LBB19_781:                             ;   in Loop: Header=BB19_729 Depth=3
	s_andn2_saveexec_b64 vcc, s[50:51]
	s_cbranch_execz .LBB19_783
; %bb.782:                              ;   in Loop: Header=BB19_729 Depth=3
	;;#ASMSTART
	s_waitcnt lgkmcnt(0) vmcnt(0)
	;;#ASMEND
	s_barrier
.LBB19_783:                             ;   in Loop: Header=BB19_729 Depth=3
	s_or_b64 exec, exec, vcc
	v_and_b32_e32 v0, 16, v62
	s_andn2_saveexec_b64 s[24:25], s[24:25]
	s_cbranch_execz .LBB19_795
	s_branch .LBB19_792
.LBB19_784:                             ;   in Loop: Header=BB19_729 Depth=3
	s_or_b64 exec, exec, s[56:57]
	s_and_saveexec_b64 vcc, s[58:59]
	s_xor_b64 vcc, exec, vcc
	s_cbranch_execz .LBB19_786
; %bb.785:                              ;   in Loop: Header=BB19_729 Depth=3
	ds_write_b32 v0, v46
	s_trap 2
.LBB19_786:                             ;   in Loop: Header=BB19_729 Depth=3
	s_or_b64 exec, exec, s[54:55]
	;;#ASMSTART
	s_wakeup
	;;#ASMEND
.LBB19_787:                             ;   in Loop: Header=BB19_729 Depth=3
	s_or_b64 exec, exec, s[52:53]
.LBB19_788:                             ;   in Loop: Header=BB19_729 Depth=3
	s_andn2_saveexec_b64 vcc, s[50:51]
	s_cbranch_execz .LBB19_790
; %bb.789:                              ;   in Loop: Header=BB19_729 Depth=3
	s_waitcnt lgkmcnt(0)
	s_barrier
.LBB19_790:                             ;   in Loop: Header=BB19_729 Depth=3
	s_or_b64 exec, exec, vcc
	s_or_b64 exec, exec, s[24:25]
                                        ; implicit-def: $vgpr0
	s_and_saveexec_b64 s[24:25], s[48:49]
	s_xor_b64 s[24:25], exec, s[24:25]
	s_cbranch_execnz .LBB19_754
.LBB19_791:                             ;   in Loop: Header=BB19_729 Depth=3
	s_andn2_saveexec_b64 s[24:25], s[24:25]
	s_cbranch_execz .LBB19_795
.LBB19_792:                             ;   in Loop: Header=BB19_729 Depth=3
	s_trap 2
	ds_read_b32 v1, v0
	v_cmp_lt_i32_e32 vcc, 0, v18
	v_and_b32_e32 v2, 16, v62
	v_and_b32_e32 v0, 16, v62
	s_waitcnt lgkmcnt(0)
	v_readfirstlane_b32 s50, v1
	s_cmp_eq_u32 s50, 0
	s_cselect_b64 s[50:51], -1, 0
	s_and_b64 s[50:51], vcc, s[50:51]
	v_cmp_ne_u32_e32 vcc, 0, v2
	s_and_b64 s[50:51], vcc, s[50:51]
	s_and_saveexec_b64 vcc, s[50:51]
	s_cbranch_execz .LBB19_794
; %bb.793:                              ;   in Loop: Header=BB19_729 Depth=3
	v_mov_b32_e32 v0, 1
	buffer_wbl2 sc1
	s_waitcnt vmcnt(0)
	buffer_inv sc1
.LBB19_794:                             ;   in Loop: Header=BB19_729 Depth=3
	s_or_b64 exec, exec, vcc
.LBB19_795:                             ;   in Loop: Header=BB19_729 Depth=3
	s_or_b64 exec, exec, s[24:25]
	v_cmp_ne_u32_e32 vcc, 0, v0
	s_xor_b64 s[24:25], s[6:7], -1
	s_and_b64 vcc, vcc, s[24:25]
	s_and_saveexec_b64 s[24:25], vcc
	s_cbranch_execz .LBB19_797
; %bb.796:                              ;   in Loop: Header=BB19_729 Depth=3
	flat_store_dword v[58:59], v46 sc0 sc1
.LBB19_797:                             ;   in Loop: Header=BB19_729 Depth=3
	s_or_b64 exec, exec, s[24:25]
	v_and_b32_e32 v0, 48, v62
	v_cmp_ne_u32_e32 vcc, 0, v0
	s_and_saveexec_b64 s[24:25], vcc
	s_cbranch_execz .LBB19_728
; %bb.798:                              ;   in Loop: Header=BB19_729 Depth=3
	v_lshl_add_u64 v[50:51], v[50:51], 0, 2
	flat_store_dwordx2 v[26:27], v[50:51] sc0 sc1
	s_branch .LBB19_728
.LBB19_799:                             ;   in Loop: Header=BB19_548 Depth=2
	s_or_b64 exec, exec, s[52:53]
	s_or_b64 exec, exec, s[50:51]
	v_cmp_gt_i32_e32 vcc, 2, v0
	s_and_saveexec_b64 s[26:27], vcc
	s_cbranch_execnz .LBB19_727
.LBB19_800:                             ;   in Loop: Header=BB19_548 Depth=2
	s_or_b64 exec, exec, s[26:27]
	s_add_i32 s24, s68, 1
	s_cmp_eq_u32 s68, s76
	s_cbranch_scc0 .LBB19_802
	s_branch .LBB19_803
.LBB19_801:                             ;   in Loop: Header=BB19_548 Depth=2
	s_or_b64 exec, exec, s[28:29]
	s_or_b64 exec, exec, s[26:27]
	s_add_i32 s24, s68, 1
	s_cmp_eq_u32 s68, s76
	s_cbranch_scc1 .LBB19_803
.LBB19_802:                             ;   in Loop: Header=BB19_548 Depth=2
	s_mov_b32 s68, s24
	s_branch .LBB19_548
.LBB19_803:                             ;   in Loop: Header=BB19_81 Depth=1
	v_accvgpr_read_b32 v55, a47
	v_accvgpr_read_b32 v54, a46
	v_mov_b32_e32 v0, 0
	v_mov_b32_e32 v2, 0
	s_and_saveexec_b64 s[24:25], s[22:23]
	s_cbranch_execnz .LBB19_808
.LBB19_804:                             ;   in Loop: Header=BB19_81 Depth=1
	s_or_b64 exec, exec, s[24:25]
	v_cmp_gt_i32_e32 vcc, 2, v0
	s_and_saveexec_b64 s[24:25], vcc
	s_cbranch_execz .LBB19_80
	s_branch .LBB19_947
.LBB19_805:                             ;   in Loop: Header=BB19_81 Depth=1
	s_or_b64 exec, exec, s[50:51]
.LBB19_806:                             ;   in Loop: Header=BB19_81 Depth=1
	s_or_b64 exec, exec, s[28:29]
	s_or_b64 exec, exec, s[26:27]
	s_andn2_b64 vcc, exec, s[46:47]
	s_cbranch_vccz .LBB19_547
.LBB19_807:                             ;   in Loop: Header=BB19_81 Depth=1
	v_mov_b32_e32 v0, 0
	v_mov_b32_e32 v2, 0
	s_and_saveexec_b64 s[24:25], s[22:23]
	s_cbranch_execz .LBB19_804
.LBB19_808:                             ;   in Loop: Header=BB19_81 Depth=1
	v_accvgpr_read_b32 v0, a6
	v_accvgpr_read_b32 v1, a7
	flat_load_dword v0, v[0:1] offset:4
	v_accvgpr_read_b32 v2, a14
	v_accvgpr_read_b32 v4, a56
	;; [unrolled: 1-line block ×4, first 2 shown]
	s_mov_b32 s66, 1
	s_mov_b64 s[28:29], -1
	s_mov_b64 s[26:27], 0
	s_waitcnt vmcnt(0) lgkmcnt(0)
	v_ashrrev_i32_e32 v1, 31, v0
	v_mad_u64_u32 v[22:23], s[22:23], v2, v0, v[4:5]
	v_mul_lo_u32 v0, v3, v0
	v_mul_lo_u32 v1, v2, v1
	v_add3_u32 v23, v0, v23, v1
	v_accvgpr_write_b32 a55, v23
	v_mov_b32_e32 v2, 0
	v_accvgpr_write_b32 a54, v22
	s_branch .LBB19_810
.LBB19_809:                             ;   in Loop: Header=BB19_810 Depth=2
	s_or_b64 exec, exec, s[22:23]
	v_add_u32_e32 v2, v45, v2
	v_cmp_ge_i32_e32 vcc, v2, v44
	s_xor_b64 s[22:23], s[28:29], -1
	s_or_b64 s[22:23], s[22:23], vcc
	s_and_b64 s[22:23], exec, s[22:23]
	s_or_b64 s[26:27], s[22:23], s[26:27]
	s_mov_b64 s[28:29], 0
	v_mov_b32_e32 v0, s66
	s_mov_b32 s66, 2
	s_andn2_b64 exec, exec, s[26:27]
	s_cbranch_execz .LBB19_946
.LBB19_810:                             ;   Parent Loop BB19_81 Depth=1
                                        ; =>  This Loop Header: Depth=2
                                        ;       Child Loop BB19_818 Depth 3
                                        ;       Child Loop BB19_842 Depth 3
	;; [unrolled: 1-line block ×9, first 2 shown]
	s_and_saveexec_b64 s[22:23], s[0:1]
	s_cbranch_execz .LBB19_812
; %bb.811:                              ;   in Loop: Header=BB19_810 Depth=2
	s_trap 2
	ds_read_b128 v[6:9], v0
	v_ashrrev_i32_e32 v3, 31, v2
	s_waitcnt lgkmcnt(0)
	v_lshl_add_u64 v[0:1], v[6:7], 0, v[22:23]
	v_lshl_add_u64 v[6:7], v[8:9], 0, v[22:23]
	;; [unrolled: 1-line block ×4, first 2 shown]
	v_cmp_ne_u64_e32 vcc, 0, v[8:9]
	ds_write_b64 v0, v[0:1]
	s_nop 0
	v_cndmask_b32_e32 v1, 0, v7, vcc
	v_cndmask_b32_e32 v0, 0, v6, vcc
	ds_write_b64 v0, v[0:1]
.LBB19_812:                             ;   in Loop: Header=BB19_810 Depth=2
	s_or_b64 exec, exec, s[22:23]
	v_and_b32_e32 v0, 4, v62
	v_cmp_ne_u32_e32 vcc, 0, v0
	s_mov_b64 s[50:51], -1
	s_and_saveexec_b64 s[22:23], vcc
	s_cbranch_execz .LBB19_822
; %bb.813:                              ;   in Loop: Header=BB19_810 Depth=2
	v_lshl_add_u64 v[6:7], v[50:51], 0, 2
	v_cmp_lt_u64_e32 vcc, v[36:37], v[6:7]
	v_mov_b32_e32 v0, 1
	s_and_saveexec_b64 s[50:51], vcc
	s_cbranch_execz .LBB19_833
; %bb.814:                              ;   in Loop: Header=BB19_810 Depth=2
	s_mov_b64 s[52:53], 0
	v_mov_b32_e32 v0, 0
                                        ; implicit-def: $sgpr54_sgpr55
	s_branch .LBB19_818
.LBB19_815:                             ;   in Loop: Header=BB19_818 Depth=3
	s_or_b64 exec, exec, s[62:63]
	v_mov_b32_e32 v1, 0
	s_orn2_b64 s[60:61], s[60:61], exec
.LBB19_816:                             ;   in Loop: Header=BB19_818 Depth=3
	s_or_b64 exec, exec, s[58:59]
	s_andn2_b64 vcc, s[54:55], exec
	s_and_b64 s[54:55], s[60:61], exec
	s_or_b64 s[54:55], vcc, s[54:55]
	v_mov_b32_e32 v0, v1
.LBB19_817:                             ;   in Loop: Header=BB19_818 Depth=3
	s_or_b64 exec, exec, s[56:57]
	s_waitcnt vmcnt(0) lgkmcnt(0)
	v_cmp_ge_u64_e32 vcc, v[36:37], v[6:7]
	s_xor_b64 s[56:57], s[54:55], -1
	s_or_b64 vcc, s[56:57], vcc
	s_and_b64 vcc, exec, vcc
	s_or_b64 s[52:53], vcc, s[52:53]
	s_andn2_b64 exec, exec, s[52:53]
	s_cbranch_execz .LBB19_832
.LBB19_818:                             ;   Parent Loop BB19_81 Depth=1
                                        ;     Parent Loop BB19_810 Depth=2
                                        ; =>    This Inner Loop Header: Depth=3
	s_sleep 1
	flat_load_dwordx2 v[36:37], v[26:27] sc0 sc1
	v_and_b32_e32 v1, 64, v62
	v_cmp_eq_u32_e32 vcc, 0, v1
	s_andn2_b64 s[54:55], s[54:55], exec
	s_and_saveexec_b64 s[56:57], vcc
	s_cbranch_execz .LBB19_817
; %bb.819:                              ;   in Loop: Header=BB19_818 Depth=3
	v_add_u32_e32 v1, 1, v0
	v_cmp_lt_i32_e32 vcc, s73, v0
	s_mov_b64 s[60:61], -1
	s_and_saveexec_b64 s[58:59], vcc
	s_cbranch_execz .LBB19_816
; %bb.820:                              ;   in Loop: Header=BB19_818 Depth=3
	s_trap 2
	ds_read_b64 v[0:1], v0
	s_waitcnt vmcnt(0) lgkmcnt(0)
	flat_load_dword v0, v[0:1] sc0 sc1
	s_waitcnt vmcnt(0) lgkmcnt(0)
	buffer_inv sc0 sc1
	v_cmp_ne_u32_e32 vcc, 0, v0
	s_and_saveexec_b64 s[62:63], vcc
	s_cbranch_execz .LBB19_815
; %bb.821:                              ;   in Loop: Header=BB19_818 Depth=3
	v_or_b32_e32 v62, 64, v62
	s_xor_b64 s[60:61], exec, -1
	ds_write_b32 v0, v0
	s_trap 2
	s_branch .LBB19_815
.LBB19_822:                             ;   in Loop: Header=BB19_810 Depth=2
	s_or_b64 exec, exec, s[22:23]
	s_xor_b64 s[22:23], s[50:51], -1
	s_and_saveexec_b64 s[50:51], s[22:23]
	s_cbranch_execz .LBB19_834
.LBB19_823:                             ;   in Loop: Header=BB19_810 Depth=2
	v_and_b32_e32 v0, 0x100, v62
	v_cmp_ne_u32_e32 vcc, 0, v0
	v_and_b32_e32 v0, 7, v50
	s_mov_b64 s[22:23], -1
                                        ; implicit-def: $vgpr6_vgpr7
	s_and_saveexec_b64 s[52:53], vcc
	s_cbranch_execz .LBB19_827
; %bb.824:                              ;   in Loop: Header=BB19_810 Depth=2
	v_mad_u64_u32 v[8:9], s[22:23], v0, 24, v[32:33]
	flat_load_dword v1, v[8:9]
                                        ; implicit-def: $vgpr6_vgpr7
	s_waitcnt vmcnt(0) lgkmcnt(0)
	v_cmp_ne_u32_e32 vcc, 1, v1
	v_cmp_eq_u32_e64 s[22:23], 1, v1
	s_and_saveexec_b64 s[54:55], s[22:23]
	s_cbranch_execz .LBB19_826
; %bb.825:                              ;   in Loop: Header=BB19_810 Depth=2
	flat_load_dword v6, v[8:9] offset:4 sc0 sc1
	s_waitcnt vmcnt(0) lgkmcnt(0)
	v_ashrrev_i32_e32 v7, 31, v6
.LBB19_826:                             ;   in Loop: Header=BB19_810 Depth=2
	s_or_b64 exec, exec, s[54:55]
	s_orn2_b64 s[22:23], vcc, exec
.LBB19_827:                             ;   in Loop: Header=BB19_810 Depth=2
	s_or_b64 exec, exec, s[52:53]
	s_and_saveexec_b64 vcc, s[22:23]
; %bb.828:                              ;   in Loop: Header=BB19_810 Depth=2
	v_mad_i64_i32 v[6:7], s[22:23], v0, v40, 0
; %bb.829:                              ;   in Loop: Header=BB19_810 Depth=2
	s_or_b64 exec, exec, vcc
	v_lshl_add_u64 v[0:1], v[42:43], 0, v[6:7]
	ds_write_b64 v0, v[0:1] offset:720
	v_and_b32_e32 v0, 0x2000, v62
	v_cmp_ne_u32_e32 vcc, 0, v0
	s_and_saveexec_b64 s[22:23], vcc
	s_cbranch_execz .LBB19_831
; %bb.830:                              ;   in Loop: Header=BB19_810 Depth=2
	ds_read_b64 v[0:1], v0 offset:584
	s_waitcnt lgkmcnt(0)
	v_lshl_add_u64 v[0:1], v[0:1], 0, 1
	ds_write_b64 v0, v[0:1] offset:584
.LBB19_831:                             ;   in Loop: Header=BB19_810 Depth=2
	s_or_b64 exec, exec, s[22:23]
	v_lshl_add_u64 v[50:51], v[50:51], 0, 2
	s_or_b64 exec, exec, s[50:51]
	s_and_saveexec_b64 s[22:23], s[4:5]
	s_cbranch_execz .LBB19_853
	s_branch .LBB19_835
.LBB19_832:                             ;   in Loop: Header=BB19_810 Depth=2
	s_or_b64 exec, exec, s[52:53]
	v_and_b32_e32 v0, 4, v62
.LBB19_833:                             ;   in Loop: Header=BB19_810 Depth=2
	s_or_b64 exec, exec, s[50:51]
	v_cmp_eq_u32_e32 vcc, 0, v0
	s_orn2_b64 s[50:51], vcc, exec
	;;#ASMSTART
	s_wakeup
	;;#ASMEND
	s_or_b64 exec, exec, s[22:23]
	s_xor_b64 s[22:23], s[50:51], -1
	s_and_saveexec_b64 s[50:51], s[22:23]
	s_cbranch_execnz .LBB19_823
.LBB19_834:                             ;   in Loop: Header=BB19_810 Depth=2
	s_or_b64 exec, exec, s[50:51]
	s_and_saveexec_b64 s[22:23], s[4:5]
	s_cbranch_execz .LBB19_853
.LBB19_835:                             ;   in Loop: Header=BB19_810 Depth=2
	s_and_saveexec_b64 vcc, s[40:41]
	s_xor_b64 s[50:51], exec, vcc
	s_cbranch_execz .LBB19_850
; %bb.836:                              ;   in Loop: Header=BB19_810 Depth=2
	s_and_saveexec_b64 s[52:53], s[12:13]
	s_cbranch_execz .LBB19_849
; %bb.837:                              ;   in Loop: Header=BB19_810 Depth=2
	s_mov_b64 s[56:57], exec
	v_mbcnt_lo_u32_b32 v0, s56, 0
	v_mbcnt_hi_u32_b32 v0, s57, v0
	v_cmp_eq_u32_e32 vcc, 0, v0
	s_waitcnt lgkmcnt(0)
	s_and_saveexec_b64 s[54:55], vcc
	s_cbranch_execz .LBB19_839
; %bb.838:                              ;   in Loop: Header=BB19_810 Depth=2
	s_bcnt1_i32_b64 vcc_lo, s[56:57]
	v_mov_b32_e32 v38, vcc_lo
	ds_add_u64 v0, v[38:39]
	s_trap 2
.LBB19_839:                             ;   in Loop: Header=BB19_810 Depth=2
	s_or_b64 exec, exec, s[54:55]
	s_trap 2
	ds_read_b64 v[0:1], v0
	v_lshl_add_u64 v[14:15], v[14:15], 0, v[48:49]
	s_waitcnt lgkmcnt(0)
	v_cmp_lt_u64_e32 vcc, v[0:1], v[14:15]
	s_and_saveexec_b64 s[54:55], vcc
	s_cbranch_execz .LBB19_848
; %bb.840:                              ;   in Loop: Header=BB19_810 Depth=2
	s_mov_b32 s67, 0
	s_mov_b64 s[56:57], 0
                                        ; implicit-def: $sgpr58_sgpr59
                                        ; implicit-def: $sgpr60_sgpr61
	s_branch .LBB19_842
.LBB19_841:                             ;   in Loop: Header=BB19_842 Depth=3
	s_or_b64 exec, exec, s[64:65]
	s_and_b64 vcc, exec, vcc
	s_or_b64 s[56:57], vcc, s[56:57]
	s_andn2_b64 vcc, s[58:59], exec
	s_and_b64 s[58:59], s[60:61], exec
	s_or_b64 s[58:59], vcc, s[58:59]
	s_andn2_b64 exec, exec, s[56:57]
	s_cbranch_execz .LBB19_846
.LBB19_842:                             ;   Parent Loop BB19_81 Depth=1
                                        ;     Parent Loop BB19_810 Depth=2
                                        ; =>    This Inner Loop Header: Depth=3
	s_add_i32 s67, s67, 1
	s_cmpk_lg_i32 s67, 0x2710
	s_cselect_b64 s[62:63], -1, 0
	s_and_b64 vcc, exec, s[62:63]
                                        ; implicit-def: $sgpr64_sgpr65
	s_cbranch_vccnz .LBB19_844
; %bb.843:                              ;   in Loop: Header=BB19_842 Depth=3
	s_trap 2
	ds_read_b64 v[0:1], v0
	s_andn2_b64 s[62:63], s[62:63], exec
	s_mov_b32 s67, 0
	s_mov_b64 s[64:65], -1
	s_waitcnt lgkmcnt(0)
	flat_load_dword v0, v[0:1] sc0 sc1
	s_waitcnt vmcnt(0) lgkmcnt(0)
	buffer_inv sc0 sc1
	v_cmp_eq_u32_e32 vcc, 0, v0
	s_and_b64 vcc, vcc, exec
	s_or_b64 s[62:63], s[62:63], vcc
.LBB19_844:                             ;   in Loop: Header=BB19_842 Depth=3
	s_andn2_b64 s[60:61], s[60:61], exec
	s_and_b64 s[64:65], s[64:65], exec
	s_mov_b64 vcc, -1
	s_or_b64 s[60:61], s[60:61], s[64:65]
	s_and_saveexec_b64 s[64:65], s[62:63]
	s_cbranch_execz .LBB19_841
; %bb.845:                              ;   in Loop: Header=BB19_842 Depth=3
	s_sleep 1
	s_trap 2
	ds_read_b64 v[0:1], v0
	s_andn2_b64 s[60:61], s[60:61], exec
	s_waitcnt lgkmcnt(0)
	v_cmp_ge_u64_e32 vcc, v[0:1], v[14:15]
	s_orn2_b64 vcc, vcc, exec
	s_branch .LBB19_841
.LBB19_846:                             ;   in Loop: Header=BB19_810 Depth=2
	s_or_b64 exec, exec, s[56:57]
	s_and_saveexec_b64 vcc, s[58:59]
	s_xor_b64 vcc, exec, vcc
	s_cbranch_execz .LBB19_848
; %bb.847:                              ;   in Loop: Header=BB19_810 Depth=2
	ds_write_b32 v0, v46
	s_trap 2
.LBB19_848:                             ;   in Loop: Header=BB19_810 Depth=2
	s_or_b64 exec, exec, s[54:55]
	;;#ASMSTART
	s_wakeup
	;;#ASMEND
.LBB19_849:                             ;   in Loop: Header=BB19_810 Depth=2
	s_or_b64 exec, exec, s[52:53]
.LBB19_850:                             ;   in Loop: Header=BB19_810 Depth=2
	s_andn2_saveexec_b64 vcc, s[50:51]
	s_cbranch_execz .LBB19_852
; %bb.851:                              ;   in Loop: Header=BB19_810 Depth=2
	s_waitcnt lgkmcnt(0)
	s_barrier
.LBB19_852:                             ;   in Loop: Header=BB19_810 Depth=2
	s_or_b64 exec, exec, vcc
.LBB19_853:                             ;   in Loop: Header=BB19_810 Depth=2
	s_or_b64 exec, exec, s[22:23]
	s_trap 2
	ds_read_b32 v6, v0
	v_and_b32_e32 v0, 0x4000, v62
	v_cmp_ne_u32_e32 vcc, 0, v0
	s_xor_b64 s[22:23], s[2:3], -1
	s_and_b64 vcc, s[22:23], vcc
	s_and_saveexec_b64 s[22:23], vcc
	s_cbranch_execz .LBB19_872
; %bb.854:                              ;   in Loop: Header=BB19_810 Depth=2
	s_and_saveexec_b64 vcc, s[40:41]
	s_xor_b64 s[50:51], exec, vcc
	s_cbranch_execz .LBB19_869
; %bb.855:                              ;   in Loop: Header=BB19_810 Depth=2
	s_and_saveexec_b64 s[52:53], s[12:13]
	s_cbranch_execz .LBB19_868
; %bb.856:                              ;   in Loop: Header=BB19_810 Depth=2
	s_mov_b64 s[56:57], exec
	v_mbcnt_lo_u32_b32 v0, s56, 0
	v_mbcnt_hi_u32_b32 v0, s57, v0
	v_cmp_eq_u32_e32 vcc, 0, v0
	s_waitcnt lgkmcnt(0)
	s_and_saveexec_b64 s[54:55], vcc
	s_cbranch_execz .LBB19_858
; %bb.857:                              ;   in Loop: Header=BB19_810 Depth=2
	s_bcnt1_i32_b64 vcc_lo, s[56:57]
	v_mov_b32_e32 v38, vcc_lo
	ds_add_u64 v0, v[38:39]
	s_trap 2
.LBB19_858:                             ;   in Loop: Header=BB19_810 Depth=2
	s_or_b64 exec, exec, s[54:55]
	s_trap 2
	ds_read_b64 v[0:1], v0
	v_lshl_add_u64 v[14:15], v[14:15], 0, v[48:49]
	s_waitcnt lgkmcnt(0)
	v_cmp_lt_u64_e32 vcc, v[0:1], v[14:15]
	s_and_saveexec_b64 s[54:55], vcc
	s_cbranch_execz .LBB19_867
; %bb.859:                              ;   in Loop: Header=BB19_810 Depth=2
	s_mov_b32 s67, 0
	s_mov_b64 s[56:57], 0
                                        ; implicit-def: $sgpr58_sgpr59
                                        ; implicit-def: $sgpr60_sgpr61
	s_branch .LBB19_861
.LBB19_860:                             ;   in Loop: Header=BB19_861 Depth=3
	s_or_b64 exec, exec, s[64:65]
	s_and_b64 vcc, exec, vcc
	s_or_b64 s[56:57], vcc, s[56:57]
	s_andn2_b64 vcc, s[58:59], exec
	s_and_b64 s[58:59], s[60:61], exec
	s_or_b64 s[58:59], vcc, s[58:59]
	s_andn2_b64 exec, exec, s[56:57]
	s_cbranch_execz .LBB19_865
.LBB19_861:                             ;   Parent Loop BB19_81 Depth=1
                                        ;     Parent Loop BB19_810 Depth=2
                                        ; =>    This Inner Loop Header: Depth=3
	s_add_i32 s67, s67, 1
	s_cmpk_lg_i32 s67, 0x2710
	s_cselect_b64 s[62:63], -1, 0
	s_and_b64 vcc, exec, s[62:63]
                                        ; implicit-def: $sgpr64_sgpr65
	s_cbranch_vccnz .LBB19_863
; %bb.862:                              ;   in Loop: Header=BB19_861 Depth=3
	s_trap 2
	ds_read_b64 v[0:1], v0
	s_andn2_b64 s[62:63], s[62:63], exec
	s_mov_b32 s67, 0
	s_mov_b64 s[64:65], -1
	s_waitcnt lgkmcnt(0)
	flat_load_dword v0, v[0:1] sc0 sc1
	s_waitcnt vmcnt(0) lgkmcnt(0)
	buffer_inv sc0 sc1
	v_cmp_eq_u32_e32 vcc, 0, v0
	s_and_b64 vcc, vcc, exec
	s_or_b64 s[62:63], s[62:63], vcc
.LBB19_863:                             ;   in Loop: Header=BB19_861 Depth=3
	s_andn2_b64 s[60:61], s[60:61], exec
	s_and_b64 s[64:65], s[64:65], exec
	s_mov_b64 vcc, -1
	s_or_b64 s[60:61], s[60:61], s[64:65]
	s_and_saveexec_b64 s[64:65], s[62:63]
	s_cbranch_execz .LBB19_860
; %bb.864:                              ;   in Loop: Header=BB19_861 Depth=3
	s_sleep 1
	s_trap 2
	ds_read_b64 v[0:1], v0
	s_andn2_b64 s[60:61], s[60:61], exec
	s_waitcnt lgkmcnt(0)
	v_cmp_ge_u64_e32 vcc, v[0:1], v[14:15]
	s_orn2_b64 vcc, vcc, exec
	s_branch .LBB19_860
.LBB19_865:                             ;   in Loop: Header=BB19_810 Depth=2
	s_or_b64 exec, exec, s[56:57]
	s_and_saveexec_b64 vcc, s[58:59]
	s_xor_b64 vcc, exec, vcc
	s_cbranch_execz .LBB19_867
; %bb.866:                              ;   in Loop: Header=BB19_810 Depth=2
	ds_write_b32 v0, v46
	s_trap 2
.LBB19_867:                             ;   in Loop: Header=BB19_810 Depth=2
	s_or_b64 exec, exec, s[54:55]
	;;#ASMSTART
	s_wakeup
	;;#ASMEND
.LBB19_868:                             ;   in Loop: Header=BB19_810 Depth=2
	s_or_b64 exec, exec, s[52:53]
.LBB19_869:                             ;   in Loop: Header=BB19_810 Depth=2
	s_andn2_saveexec_b64 vcc, s[50:51]
	s_cbranch_execz .LBB19_871
; %bb.870:                              ;   in Loop: Header=BB19_810 Depth=2
	s_waitcnt lgkmcnt(0)
	s_barrier
.LBB19_871:                             ;   in Loop: Header=BB19_810 Depth=2
	s_or_b64 exec, exec, vcc
.LBB19_872:                             ;   in Loop: Header=BB19_810 Depth=2
	s_or_b64 exec, exec, s[22:23]
	s_trap 2
	ds_read_b64 v[0:1], v0
	v_sub_u32_e32 v3, v44, v2
	v_min_i32_e32 v45, v45, v3
	v_mov_b32_e32 v3, 0
	s_waitcnt lgkmcnt(0)
	v_readfirstlane_b32 s22, v0
	v_readfirstlane_b32 s23, v1
	s_cmp_eq_u64 s[22:23], 0
	s_cselect_b64 s[22:23], -1, 0
	s_or_b64 s[22:23], s[22:23], s[22:23]
	s_and_b64 vcc, exec, s[22:23]
	s_cbranch_vccnz .LBB19_888
; %bb.873:                              ;   in Loop: Header=BB19_810 Depth=2
	s_mov_b64 s[22:23], -1
	s_and_saveexec_b64 s[50:51], s[18:19]
	s_cbranch_execz .LBB19_875
; %bb.874:                              ;   in Loop: Header=BB19_810 Depth=2
	ds_read_b32 v0, v0 offset:720
	s_waitcnt lgkmcnt(0)
	v_and_b32_e32 v0, 15, v0
	v_cmp_eq_u32_e32 vcc, 0, v0
	s_orn2_b64 s[22:23], vcc, exec
.LBB19_875:                             ;   in Loop: Header=BB19_810 Depth=2
	s_or_b64 exec, exec, s[50:51]
	s_and_saveexec_b64 s[50:51], s[14:15]
	s_cbranch_execz .LBB19_877
; %bb.876:                              ;   in Loop: Header=BB19_810 Depth=2
	ds_read_b32 v0, v0 offset:784
	s_waitcnt lgkmcnt(0)
	v_and_b32_e32 v0, 15, v0
	v_cmp_eq_u32_e32 vcc, 0, v0
	s_and_b64 vcc, s[22:23], vcc
	s_andn2_b64 s[22:23], s[22:23], exec
	s_and_b64 vcc, vcc, exec
	s_or_b64 s[22:23], s[22:23], vcc
.LBB19_877:                             ;   in Loop: Header=BB19_810 Depth=2
	s_or_b64 exec, exec, s[50:51]
	v_cmp_eq_u32_e32 vcc, 0, v6
	s_xor_b64 s[22:23], s[22:23], -1
	v_cndmask_b32_e64 v0, 0, 1, s[22:23]
	v_cndmask_b32_e32 v3, 0, v45, vcc
	v_mov_b32_e32 v18, 0
	s_mov_b64 s[52:53], -1
	;;#ASMSTART
	;;#ASMEND
	v_mov_b32_e32 v19, v3
	v_cmp_ne_u32_e32 vcc, 0, v0
	v_mov_b32_e32 v20, v60
	v_mov_b32_e32 v8, v41
	s_cbranch_vccz .LBB19_900
; %bb.878:                              ;   in Loop: Header=BB19_810 Depth=2
	s_and_saveexec_b64 s[22:23], s[52:53]
	s_cbranch_execz .LBB19_913
.LBB19_879:                             ;   in Loop: Header=BB19_810 Depth=2
	v_ashrrev_i32_e32 v0, 31, v19
	v_lshrrev_b32_e32 v0, 21, v0
	v_add_u32_e32 v0, v19, v0
	v_ashrrev_i32_e32 v12, 11, v0
	v_sub_u32_e32 v0, v12, v8
	v_ashrrev_i32_e32 v1, 31, v20
	v_cmp_lt_i32_e32 vcc, 0, v0
	v_lshrrev_b32_e32 v1, 26, v1
	s_and_saveexec_b64 s[50:51], vcc
	s_cbranch_execz .LBB19_883
; %bb.880:                              ;   in Loop: Header=BB19_810 Depth=2
	s_trap 2
	ds_read_b64 v[6:7], v0
	v_add_u32_e32 v9, v20, v1
	v_and_b32_e32 v9, 0xffffffc0, v9
	v_sub_u32_e32 v9, v20, v9
	v_lshlrev_b32_e32 v8, 11, v8
	v_add3_u32 v8, v18, v9, v8
	v_mov_b32_e32 v5, v45
	v_ashrrev_i32_e32 v9, 31, v8
	s_mov_b64 s[52:53], 0
	s_waitcnt lgkmcnt(0)
	v_mov_b64_e32 v[10:11], v[6:7]
.LBB19_881:                             ;   Parent Loop BB19_81 Depth=1
                                        ;     Parent Loop BB19_810 Depth=2
                                        ; =>    This Inner Loop Header: Depth=3
	v_lshl_add_u64 v[16:17], v[8:9], 0, v[10:11]
	flat_load_ubyte v13, v[16:17] nt
	flat_load_ubyte v21, v[16:17] offset:64 nt
	flat_load_ubyte v22, v[16:17] offset:128 nt
	;; [unrolled: 1-line block ×7, first 2 shown]
	s_waitcnt vmcnt(0)
	flat_load_ubyte v30, v[16:17] offset:512 nt
	flat_load_ubyte v31, v[16:17] offset:576 nt
	flat_load_ubyte v32, v[16:17] offset:640 nt
	flat_load_ubyte v33, v[16:17] offset:704 nt
	flat_load_ubyte v34, v[16:17] offset:768 nt
	flat_load_ubyte v35, v[16:17] offset:832 nt
	flat_load_ubyte v38, v[16:17] offset:896 nt
	flat_load_ubyte v52, v[16:17] offset:960 nt
	flat_load_ubyte v53, v[16:17] offset:1024 nt
	flat_load_ubyte v54, v[16:17] offset:1088 nt
	flat_load_ubyte v55, v[16:17] offset:1152 nt
	flat_load_ubyte v40, v[16:17] offset:1216 nt
	flat_load_ubyte v41, v[16:17] offset:1280 nt
	flat_load_ubyte v42, v[16:17] offset:1344 nt
	flat_load_ubyte v43, v[16:17] offset:1408 nt
	flat_load_ubyte v44, v[16:17] offset:1472 nt
	flat_load_ubyte v45, v[16:17] offset:1536 nt
	flat_load_ubyte v46, v[16:17] offset:1600 nt
	flat_load_ubyte v47, v[16:17] offset:1664 nt
	flat_load_ubyte v58, v[16:17] offset:1728 nt
	flat_load_ubyte v59, v[16:17] offset:1792 nt
	flat_load_ubyte v60, v[16:17] offset:1856 nt
	flat_load_ubyte v61, v[16:17] offset:1920 nt
	flat_load_ubyte v4, v[16:17] offset:1984 nt
	v_sub_u32_e32 v0, v0, v48
	v_cmp_gt_i32_e32 vcc, 1, v0
	v_lshl_add_u64 v[16:17], v[8:9], 0, v[6:7]
	v_lshl_add_u64 v[10:11], v[10:11], 0, v[56:57]
	;; [unrolled: 1-line block ×3, first 2 shown]
	s_or_b64 s[52:53], vcc, s[52:53]
	s_waitcnt lgkmcnt(0)
	flat_store_byte v[16:17], v13 nt
	flat_store_byte v[16:17], v21 offset:64 nt
	flat_store_byte v[16:17], v22 offset:128 nt
	;; [unrolled: 1-line block ×7, first 2 shown]
	s_waitcnt vmcnt(0)
	flat_store_byte v[16:17], v30 offset:512 nt
	flat_store_byte v[16:17], v31 offset:576 nt
	;; [unrolled: 1-line block ×24, first 2 shown]
	s_andn2_b64 exec, exec, s[52:53]
	s_cbranch_execnz .LBB19_881
; %bb.882:                              ;   in Loop: Header=BB19_810 Depth=2
	s_or_b64 exec, exec, s[52:53]
	scratch_load_dwordx2 v[30:31], off, s33 offset:172 ; 8-byte Folded Reload
	v_accvgpr_read_b32 v33, a21
	v_accvgpr_read_b32 v43, a25
	;; [unrolled: 1-line block ×15, first 2 shown]
	v_mov_b32_e32 v46, 1
	v_accvgpr_read_b32 v61, a29
	v_accvgpr_read_b32 v25, a35
	;; [unrolled: 1-line block ×7, first 2 shown]
	v_mov_b32_e32 v45, v5
	v_accvgpr_read_b32 v23, a55
.LBB19_883:                             ;   in Loop: Header=BB19_810 Depth=2
	s_or_b64 exec, exec, s[50:51]
	v_lshlrev_b32_e32 v6, 11, v12
	v_cmp_ne_u32_e32 vcc, v19, v6
	s_and_saveexec_b64 s[50:51], vcc
	s_cbranch_execz .LBB19_887
; %bb.884:                              ;   in Loop: Header=BB19_810 Depth=2
	v_add_u32_e32 v1, v20, v1
	v_and_b32_e32 v1, 0xffffffc0, v1
	v_sub_u32_e32 v1, v20, v1
	v_lshlrev_b32_e32 v0, 6, v0
	v_sub_u32_e32 v0, v1, v0
	v_add_u32_e32 v1, v6, v0
	v_sub_u32_e32 v0, v19, v1
	v_cmp_lt_i32_e32 vcc, 0, v0
	s_and_b64 exec, exec, vcc
	s_cbranch_execz .LBB19_887
; %bb.885:                              ;   in Loop: Header=BB19_810 Depth=2
	s_trap 2
	ds_read_b64 v[6:7], v0
	v_add_u32_e32 v8, v1, v18
	v_ashrrev_i32_e32 v9, 31, v8
	s_mov_b64 s[52:53], 0
.LBB19_886:                             ;   Parent Loop BB19_81 Depth=1
                                        ;     Parent Loop BB19_810 Depth=2
                                        ; =>    This Inner Loop Header: Depth=3
	s_waitcnt lgkmcnt(0)
	v_lshl_add_u64 v[10:11], v[6:7], 0, v[8:9]
	flat_load_ubyte v1, v[10:11] nt
	v_sub_u32_e32 v0, v0, v34
	v_cmp_gt_i32_e32 vcc, 1, v0
	v_lshl_add_u64 v[8:9], v[8:9], 0, v[28:29]
	s_or_b64 s[52:53], vcc, s[52:53]
	s_waitcnt vmcnt(0) lgkmcnt(0)
	flat_store_byte v[10:11], v1 nt
	s_andn2_b64 exec, exec, s[52:53]
	s_cbranch_execnz .LBB19_886
.LBB19_887:                             ;   in Loop: Header=BB19_810 Depth=2
	s_or_b64 exec, exec, s[50:51]
	v_accvgpr_read_b32 v12, a42
	v_accvgpr_read_b32 v13, a43
	s_or_b64 exec, exec, s[22:23]
	s_and_saveexec_b64 s[22:23], s[4:5]
	s_cbranch_execz .LBB19_914
	s_branch .LBB19_889
.LBB19_888:                             ;   in Loop: Header=BB19_810 Depth=2
	s_and_saveexec_b64 s[22:23], s[4:5]
	s_cbranch_execz .LBB19_914
.LBB19_889:                             ;   in Loop: Header=BB19_810 Depth=2
	s_and_saveexec_b64 vcc, s[40:41]
	s_xor_b64 s[50:51], exec, vcc
	s_cbranch_execz .LBB19_922
; %bb.890:                              ;   in Loop: Header=BB19_810 Depth=2
	s_and_saveexec_b64 s[52:53], s[12:13]
	s_cbranch_execz .LBB19_921
; %bb.891:                              ;   in Loop: Header=BB19_810 Depth=2
	s_mov_b64 s[56:57], exec
	v_mbcnt_lo_u32_b32 v0, s56, 0
	v_mbcnt_hi_u32_b32 v0, s57, v0
	v_cmp_eq_u32_e32 vcc, 0, v0
	s_waitcnt lgkmcnt(0)
	s_and_saveexec_b64 s[54:55], vcc
	s_cbranch_execz .LBB19_893
; %bb.892:                              ;   in Loop: Header=BB19_810 Depth=2
	s_bcnt1_i32_b64 vcc_lo, s[56:57]
	v_mov_b32_e32 v38, vcc_lo
	ds_add_u64 v0, v[38:39]
	s_trap 2
.LBB19_893:                             ;   in Loop: Header=BB19_810 Depth=2
	s_or_b64 exec, exec, s[54:55]
	s_trap 2
	ds_read_b64 v[0:1], v0
	v_lshl_add_u64 v[14:15], v[14:15], 0, v[48:49]
	s_waitcnt lgkmcnt(0)
	v_cmp_lt_u64_e32 vcc, v[0:1], v[14:15]
	s_and_saveexec_b64 s[54:55], vcc
	s_cbranch_execz .LBB19_920
; %bb.894:                              ;   in Loop: Header=BB19_810 Depth=2
	s_mov_b32 s67, 0
	s_mov_b64 s[56:57], 0
                                        ; implicit-def: $sgpr58_sgpr59
                                        ; implicit-def: $sgpr60_sgpr61
	s_branch .LBB19_896
.LBB19_895:                             ;   in Loop: Header=BB19_896 Depth=3
	s_or_b64 exec, exec, s[64:65]
	s_and_b64 vcc, exec, vcc
	s_or_b64 s[56:57], vcc, s[56:57]
	s_andn2_b64 vcc, s[58:59], exec
	s_and_b64 s[58:59], s[60:61], exec
	s_or_b64 s[58:59], vcc, s[58:59]
	s_andn2_b64 exec, exec, s[56:57]
	s_cbranch_execz .LBB19_918
.LBB19_896:                             ;   Parent Loop BB19_81 Depth=1
                                        ;     Parent Loop BB19_810 Depth=2
                                        ; =>    This Inner Loop Header: Depth=3
	s_add_i32 s67, s67, 1
	s_cmpk_lg_i32 s67, 0x2710
	s_cselect_b64 s[62:63], -1, 0
	s_and_b64 vcc, exec, s[62:63]
                                        ; implicit-def: $sgpr64_sgpr65
	s_cbranch_vccnz .LBB19_898
; %bb.897:                              ;   in Loop: Header=BB19_896 Depth=3
	s_trap 2
	ds_read_b64 v[0:1], v0
	s_andn2_b64 s[62:63], s[62:63], exec
	s_mov_b32 s67, 0
	s_mov_b64 s[64:65], -1
	s_waitcnt vmcnt(0) lgkmcnt(0)
	flat_load_dword v0, v[0:1] sc0 sc1
	s_waitcnt vmcnt(0) lgkmcnt(0)
	buffer_inv sc0 sc1
	v_cmp_eq_u32_e32 vcc, 0, v0
	s_and_b64 vcc, vcc, exec
	s_or_b64 s[62:63], s[62:63], vcc
.LBB19_898:                             ;   in Loop: Header=BB19_896 Depth=3
	s_andn2_b64 s[60:61], s[60:61], exec
	s_and_b64 s[64:65], s[64:65], exec
	s_mov_b64 vcc, -1
	s_or_b64 s[60:61], s[60:61], s[64:65]
	s_and_saveexec_b64 s[64:65], s[62:63]
	s_cbranch_execz .LBB19_895
; %bb.899:                              ;   in Loop: Header=BB19_896 Depth=3
	s_sleep 1
	s_trap 2
	ds_read_b64 v[0:1], v0
	s_andn2_b64 s[60:61], s[60:61], exec
	s_waitcnt lgkmcnt(0)
	v_cmp_ge_u64_e32 vcc, v[0:1], v[14:15]
	s_orn2_b64 vcc, vcc, exec
	s_branch .LBB19_895
.LBB19_900:                             ;   in Loop: Header=BB19_810 Depth=2
	v_ashrrev_i32_e32 v0, 31, v3
	v_lshrrev_b32_e32 v0, 19, v0
	v_add_u32_e32 v0, v3, v0
	v_ashrrev_i32_e32 v0, 13, v0
	v_sub_u32_e32 v1, v0, v41
	v_cmp_lt_i32_e32 vcc, 0, v1
	s_and_saveexec_b64 s[50:51], vcc
	s_cbranch_execz .LBB19_904
; %bb.901:                              ;   in Loop: Header=BB19_810 Depth=2
	s_trap 2
	ds_read_b64 v[6:7], v0
	v_mov_b32_e32 v38, v45
	s_mov_b64 s[52:53], 0
	v_mov_b64_e32 v[4:5], v[54:55]
	s_waitcnt lgkmcnt(0)
	v_mov_b64_e32 v[8:9], v[6:7]
.LBB19_902:                             ;   Parent Loop BB19_81 Depth=1
                                        ;     Parent Loop BB19_810 Depth=2
                                        ; =>    This Inner Loop Header: Depth=3
	s_waitcnt vmcnt(0)
	v_lshl_add_u64 v[24:25], v[30:31], 0, v[8:9]
	global_load_dwordx4 v[10:13], v[24:25], off nt
	global_load_dwordx4 v[16:19], v[24:25], off offset:1024 nt
	global_load_dwordx4 v[20:23], v[24:25], off offset:2048 nt
	;; [unrolled: 1-line block ×3, first 2 shown]
	v_add_co_u32_e32 v24, vcc, 0x1000, v24
	v_sub_u32_e32 v1, v1, v48
	s_nop 0
	v_addc_co_u32_e32 v25, vcc, 0, v25, vcc
	global_load_dwordx4 v[32:35], v[24:25], off nt
	global_load_dwordx4 v[52:55], v[24:25], off offset:1024 nt
	global_load_dwordx4 v[40:43], v[24:25], off offset:2048 nt
	global_load_dwordx4 v[58:61], v[24:25], off offset:3072 nt
	s_nop 0
	scratch_load_dwordx2 v[24:25], off, s33 offset:172 ; 8-byte Folded Reload
	v_cmp_gt_i32_e64 s[22:23], 1, v1
	v_lshl_add_u64 v[8:9], v[8:9], 0, v[4:5]
	s_or_b64 s[52:53], s[22:23], s[52:53]
	s_waitcnt vmcnt(0)
	v_lshl_add_u64 v[24:25], v[24:25], 0, v[6:7]
	global_store_dwordx4 v[24:25], v[10:13], off nt
	global_store_dwordx4 v[24:25], v[16:19], off offset:1024 nt
	global_store_dwordx4 v[24:25], v[20:23], off offset:2048 nt
	;; [unrolled: 1-line block ×3, first 2 shown]
	scratch_load_dwordx2 v[30:31], off, s33 offset:172 ; 8-byte Folded Reload
	v_add_co_u32_e32 v44, vcc, 0x1000, v24
	v_lshl_add_u64 v[6:7], v[6:7], 0, v[4:5]
	s_nop 0
	v_addc_co_u32_e32 v45, vcc, 0, v25, vcc
	global_store_dwordx4 v[44:45], v[32:35], off nt
	global_store_dwordx4 v[44:45], v[52:55], off offset:1024 nt
	global_store_dwordx4 v[44:45], v[40:43], off offset:2048 nt
	global_store_dwordx4 v[44:45], v[58:61], off offset:3072 nt
	s_andn2_b64 exec, exec, s[52:53]
	s_cbranch_execnz .LBB19_902
; %bb.903:                              ;   in Loop: Header=BB19_810 Depth=2
	s_or_b64 exec, exec, s[52:53]
	v_accvgpr_read_b32 v33, a21
	v_accvgpr_read_b32 v43, a25
	;; [unrolled: 1-line block ×19, first 2 shown]
	v_mov_b64_e32 v[54:55], v[4:5]
	v_accvgpr_read_b32 v52, a48
	v_accvgpr_read_b32 v44, a52
	v_mov_b32_e32 v45, v38
	v_accvgpr_read_b32 v23, a55
.LBB19_904:                             ;   in Loop: Header=BB19_810 Depth=2
	s_or_b64 exec, exec, s[50:51]
	v_lshlrev_b32_e32 v0, 13, v0
	v_cmp_ne_u32_e32 vcc, v3, v0
	s_mov_b64 s[52:53], 0
	v_mov_b32_e32 v18, 0
                                        ; implicit-def: $vgpr19
                                        ; implicit-def: $vgpr20
                                        ; implicit-def: $vgpr8
	s_and_saveexec_b64 s[50:51], vcc
	s_cbranch_execz .LBB19_912
; %bb.905:                              ;   in Loop: Header=BB19_810 Depth=2
	v_lshlrev_b32_e32 v1, 6, v1
	v_accvgpr_read_b32 v4, a41
	v_sub_u32_e32 v1, v4, v1
	v_ashrrev_i32_e32 v7, 31, v1
	v_lshrrev_b32_e32 v7, 26, v7
	v_add_u32_e32 v7, v1, v7
	v_ashrrev_i32_e32 v9, 6, v7
	v_and_b32_e32 v7, 0xffffffc0, v7
	v_sub_u32_e32 v1, v1, v7
	v_sub_u32_e32 v6, v3, v0
	v_lshlrev_b32_e32 v7, 4, v1
	v_lshl_add_u32 v8, v9, 10, v7
	v_ashrrev_i32_e32 v7, 31, v6
	v_lshrrev_b32_e32 v7, 22, v7
	v_add_u32_e32 v7, v6, v7
	v_and_b32_e32 v10, 0xfffffc00, v7
	v_sub_u32_e32 v12, v6, v10
	v_ashrrev_i32_e32 v11, 10, v7
	v_cmp_lt_i32_e32 vcc, 15, v12
	v_sub_u32_e32 v13, v6, v8
	s_nop 0
	v_addc_co_u32_e64 v6, s[22:23], 0, v11, vcc
	v_sub_u32_e32 v11, v6, v9
	v_cmp_lt_i32_e64 s[22:23], 15, v13
	s_and_saveexec_b64 s[52:53], s[22:23]
	s_cbranch_execz .LBB19_909
; %bb.906:                              ;   in Loop: Header=BB19_810 Depth=2
	s_trap 2
	ds_read_b64 v[6:7], v0
	v_add_u32_e32 v8, v8, v0
	v_ashrrev_i32_e32 v9, 31, v8
	s_mov_b64 s[54:55], 0
.LBB19_907:                             ;   Parent Loop BB19_81 Depth=1
                                        ;     Parent Loop BB19_810 Depth=2
                                        ; =>    This Inner Loop Header: Depth=3
	s_waitcnt lgkmcnt(0)
	v_lshl_add_u64 v[20:21], v[6:7], 0, v[8:9]
	global_load_dwordx4 v[16:19], v[20:21], off nt
	v_sub_u32_e32 v13, v13, v61
	v_cmp_gt_i32_e64 s[22:23], 16, v13
	v_sub_u32_e32 v11, v11, v48
	v_lshl_add_u64 v[8:9], v[8:9], 0, v[52:53]
	s_or_b64 s[54:55], s[22:23], s[54:55]
	s_waitcnt vmcnt(0)
	global_store_dwordx4 v[20:21], v[16:19], off nt
	s_andn2_b64 exec, exec, s[54:55]
	s_cbranch_execnz .LBB19_907
; %bb.908:                              ;   in Loop: Header=BB19_810 Depth=2
	s_or_b64 exec, exec, s[54:55]
.LBB19_909:                             ;   in Loop: Header=BB19_810 Depth=2
	s_or_b64 exec, exec, s[52:53]
	v_and_b32_e32 v6, 15, v3
	v_cndmask_b32_e32 v19, v12, v6, vcc
	v_cmp_ne_u32_e64 s[22:23], 0, v19
	s_mov_b64 s[52:53], 0
	v_mov_b32_e32 v18, 0
                                        ; implicit-def: $vgpr20
                                        ; implicit-def: $vgpr8
	s_and_saveexec_b64 s[54:55], s[22:23]
	s_cbranch_execz .LBB19_911
; %bb.910:                              ;   in Loop: Header=BB19_810 Depth=2
	v_sub_u32_e32 v6, v12, v6
	v_cndmask_b32_e32 v6, 0, v6, vcc
	v_cmp_lt_i32_e32 vcc, 0, v11
	v_add3_u32 v18, v10, v0, v6
	s_mov_b64 s[52:53], exec
	v_cndmask_b32_e32 v0, 0, v48, vcc
	v_sub_u32_e32 v0, v0, v11
	v_lshl_add_u32 v20, v0, 6, v1
	v_ashrrev_i32_e32 v0, 31, v20
	v_lshrrev_b32_e32 v0, 26, v0
	v_add_u32_e32 v0, v20, v0
	v_ashrrev_i32_e32 v8, 6, v0
.LBB19_911:                             ;   in Loop: Header=BB19_810 Depth=2
	s_or_b64 exec, exec, s[54:55]
	v_accvgpr_read_b32 v12, a42
	s_and_b64 s[52:53], s[52:53], exec
	v_accvgpr_read_b32 v13, a43
.LBB19_912:                             ;   in Loop: Header=BB19_810 Depth=2
	s_or_b64 exec, exec, s[50:51]
	s_and_saveexec_b64 s[22:23], s[52:53]
	s_cbranch_execnz .LBB19_879
.LBB19_913:                             ;   in Loop: Header=BB19_810 Depth=2
	s_or_b64 exec, exec, s[22:23]
	s_and_saveexec_b64 s[22:23], s[4:5]
	s_cbranch_execnz .LBB19_889
.LBB19_914:                             ;   in Loop: Header=BB19_810 Depth=2
	s_or_b64 exec, exec, s[22:23]
	s_and_saveexec_b64 s[22:23], s[20:21]
	s_xor_b64 s[50:51], exec, s[22:23]
	s_cbranch_execz .LBB19_925
.LBB19_915:                             ;   in Loop: Header=BB19_810 Depth=2
	v_and_b32_e32 v0, 16, v62
	v_cmp_lt_i32_e32 vcc, 0, v3
	v_cmp_ne_u32_e64 s[22:23], 0, v0
	s_and_b64 vcc, s[22:23], vcc
	s_and_saveexec_b64 s[22:23], vcc
	s_cbranch_execz .LBB19_917
; %bb.916:                              ;   in Loop: Header=BB19_810 Depth=2
	buffer_wbl2 sc1
	s_waitcnt vmcnt(0) lgkmcnt(0)
	buffer_inv sc1
.LBB19_917:                             ;   in Loop: Header=BB19_810 Depth=2
	s_or_b64 exec, exec, s[22:23]
	s_andn2_saveexec_b64 s[22:23], s[50:51]
	s_cbranch_execz .LBB19_944
	s_branch .LBB19_926
.LBB19_918:                             ;   in Loop: Header=BB19_810 Depth=2
	s_or_b64 exec, exec, s[56:57]
	s_and_saveexec_b64 vcc, s[58:59]
	s_xor_b64 vcc, exec, vcc
	s_cbranch_execz .LBB19_920
; %bb.919:                              ;   in Loop: Header=BB19_810 Depth=2
	ds_write_b32 v0, v46
	s_trap 2
.LBB19_920:                             ;   in Loop: Header=BB19_810 Depth=2
	s_or_b64 exec, exec, s[54:55]
	;;#ASMSTART
	s_wakeup
	;;#ASMEND
.LBB19_921:                             ;   in Loop: Header=BB19_810 Depth=2
	s_or_b64 exec, exec, s[52:53]
.LBB19_922:                             ;   in Loop: Header=BB19_810 Depth=2
	s_andn2_saveexec_b64 vcc, s[50:51]
	s_cbranch_execz .LBB19_924
; %bb.923:                              ;   in Loop: Header=BB19_810 Depth=2
	s_waitcnt lgkmcnt(0)
	s_barrier
.LBB19_924:                             ;   in Loop: Header=BB19_810 Depth=2
	s_or_b64 exec, exec, vcc
	s_or_b64 exec, exec, s[22:23]
	s_and_saveexec_b64 s[22:23], s[20:21]
	s_xor_b64 s[50:51], exec, s[22:23]
	s_cbranch_execnz .LBB19_915
.LBB19_925:                             ;   in Loop: Header=BB19_810 Depth=2
	s_andn2_saveexec_b64 s[22:23], s[50:51]
	s_cbranch_execz .LBB19_944
.LBB19_926:                             ;   in Loop: Header=BB19_810 Depth=2
	s_and_saveexec_b64 vcc, s[40:41]
	s_xor_b64 s[50:51], exec, vcc
	s_cbranch_execz .LBB19_941
; %bb.927:                              ;   in Loop: Header=BB19_810 Depth=2
	s_and_saveexec_b64 s[52:53], s[12:13]
	s_cbranch_execz .LBB19_940
; %bb.928:                              ;   in Loop: Header=BB19_810 Depth=2
	s_mov_b64 s[56:57], exec
	v_mbcnt_lo_u32_b32 v0, s56, 0
	v_mbcnt_hi_u32_b32 v0, s57, v0
	v_cmp_eq_u32_e32 vcc, 0, v0
	;;#ASMSTART
	s_waitcnt lgkmcnt(0) vmcnt(0)
	;;#ASMEND
	s_and_saveexec_b64 s[54:55], vcc
	s_cbranch_execz .LBB19_930
; %bb.929:                              ;   in Loop: Header=BB19_810 Depth=2
	s_bcnt1_i32_b64 vcc_lo, s[56:57]
	v_mov_b32_e32 v38, vcc_lo
	ds_add_u64 v0, v[38:39]
	s_trap 2
.LBB19_930:                             ;   in Loop: Header=BB19_810 Depth=2
	s_or_b64 exec, exec, s[54:55]
	s_trap 2
	ds_read_b64 v[0:1], v0
	v_lshl_add_u64 v[14:15], v[14:15], 0, v[48:49]
	s_waitcnt lgkmcnt(0)
	v_cmp_lt_u64_e32 vcc, v[0:1], v[14:15]
	s_and_saveexec_b64 s[54:55], vcc
	s_cbranch_execz .LBB19_939
; %bb.931:                              ;   in Loop: Header=BB19_810 Depth=2
	s_mov_b32 s67, 0
	s_mov_b64 s[56:57], 0
                                        ; implicit-def: $sgpr58_sgpr59
                                        ; implicit-def: $sgpr60_sgpr61
	s_branch .LBB19_933
.LBB19_932:                             ;   in Loop: Header=BB19_933 Depth=3
	s_or_b64 exec, exec, s[64:65]
	s_and_b64 vcc, exec, vcc
	s_or_b64 s[56:57], vcc, s[56:57]
	s_andn2_b64 vcc, s[58:59], exec
	s_and_b64 s[58:59], s[60:61], exec
	s_or_b64 s[58:59], vcc, s[58:59]
	s_andn2_b64 exec, exec, s[56:57]
	s_cbranch_execz .LBB19_937
.LBB19_933:                             ;   Parent Loop BB19_81 Depth=1
                                        ;     Parent Loop BB19_810 Depth=2
                                        ; =>    This Inner Loop Header: Depth=3
	s_add_i32 s67, s67, 1
	s_cmpk_lg_i32 s67, 0x2710
	s_cselect_b64 s[62:63], -1, 0
	s_and_b64 vcc, exec, s[62:63]
                                        ; implicit-def: $sgpr64_sgpr65
	s_cbranch_vccnz .LBB19_935
; %bb.934:                              ;   in Loop: Header=BB19_933 Depth=3
	s_trap 2
	ds_read_b64 v[0:1], v0
	s_andn2_b64 s[62:63], s[62:63], exec
	s_mov_b32 s67, 0
	s_mov_b64 s[64:65], -1
	s_waitcnt vmcnt(0) lgkmcnt(0)
	flat_load_dword v0, v[0:1] sc0 sc1
	s_waitcnt vmcnt(0) lgkmcnt(0)
	buffer_inv sc0 sc1
	v_cmp_eq_u32_e32 vcc, 0, v0
	s_and_b64 vcc, vcc, exec
	s_or_b64 s[62:63], s[62:63], vcc
.LBB19_935:                             ;   in Loop: Header=BB19_933 Depth=3
	s_andn2_b64 s[60:61], s[60:61], exec
	s_and_b64 s[64:65], s[64:65], exec
	s_mov_b64 vcc, -1
	s_or_b64 s[60:61], s[60:61], s[64:65]
	s_and_saveexec_b64 s[64:65], s[62:63]
	s_cbranch_execz .LBB19_932
; %bb.936:                              ;   in Loop: Header=BB19_933 Depth=3
	s_sleep 1
	s_trap 2
	ds_read_b64 v[0:1], v0
	s_andn2_b64 s[60:61], s[60:61], exec
	s_waitcnt lgkmcnt(0)
	v_cmp_ge_u64_e32 vcc, v[0:1], v[14:15]
	s_orn2_b64 vcc, vcc, exec
	s_branch .LBB19_932
.LBB19_937:                             ;   in Loop: Header=BB19_810 Depth=2
	s_or_b64 exec, exec, s[56:57]
	s_and_saveexec_b64 vcc, s[58:59]
	s_xor_b64 vcc, exec, vcc
	s_cbranch_execz .LBB19_939
; %bb.938:                              ;   in Loop: Header=BB19_810 Depth=2
	ds_write_b32 v0, v46
	s_trap 2
.LBB19_939:                             ;   in Loop: Header=BB19_810 Depth=2
	s_or_b64 exec, exec, s[54:55]
	;;#ASMSTART
	s_wakeup
	;;#ASMEND
.LBB19_940:                             ;   in Loop: Header=BB19_810 Depth=2
	s_or_b64 exec, exec, s[52:53]
.LBB19_941:                             ;   in Loop: Header=BB19_810 Depth=2
	s_andn2_saveexec_b64 vcc, s[50:51]
	s_cbranch_execz .LBB19_943
; %bb.942:                              ;   in Loop: Header=BB19_810 Depth=2
	;;#ASMSTART
	s_waitcnt lgkmcnt(0) vmcnt(0)
	;;#ASMEND
	s_barrier
.LBB19_943:                             ;   in Loop: Header=BB19_810 Depth=2
	s_or_b64 exec, exec, vcc
.LBB19_944:                             ;   in Loop: Header=BB19_810 Depth=2
	s_or_b64 exec, exec, s[22:23]
	v_and_b32_e32 v0, 32, v62
	v_cmp_ne_u32_e32 vcc, 0, v0
	s_and_saveexec_b64 s[22:23], vcc
	s_cbranch_execz .LBB19_809
; %bb.945:                              ;   in Loop: Header=BB19_810 Depth=2
	v_lshl_add_u64 v[50:51], v[50:51], 0, 2
	flat_store_dwordx2 v[26:27], v[50:51] sc0 sc1
	s_branch .LBB19_809
.LBB19_946:                             ;   in Loop: Header=BB19_81 Depth=1
	s_or_b64 exec, exec, s[26:27]
	s_or_b64 exec, exec, s[24:25]
	v_cmp_gt_i32_e32 vcc, 2, v0
	s_and_saveexec_b64 s[24:25], vcc
	s_cbranch_execz .LBB19_80
.LBB19_947:                             ;   in Loop: Header=BB19_81 Depth=1
	v_cmp_eq_u32_e64 s[22:23], 0, v0
	s_mov_b64 s[26:27], 0
	s_branch .LBB19_949
.LBB19_948:                             ;   in Loop: Header=BB19_949 Depth=2
	s_or_b64 exec, exec, s[22:23]
	v_add_u32_e32 v2, v45, v2
	s_mov_b64 s[22:23], 0
	s_andn2_b64 exec, exec, s[26:27]
	s_cbranch_execz .LBB19_79
.LBB19_949:                             ;   Parent Loop BB19_81 Depth=1
                                        ; =>  This Loop Header: Depth=2
                                        ;       Child Loop BB19_955 Depth 3
                                        ;       Child Loop BB19_979 Depth 3
	;; [unrolled: 1-line block ×3, first 2 shown]
	v_and_b32_e32 v0, 4, v62
	s_mov_b64 s[50:51], -1
	v_cmp_ne_u32_e32 vcc, 0, v0
	s_and_saveexec_b64 s[28:29], vcc
	s_cbranch_execz .LBB19_961
; %bb.950:                              ;   in Loop: Header=BB19_949 Depth=2
	v_lshl_add_u64 v[4:5], v[50:51], 0, 2
	v_cmp_lt_u64_e32 vcc, v[36:37], v[4:5]
	v_mov_b32_e32 v0, 1
	s_and_saveexec_b64 s[50:51], vcc
	s_cbranch_execz .LBB19_960
; %bb.951:                              ;   in Loop: Header=BB19_949 Depth=2
	s_mov_b64 s[52:53], 0
	v_mov_b32_e32 v0, 0
                                        ; implicit-def: $sgpr54_sgpr55
	s_branch .LBB19_955
.LBB19_952:                             ;   in Loop: Header=BB19_955 Depth=3
	s_or_b64 exec, exec, s[62:63]
	v_mov_b32_e32 v1, 0
	s_orn2_b64 s[60:61], s[60:61], exec
.LBB19_953:                             ;   in Loop: Header=BB19_955 Depth=3
	s_or_b64 exec, exec, s[58:59]
	s_andn2_b64 vcc, s[54:55], exec
	s_and_b64 s[54:55], s[60:61], exec
	s_or_b64 s[54:55], vcc, s[54:55]
	v_mov_b32_e32 v0, v1
.LBB19_954:                             ;   in Loop: Header=BB19_955 Depth=3
	s_or_b64 exec, exec, s[56:57]
	s_waitcnt vmcnt(0) lgkmcnt(0)
	v_cmp_ge_u64_e32 vcc, v[36:37], v[4:5]
	s_xor_b64 s[56:57], s[54:55], -1
	s_or_b64 vcc, s[56:57], vcc
	s_and_b64 vcc, exec, vcc
	s_or_b64 s[52:53], vcc, s[52:53]
	s_andn2_b64 exec, exec, s[52:53]
	s_cbranch_execz .LBB19_959
.LBB19_955:                             ;   Parent Loop BB19_81 Depth=1
                                        ;     Parent Loop BB19_949 Depth=2
                                        ; =>    This Inner Loop Header: Depth=3
	s_sleep 1
	flat_load_dwordx2 v[36:37], v[26:27] sc0 sc1
	v_and_b32_e32 v1, 64, v62
	v_cmp_eq_u32_e32 vcc, 0, v1
	s_andn2_b64 s[54:55], s[54:55], exec
	s_and_saveexec_b64 s[56:57], vcc
	s_cbranch_execz .LBB19_954
; %bb.956:                              ;   in Loop: Header=BB19_955 Depth=3
	v_add_u32_e32 v1, 1, v0
	v_cmp_lt_i32_e32 vcc, s73, v0
	s_mov_b64 s[60:61], -1
	s_and_saveexec_b64 s[58:59], vcc
	s_cbranch_execz .LBB19_953
; %bb.957:                              ;   in Loop: Header=BB19_955 Depth=3
	s_trap 2
	ds_read_b64 v[0:1], v0
	s_waitcnt vmcnt(0) lgkmcnt(0)
	flat_load_dword v0, v[0:1] sc0 sc1
	s_waitcnt vmcnt(0) lgkmcnt(0)
	buffer_inv sc0 sc1
	v_cmp_ne_u32_e32 vcc, 0, v0
	s_and_saveexec_b64 s[62:63], vcc
	s_cbranch_execz .LBB19_952
; %bb.958:                              ;   in Loop: Header=BB19_955 Depth=3
	v_or_b32_e32 v62, 64, v62
	s_xor_b64 s[60:61], exec, -1
	ds_write_b32 v0, v0
	s_trap 2
	s_branch .LBB19_952
.LBB19_959:                             ;   in Loop: Header=BB19_949 Depth=2
	s_or_b64 exec, exec, s[52:53]
	v_and_b32_e32 v0, 4, v62
.LBB19_960:                             ;   in Loop: Header=BB19_949 Depth=2
	s_or_b64 exec, exec, s[50:51]
	v_cmp_eq_u32_e32 vcc, 0, v0
	s_orn2_b64 s[50:51], vcc, exec
	;;#ASMSTART
	s_wakeup
	;;#ASMEND
.LBB19_961:                             ;   in Loop: Header=BB19_949 Depth=2
	s_or_b64 exec, exec, s[28:29]
	s_xor_b64 s[22:23], s[22:23], -1
	s_and_b64 s[22:23], exec, s[22:23]
	s_or_b64 s[26:27], s[22:23], s[26:27]
	s_xor_b64 s[22:23], s[50:51], -1
	s_and_saveexec_b64 s[28:29], s[22:23]
	s_cbranch_execz .LBB19_971
; %bb.962:                              ;   in Loop: Header=BB19_949 Depth=2
	v_and_b32_e32 v0, 0x100, v62
	v_cmp_ne_u32_e32 vcc, 0, v0
	v_and_b32_e32 v0, 7, v50
	s_mov_b64 s[22:23], -1
                                        ; implicit-def: $vgpr4_vgpr5
	s_and_saveexec_b64 s[50:51], vcc
	s_cbranch_execz .LBB19_966
; %bb.963:                              ;   in Loop: Header=BB19_949 Depth=2
	v_mad_u64_u32 v[6:7], s[22:23], v0, 24, v[32:33]
	flat_load_dword v1, v[6:7]
                                        ; implicit-def: $vgpr4_vgpr5
	s_waitcnt vmcnt(0) lgkmcnt(0)
	v_cmp_ne_u32_e32 vcc, 1, v1
	v_cmp_eq_u32_e64 s[22:23], 1, v1
	s_and_saveexec_b64 s[52:53], s[22:23]
	s_cbranch_execz .LBB19_965
; %bb.964:                              ;   in Loop: Header=BB19_949 Depth=2
	flat_load_dword v4, v[6:7] offset:4 sc0 sc1
	s_waitcnt vmcnt(0) lgkmcnt(0)
	v_ashrrev_i32_e32 v5, 31, v4
.LBB19_965:                             ;   in Loop: Header=BB19_949 Depth=2
	s_or_b64 exec, exec, s[52:53]
	s_orn2_b64 s[22:23], vcc, exec
.LBB19_966:                             ;   in Loop: Header=BB19_949 Depth=2
	s_or_b64 exec, exec, s[50:51]
	s_and_saveexec_b64 vcc, s[22:23]
; %bb.967:                              ;   in Loop: Header=BB19_949 Depth=2
	v_mad_i64_i32 v[4:5], s[22:23], v0, v40, 0
; %bb.968:                              ;   in Loop: Header=BB19_949 Depth=2
	s_or_b64 exec, exec, vcc
	v_lshl_add_u64 v[0:1], v[42:43], 0, v[4:5]
	ds_write_b64 v0, v[0:1] offset:720
	v_and_b32_e32 v0, 0x2000, v62
	v_cmp_ne_u32_e32 vcc, 0, v0
	s_and_saveexec_b64 s[22:23], vcc
	s_cbranch_execz .LBB19_970
; %bb.969:                              ;   in Loop: Header=BB19_949 Depth=2
	ds_read_b64 v[0:1], v0 offset:584
	s_waitcnt lgkmcnt(0)
	v_lshl_add_u64 v[0:1], v[0:1], 0, 1
	ds_write_b64 v0, v[0:1] offset:584
.LBB19_970:                             ;   in Loop: Header=BB19_949 Depth=2
	s_or_b64 exec, exec, s[22:23]
	v_lshl_add_u64 v[50:51], v[50:51], 0, 2
.LBB19_971:                             ;   in Loop: Header=BB19_949 Depth=2
	s_or_b64 exec, exec, s[28:29]
	s_and_saveexec_b64 s[22:23], s[4:5]
	s_cbranch_execz .LBB19_990
; %bb.972:                              ;   in Loop: Header=BB19_949 Depth=2
	s_and_saveexec_b64 s[28:29], s[40:41]
	s_xor_b64 s[28:29], exec, s[28:29]
	s_cbranch_execz .LBB19_987
; %bb.973:                              ;   in Loop: Header=BB19_949 Depth=2
	s_and_saveexec_b64 s[50:51], s[12:13]
	s_cbranch_execz .LBB19_986
; %bb.974:                              ;   in Loop: Header=BB19_949 Depth=2
	s_mov_b64 s[54:55], exec
	v_mbcnt_lo_u32_b32 v0, s54, 0
	v_mbcnt_hi_u32_b32 v0, s55, v0
	v_cmp_eq_u32_e32 vcc, 0, v0
	s_waitcnt lgkmcnt(0)
	s_and_saveexec_b64 s[52:53], vcc
	s_cbranch_execz .LBB19_976
; %bb.975:                              ;   in Loop: Header=BB19_949 Depth=2
	s_bcnt1_i32_b64 vcc_lo, s[54:55]
	v_mov_b32_e32 v38, vcc_lo
	ds_add_u64 v0, v[38:39]
	s_trap 2
.LBB19_976:                             ;   in Loop: Header=BB19_949 Depth=2
	s_or_b64 exec, exec, s[52:53]
	s_trap 2
	ds_read_b64 v[0:1], v0
	v_lshl_add_u64 v[14:15], v[14:15], 0, v[48:49]
	s_waitcnt lgkmcnt(0)
	v_cmp_lt_u64_e32 vcc, v[0:1], v[14:15]
	s_and_saveexec_b64 s[52:53], vcc
	s_cbranch_execz .LBB19_985
; %bb.977:                              ;   in Loop: Header=BB19_949 Depth=2
	s_mov_b32 s64, 0
	s_mov_b64 s[54:55], 0
                                        ; implicit-def: $sgpr56_sgpr57
                                        ; implicit-def: $sgpr58_sgpr59
	s_branch .LBB19_979
.LBB19_978:                             ;   in Loop: Header=BB19_979 Depth=3
	s_or_b64 exec, exec, s[62:63]
	s_and_b64 vcc, exec, vcc
	s_or_b64 s[54:55], vcc, s[54:55]
	s_andn2_b64 vcc, s[56:57], exec
	s_and_b64 s[56:57], s[58:59], exec
	s_or_b64 s[56:57], vcc, s[56:57]
	s_andn2_b64 exec, exec, s[54:55]
	s_cbranch_execz .LBB19_983
.LBB19_979:                             ;   Parent Loop BB19_81 Depth=1
                                        ;     Parent Loop BB19_949 Depth=2
                                        ; =>    This Inner Loop Header: Depth=3
	s_add_i32 s64, s64, 1
	s_cmpk_lg_i32 s64, 0x2710
	s_cselect_b64 s[60:61], -1, 0
	s_and_b64 vcc, exec, s[60:61]
                                        ; implicit-def: $sgpr62_sgpr63
	s_cbranch_vccnz .LBB19_981
; %bb.980:                              ;   in Loop: Header=BB19_979 Depth=3
	s_trap 2
	ds_read_b64 v[0:1], v0
	s_andn2_b64 s[60:61], s[60:61], exec
	s_mov_b32 s64, 0
	s_mov_b64 s[62:63], -1
	s_waitcnt vmcnt(0) lgkmcnt(0)
	flat_load_dword v0, v[0:1] sc0 sc1
	s_waitcnt vmcnt(0) lgkmcnt(0)
	buffer_inv sc0 sc1
	v_cmp_eq_u32_e32 vcc, 0, v0
	s_and_b64 vcc, vcc, exec
	s_or_b64 s[60:61], s[60:61], vcc
.LBB19_981:                             ;   in Loop: Header=BB19_979 Depth=3
	s_andn2_b64 s[58:59], s[58:59], exec
	s_and_b64 s[62:63], s[62:63], exec
	s_mov_b64 vcc, -1
	s_or_b64 s[58:59], s[58:59], s[62:63]
	s_and_saveexec_b64 s[62:63], s[60:61]
	s_cbranch_execz .LBB19_978
; %bb.982:                              ;   in Loop: Header=BB19_979 Depth=3
	s_sleep 1
	s_trap 2
	ds_read_b64 v[0:1], v0
	s_andn2_b64 s[58:59], s[58:59], exec
	s_waitcnt lgkmcnt(0)
	v_cmp_ge_u64_e32 vcc, v[0:1], v[14:15]
	s_orn2_b64 vcc, vcc, exec
	s_branch .LBB19_978
.LBB19_983:                             ;   in Loop: Header=BB19_949 Depth=2
	s_or_b64 exec, exec, s[54:55]
	s_and_saveexec_b64 vcc, s[56:57]
	s_xor_b64 vcc, exec, vcc
	s_cbranch_execz .LBB19_985
; %bb.984:                              ;   in Loop: Header=BB19_949 Depth=2
	ds_write_b32 v0, v46
	s_trap 2
.LBB19_985:                             ;   in Loop: Header=BB19_949 Depth=2
	s_or_b64 exec, exec, s[52:53]
	;;#ASMSTART
	s_wakeup
	;;#ASMEND
.LBB19_986:                             ;   in Loop: Header=BB19_949 Depth=2
	s_or_b64 exec, exec, s[50:51]
.LBB19_987:                             ;   in Loop: Header=BB19_949 Depth=2
	s_andn2_saveexec_b64 s[28:29], s[28:29]
	s_cbranch_execz .LBB19_989
; %bb.988:                              ;   in Loop: Header=BB19_949 Depth=2
	s_waitcnt lgkmcnt(0)
	s_barrier
.LBB19_989:                             ;   in Loop: Header=BB19_949 Depth=2
	s_or_b64 exec, exec, s[28:29]
.LBB19_990:                             ;   in Loop: Header=BB19_949 Depth=2
	s_or_b64 exec, exec, s[22:23]
	v_sub_u32_e32 v0, v44, v2
	v_min_i32_e32 v45, v45, v0
	s_and_saveexec_b64 s[22:23], s[20:21]
	s_xor_b64 s[22:23], exec, s[22:23]
	s_cbranch_execz .LBB19_994
; %bb.991:                              ;   in Loop: Header=BB19_949 Depth=2
	s_trap 2
	ds_read_b32 v0, v0
	v_cmp_lt_i32_e32 vcc, 0, v45
	v_and_b32_e32 v1, 16, v62
	s_waitcnt lgkmcnt(0)
	v_readfirstlane_b32 s28, v0
	s_cmp_eq_u32 s28, 0
	s_cselect_b64 s[28:29], -1, 0
	s_and_b64 s[28:29], vcc, s[28:29]
	v_cmp_ne_u32_e32 vcc, 0, v1
	s_and_b64 vcc, vcc, s[28:29]
	s_and_saveexec_b64 s[28:29], vcc
	s_cbranch_execz .LBB19_993
; %bb.992:                              ;   in Loop: Header=BB19_949 Depth=2
	buffer_wbl2 sc1
	s_waitcnt vmcnt(0)
	buffer_inv sc1
.LBB19_993:                             ;   in Loop: Header=BB19_949 Depth=2
	s_or_b64 exec, exec, s[28:29]
.LBB19_994:                             ;   in Loop: Header=BB19_949 Depth=2
	s_andn2_saveexec_b64 s[22:23], s[22:23]
	s_cbranch_execz .LBB19_1013
; %bb.995:                              ;   in Loop: Header=BB19_949 Depth=2
	s_and_saveexec_b64 s[28:29], s[40:41]
	s_xor_b64 s[28:29], exec, s[28:29]
	s_cbranch_execz .LBB19_1010
; %bb.996:                              ;   in Loop: Header=BB19_949 Depth=2
	s_and_saveexec_b64 s[50:51], s[12:13]
	s_cbranch_execz .LBB19_1009
; %bb.997:                              ;   in Loop: Header=BB19_949 Depth=2
	s_mov_b64 s[54:55], exec
	v_mbcnt_lo_u32_b32 v0, s54, 0
	v_mbcnt_hi_u32_b32 v0, s55, v0
	v_cmp_eq_u32_e32 vcc, 0, v0
	;;#ASMSTART
	s_waitcnt lgkmcnt(0) vmcnt(0)
	;;#ASMEND
	s_and_saveexec_b64 s[52:53], vcc
	s_cbranch_execz .LBB19_999
; %bb.998:                              ;   in Loop: Header=BB19_949 Depth=2
	s_bcnt1_i32_b64 vcc_lo, s[54:55]
	v_mov_b32_e32 v38, vcc_lo
	ds_add_u64 v0, v[38:39]
	s_trap 2
.LBB19_999:                             ;   in Loop: Header=BB19_949 Depth=2
	s_or_b64 exec, exec, s[52:53]
	s_trap 2
	ds_read_b64 v[0:1], v0
	v_lshl_add_u64 v[14:15], v[14:15], 0, v[48:49]
	s_waitcnt lgkmcnt(0)
	v_cmp_lt_u64_e32 vcc, v[0:1], v[14:15]
	s_and_saveexec_b64 s[52:53], vcc
	s_cbranch_execz .LBB19_1008
; %bb.1000:                             ;   in Loop: Header=BB19_949 Depth=2
	s_mov_b32 s64, 0
	s_mov_b64 s[54:55], 0
                                        ; implicit-def: $sgpr56_sgpr57
                                        ; implicit-def: $sgpr58_sgpr59
	s_branch .LBB19_1002
.LBB19_1001:                            ;   in Loop: Header=BB19_1002 Depth=3
	s_or_b64 exec, exec, s[62:63]
	s_and_b64 vcc, exec, vcc
	s_or_b64 s[54:55], vcc, s[54:55]
	s_andn2_b64 vcc, s[56:57], exec
	s_and_b64 s[56:57], s[58:59], exec
	s_or_b64 s[56:57], vcc, s[56:57]
	s_andn2_b64 exec, exec, s[54:55]
	s_cbranch_execz .LBB19_1006
.LBB19_1002:                            ;   Parent Loop BB19_81 Depth=1
                                        ;     Parent Loop BB19_949 Depth=2
                                        ; =>    This Inner Loop Header: Depth=3
	s_add_i32 s64, s64, 1
	s_cmpk_lg_i32 s64, 0x2710
	s_cselect_b64 s[60:61], -1, 0
	s_and_b64 vcc, exec, s[60:61]
                                        ; implicit-def: $sgpr62_sgpr63
	s_cbranch_vccnz .LBB19_1004
; %bb.1003:                             ;   in Loop: Header=BB19_1002 Depth=3
	s_trap 2
	ds_read_b64 v[0:1], v0
	s_andn2_b64 s[60:61], s[60:61], exec
	s_mov_b32 s64, 0
	s_mov_b64 s[62:63], -1
	s_waitcnt vmcnt(0) lgkmcnt(0)
	flat_load_dword v0, v[0:1] sc0 sc1
	s_waitcnt vmcnt(0) lgkmcnt(0)
	buffer_inv sc0 sc1
	v_cmp_eq_u32_e32 vcc, 0, v0
	s_and_b64 vcc, vcc, exec
	s_or_b64 s[60:61], s[60:61], vcc
.LBB19_1004:                            ;   in Loop: Header=BB19_1002 Depth=3
	s_andn2_b64 s[58:59], s[58:59], exec
	s_and_b64 s[62:63], s[62:63], exec
	s_mov_b64 vcc, -1
	s_or_b64 s[58:59], s[58:59], s[62:63]
	s_and_saveexec_b64 s[62:63], s[60:61]
	s_cbranch_execz .LBB19_1001
; %bb.1005:                             ;   in Loop: Header=BB19_1002 Depth=3
	s_sleep 1
	s_trap 2
	ds_read_b64 v[0:1], v0
	s_andn2_b64 s[58:59], s[58:59], exec
	s_waitcnt lgkmcnt(0)
	v_cmp_ge_u64_e32 vcc, v[0:1], v[14:15]
	s_orn2_b64 vcc, vcc, exec
	s_branch .LBB19_1001
.LBB19_1006:                            ;   in Loop: Header=BB19_949 Depth=2
	s_or_b64 exec, exec, s[54:55]
	s_and_saveexec_b64 vcc, s[56:57]
	s_xor_b64 vcc, exec, vcc
	s_cbranch_execz .LBB19_1008
; %bb.1007:                             ;   in Loop: Header=BB19_949 Depth=2
	ds_write_b32 v0, v46
	s_trap 2
.LBB19_1008:                            ;   in Loop: Header=BB19_949 Depth=2
	s_or_b64 exec, exec, s[52:53]
	;;#ASMSTART
	s_wakeup
	;;#ASMEND
.LBB19_1009:                            ;   in Loop: Header=BB19_949 Depth=2
	s_or_b64 exec, exec, s[50:51]
.LBB19_1010:                            ;   in Loop: Header=BB19_949 Depth=2
	s_andn2_saveexec_b64 s[28:29], s[28:29]
	s_cbranch_execz .LBB19_1012
; %bb.1011:                             ;   in Loop: Header=BB19_949 Depth=2
	;;#ASMSTART
	s_waitcnt lgkmcnt(0) vmcnt(0)
	;;#ASMEND
	s_barrier
.LBB19_1012:                            ;   in Loop: Header=BB19_949 Depth=2
	s_or_b64 exec, exec, s[28:29]
.LBB19_1013:                            ;   in Loop: Header=BB19_949 Depth=2
	s_or_b64 exec, exec, s[22:23]
	v_and_b32_e32 v0, 32, v62
	v_cmp_ne_u32_e32 vcc, 0, v0
	s_and_saveexec_b64 s[22:23], vcc
	s_cbranch_execz .LBB19_948
; %bb.1014:                             ;   in Loop: Header=BB19_949 Depth=2
	v_lshl_add_u64 v[50:51], v[50:51], 0, 2
	flat_store_dwordx2 v[26:27], v[50:51] sc0 sc1
	s_branch .LBB19_948
.LBB19_1015:
	s_or_b64 exec, exec, s[38:39]
	v_accvgpr_write_b32 a2, v32
	v_accvgpr_read_b32 v21, a19
	v_accvgpr_write_b32 a3, v33
	v_accvgpr_read_b32 v16, a0
	s_waitcnt vmcnt(0)
	v_accvgpr_read_b32 v31, a1
	v_accvgpr_read_b32 v17, a5
	;; [unrolled: 1-line block ×3, first 2 shown]
.LBB19_1016:
	s_or_b64 exec, exec, s[36:37]
	v_and_b32_e32 v0, 0x800, v62
	v_cmp_eq_u32_e32 vcc, 0, v0
	s_mov_b64 s[0:1], exec
	v_accvgpr_read_b32 v2, a2
	s_and_b64 s[2:3], s[0:1], vcc
	v_accvgpr_read_b32 v3, a3
	s_mov_b64 exec, s[2:3]
	s_cbranch_execz .LBB19_1051
; %bb.1017:
	v_and_b32_e32 v0, 48, v62
	v_cmp_ne_u32_e32 vcc, 0, v0
	s_and_saveexec_b64 s[2:3], vcc
	s_cbranch_execz .LBB19_1019
; %bb.1018:
	flat_store_dwordx2 v[20:21], v[50:51] offset:104
.LBB19_1019:
	s_or_b64 exec, exec, s[2:3]
	s_movk_i32 s2, 0x88
	v_and_b32_e32 v0, 0x88, v62
	v_cmp_eq_u32_e32 vcc, s2, v0
	s_and_saveexec_b64 s[2:3], vcc
	s_cbranch_execz .LBB19_1031
; %bb.1020:
	v_add_u32_e32 v0, 6, v50
	v_and_b32_e32 v0, 7, v0
	v_mad_u64_u32 v[0:1], s[4:5], v0, 24, v[2:3]
	v_lshl_add_u64 v[2:3], v[0:1], 0, 8
	s_mov_b64 s[4:5], 0
	v_mov_b32_e32 v0, 0
	s_movk_i32 s20, 0x270e
                                        ; implicit-def: $sgpr6_sgpr7
	s_branch .LBB19_1025
.LBB19_1021:                            ;   in Loop: Header=BB19_1025 Depth=1
	s_or_b64 exec, exec, s[18:19]
	v_mov_b32_e32 v1, 0
	s_orn2_b64 s[16:17], s[16:17], exec
.LBB19_1022:                            ;   in Loop: Header=BB19_1025 Depth=1
	s_or_b64 exec, exec, s[14:15]
	s_and_b64 s[14:15], s[16:17], exec
	v_mov_b32_e32 v0, v1
.LBB19_1023:                            ;   in Loop: Header=BB19_1025 Depth=1
	s_or_b64 exec, exec, s[12:13]
	s_xor_b64 s[12:13], s[14:15], -1
	s_andn2_b64 s[6:7], s[6:7], exec
	s_and_b64 s[12:13], s[12:13], exec
	s_or_b64 s[6:7], s[6:7], s[12:13]
.LBB19_1024:                            ;   in Loop: Header=BB19_1025 Depth=1
	s_or_b64 exec, exec, s[10:11]
	s_and_b64 s[10:11], exec, s[6:7]
	s_or_b64 s[4:5], s[10:11], s[4:5]
	s_andn2_b64 exec, exec, s[4:5]
	s_cbranch_execz .LBB19_1030
.LBB19_1025:                            ; =>This Inner Loop Header: Depth=1
	flat_load_dwordx2 v[4:5], v[2:3] sc0 sc1
	s_waitcnt vmcnt(0)
	s_or_b64 s[6:7], s[6:7], exec
	s_waitcnt lgkmcnt(0)
	v_cmp_ne_u64_e32 vcc, -1, v[4:5]
	s_and_saveexec_b64 s[10:11], vcc
	s_cbranch_execz .LBB19_1024
; %bb.1026:                             ;   in Loop: Header=BB19_1025 Depth=1
	v_and_b32_e32 v1, 64, v62
	v_cmp_eq_u32_e32 vcc, 0, v1
	s_mov_b64 s[14:15], 0
	s_and_saveexec_b64 s[12:13], vcc
	s_cbranch_execz .LBB19_1023
; %bb.1027:                             ;   in Loop: Header=BB19_1025 Depth=1
	v_add_u32_e32 v1, 1, v0
	v_cmp_lt_i32_e32 vcc, s20, v0
	s_mov_b64 s[16:17], -1
	s_and_saveexec_b64 s[14:15], vcc
	s_cbranch_execz .LBB19_1022
; %bb.1028:                             ;   in Loop: Header=BB19_1025 Depth=1
	s_trap 2
	ds_read_b64 v[0:1], v0
	s_waitcnt lgkmcnt(0)
	flat_load_dword v0, v[0:1] sc0 sc1
	s_waitcnt vmcnt(0) lgkmcnt(0)
	buffer_inv sc0 sc1
	v_cmp_ne_u32_e32 vcc, 0, v0
	s_and_saveexec_b64 s[18:19], vcc
	s_cbranch_execz .LBB19_1021
; %bb.1029:                             ;   in Loop: Header=BB19_1025 Depth=1
	v_or_b32_e32 v62, 64, v62
	s_xor_b64 s[16:17], exec, -1
	ds_write_b32 v0, v0
	s_trap 2
	s_branch .LBB19_1021
.LBB19_1030:
	s_or_b64 exec, exec, s[4:5]
.LBB19_1031:
	s_or_b64 exec, exec, s[2:3]
	v_and_b32_e32 v0, 0x2000, v62
	v_cmp_ne_u32_e32 vcc, 0, v0
	s_and_saveexec_b64 s[2:3], vcc
	s_cbranch_execz .LBB19_1033
; %bb.1032:
	s_trap 2
	ds_read_b64 v[0:1], v0
	v_accvgpr_read_b32 v2, a16
	v_accvgpr_read_b32 v3, a17
	s_waitcnt lgkmcnt(0)
	flat_store_dwordx2 v[2:3], v[0:1] offset:16
.LBB19_1033:
	s_or_b64 exec, exec, s[2:3]
	v_cmp_ne_u32_e32 vcc, 64, v16
	s_and_b64 exec, exec, vcc
	s_cbranch_execz .LBB19_1051
; %bb.1034:
	s_waitcnt vmcnt(0)
	v_cmp_ne_u32_sdwa s[2:3], v17, v16 src0_sel:WORD_0 src1_sel:DWORD
	s_and_saveexec_b64 s[4:5], s[2:3]
	s_xor_b64 s[2:3], exec, s[4:5]
	s_cbranch_execz .LBB19_1049
; %bb.1035:
	v_and_b32_e32 v0, 63, v31
	v_cmp_eq_u32_e32 vcc, 0, v0
	s_and_saveexec_b64 s[4:5], vcc
	s_cbranch_execz .LBB19_1048
; %bb.1036:
	s_mov_b64 s[10:11], exec
	v_mbcnt_lo_u32_b32 v0, s10, 0
	v_mbcnt_hi_u32_b32 v0, s11, v0
	v_cmp_eq_u32_e32 vcc, 0, v0
	s_waitcnt lgkmcnt(0)
	s_and_saveexec_b64 s[6:7], vcc
	s_cbranch_execz .LBB19_1038
; %bb.1037:
	s_bcnt1_i32_b64 s10, s[10:11]
	v_mov_b32_e32 v0, s10
	v_mov_b32_e32 v1, 0
	ds_add_u64 v0, v[0:1]
	s_trap 2
.LBB19_1038:
	s_or_b64 exec, exec, s[6:7]
	v_ashrrev_i32_e32 v0, 31, v16
	v_lshrrev_b32_e32 v0, 26, v0
	s_trap 2
	ds_read_b64 v[2:3], v0
	v_add_u32_e32 v0, v16, v0
	v_ashrrev_i32_e32 v0, 6, v0
	v_ashrrev_i32_e32 v1, 31, v0
	v_lshl_add_u64 v[0:1], v[14:15], 0, v[0:1]
	s_waitcnt lgkmcnt(0)
	v_cmp_lt_u64_e32 vcc, v[2:3], v[0:1]
	s_and_saveexec_b64 s[6:7], vcc
	s_cbranch_execz .LBB19_1047
; %bb.1039:
	s_mov_b32 s22, 0
	s_mov_b64 s[10:11], 0
                                        ; implicit-def: $sgpr12_sgpr13
                                        ; implicit-def: $sgpr14_sgpr15
	s_branch .LBB19_1041
.LBB19_1040:                            ;   in Loop: Header=BB19_1041 Depth=1
	s_or_b64 exec, exec, s[20:21]
	s_and_b64 s[16:17], exec, s[18:19]
	s_or_b64 s[10:11], s[16:17], s[10:11]
	s_andn2_b64 s[12:13], s[12:13], exec
	s_and_b64 s[16:17], s[14:15], exec
	s_or_b64 s[12:13], s[12:13], s[16:17]
	s_andn2_b64 exec, exec, s[10:11]
	s_cbranch_execz .LBB19_1045
.LBB19_1041:                            ; =>This Inner Loop Header: Depth=1
	s_add_i32 s22, s22, 1
	s_cmpk_lg_i32 s22, 0x2710
	s_cselect_b64 s[16:17], -1, 0
	s_and_b64 vcc, exec, s[16:17]
                                        ; implicit-def: $sgpr20_sgpr21
	s_cbranch_vccnz .LBB19_1043
; %bb.1042:                             ;   in Loop: Header=BB19_1041 Depth=1
	s_trap 2
	ds_read_b64 v[2:3], v0
	s_andn2_b64 s[16:17], s[16:17], exec
	s_mov_b32 s22, 0
	s_mov_b64 s[20:21], -1
	s_waitcnt lgkmcnt(0)
	flat_load_dword v2, v[2:3] sc0 sc1
	s_waitcnt vmcnt(0) lgkmcnt(0)
	buffer_inv sc0 sc1
	v_cmp_eq_u32_e32 vcc, 0, v2
	s_and_b64 s[18:19], vcc, exec
	s_or_b64 s[16:17], s[16:17], s[18:19]
.LBB19_1043:                            ;   in Loop: Header=BB19_1041 Depth=1
	s_andn2_b64 s[14:15], s[14:15], exec
	s_and_b64 s[20:21], s[20:21], exec
	s_mov_b64 s[18:19], -1
	s_or_b64 s[14:15], s[14:15], s[20:21]
	s_and_saveexec_b64 s[20:21], s[16:17]
	s_cbranch_execz .LBB19_1040
; %bb.1044:                             ;   in Loop: Header=BB19_1041 Depth=1
	s_sleep 1
	s_trap 2
	ds_read_b64 v[2:3], v0
	s_andn2_b64 s[14:15], s[14:15], exec
	s_waitcnt lgkmcnt(0)
	v_cmp_ge_u64_e32 vcc, v[2:3], v[0:1]
	s_orn2_b64 s[18:19], vcc, exec
	s_branch .LBB19_1040
.LBB19_1045:
	s_or_b64 exec, exec, s[10:11]
	s_and_saveexec_b64 s[10:11], s[12:13]
	s_xor_b64 s[10:11], exec, s[10:11]
	s_cbranch_execz .LBB19_1047
; %bb.1046:
	v_mov_b32_e32 v0, 1
	ds_write_b32 v0, v0
	s_trap 2
.LBB19_1047:
	s_or_b64 exec, exec, s[6:7]
	;;#ASMSTART
	s_wakeup
	;;#ASMEND
.LBB19_1048:
	s_or_b64 exec, exec, s[4:5]
.LBB19_1049:
	s_andn2_saveexec_b64 s[2:3], s[2:3]
	s_cbranch_execz .LBB19_1051
; %bb.1050:
	s_waitcnt lgkmcnt(0)
	s_barrier
.LBB19_1051:
	s_or_b64 exec, exec, s[0:1]
.LBB19_1052:
	s_andn2_saveexec_b64 s[22:23], s[30:31]
	s_cbranch_execz .LBB19_1054
; %bb.1053:
	s_getpc_b64 s[0:1]
	s_add_u32 s0, s0, __PRETTY_FUNCTION__._ZN10PrimitivesIa7FuncSumIaE12FanSymmetricILi1EELi0E11ProtoSimpleILi2ELi2ELi0ELi4ELi0ELi0EELi0ELb0ELi0ELi0ELi0EEC2EiiPKiS8_PKvPvmhhhP15ncclDevWorkCollP14ncclDevWorkP2pii@rel32@lo+4
	s_addc_u32 s1, s1, __PRETTY_FUNCTION__._ZN10PrimitivesIa7FuncSumIaE12FanSymmetricILi1EELi0E11ProtoSimpleILi2ELi2ELi0ELi4ELi0ELi0EELi0ELb0ELi0ELi0ELi0EEC2EiiPKiS8_PKvPvmhhhP15ncclDevWorkCollP14ncclDevWorkP2pii@rel32@hi+12
	v_mov_b32_e32 v0, s0
	v_mov_b32_e32 v1, s1
	s_getpc_b64 s[2:3]
	s_add_u32 s2, s2, __assert_fail@rel32@lo+4
	s_addc_u32 s3, s3, __assert_fail@rel32@hi+12
	s_swappc_b64 s[30:31], s[2:3]
	; divergent unreachable
.LBB19_1054:
	s_or_b64 exec, exec, s[22:23]
.LBB19_1055:
	s_or_b64 exec, exec, s[34:35]
	scratch_load_dword a59, off, s33        ; 4-byte Folded Reload
	scratch_load_dword a58, off, s33 offset:4 ; 4-byte Folded Reload
	scratch_load_dword a57, off, s33 offset:8 ; 4-byte Folded Reload
	scratch_load_dword a56, off, s33 offset:12 ; 4-byte Folded Reload
	scratch_load_dword a55, off, s33 offset:16 ; 4-byte Folded Reload
	scratch_load_dword a54, off, s33 offset:20 ; 4-byte Folded Reload
	scratch_load_dword a53, off, s33 offset:24 ; 4-byte Folded Reload
	scratch_load_dword a52, off, s33 offset:28 ; 4-byte Folded Reload
	scratch_load_dword a51, off, s33 offset:32 ; 4-byte Folded Reload
	scratch_load_dword a50, off, s33 offset:36 ; 4-byte Folded Reload
	scratch_load_dword a49, off, s33 offset:40 ; 4-byte Folded Reload
	scratch_load_dword a48, off, s33 offset:44 ; 4-byte Folded Reload
	scratch_load_dword a47, off, s33 offset:48 ; 4-byte Folded Reload
	scratch_load_dword a46, off, s33 offset:52 ; 4-byte Folded Reload
	scratch_load_dword a45, off, s33 offset:56 ; 4-byte Folded Reload
	scratch_load_dword a44, off, s33 offset:60 ; 4-byte Folded Reload
	scratch_load_dword a43, off, s33 offset:64 ; 4-byte Folded Reload
	scratch_load_dword a42, off, s33 offset:68 ; 4-byte Folded Reload
	scratch_load_dword a41, off, s33 offset:72 ; 4-byte Folded Reload
	scratch_load_dword a40, off, s33 offset:76 ; 4-byte Folded Reload
	scratch_load_dword a39, off, s33 offset:80 ; 4-byte Folded Reload
	scratch_load_dword a38, off, s33 offset:84 ; 4-byte Folded Reload
	scratch_load_dword a37, off, s33 offset:88 ; 4-byte Folded Reload
	scratch_load_dword a36, off, s33 offset:92 ; 4-byte Folded Reload
	scratch_load_dword a35, off, s33 offset:96 ; 4-byte Folded Reload
	scratch_load_dword a34, off, s33 offset:100 ; 4-byte Folded Reload
	scratch_load_dword a33, off, s33 offset:104 ; 4-byte Folded Reload
	scratch_load_dword a32, off, s33 offset:108 ; 4-byte Folded Reload
	scratch_load_dword v62, off, s33 offset:112 ; 4-byte Folded Reload
	scratch_load_dword v61, off, s33 offset:116 ; 4-byte Folded Reload
	scratch_load_dword v60, off, s33 offset:120 ; 4-byte Folded Reload
	s_waitcnt lgkmcnt(0)
	scratch_load_dword v59, off, s33 offset:124 ; 4-byte Folded Reload
	scratch_load_dword v58, off, s33 offset:128 ; 4-byte Folded Reload
	scratch_load_dword v57, off, s33 offset:132 ; 4-byte Folded Reload
	scratch_load_dword v56, off, s33 offset:136 ; 4-byte Folded Reload
	scratch_load_dword v47, off, s33 offset:140 ; 4-byte Folded Reload
	scratch_load_dword v46, off, s33 offset:144 ; 4-byte Folded Reload
	scratch_load_dword v45, off, s33 offset:148 ; 4-byte Folded Reload
	scratch_load_dword v44, off, s33 offset:152 ; 4-byte Folded Reload
	scratch_load_dword v43, off, s33 offset:156 ; 4-byte Folded Reload
	scratch_load_dword v42, off, s33 offset:160 ; 4-byte Folded Reload
	scratch_load_dword v41, off, s33 offset:164 ; 4-byte Folded Reload
	scratch_load_dword v40, off, s33 offset:168 ; 4-byte Folded Reload
	v_readlane_b32 s30, v63, 45
	v_readlane_b32 s31, v63, 46
	;; [unrolled: 1-line block ×48, first 2 shown]
	s_or_saveexec_b64 s[2:3], -1
	scratch_load_dword v63, off, s33 offset:180 ; 4-byte Folded Reload
	s_mov_b64 exec, s[2:3]
	s_addk_i32 s32, 0xff40
	s_mov_b32 s33, s0
	s_waitcnt vmcnt(0)
	s_setpc_b64 s[30:31]
.Lfunc_end19:
	.size	_ZN12_GLOBAL__N_17runRingIa7FuncSumIaE11ProtoSimpleILi2ELi2ELi0ELi4ELi0ELi0EELi0ELi4ELi0ELb0EEEviiP15ncclDevWorkColl, .Lfunc_end19-_ZN12_GLOBAL__N_17runRingIa7FuncSumIaE11ProtoSimpleILi2ELi2ELi0ELi4ELi0ELi0EELi0ELi4ELi0ELb0EEEviiP15ncclDevWorkColl
                                        ; -- End function
	.section	.AMDGPU.csdata,"",@progbits
; Function info:
; codeLenInByte = 38128
; NumSgprs: 85
; NumVgprs: 64
; NumAgprs: 60
; TotalNumVgprs: 124
; ScratchSize: 256
; MemoryBound: 0
	.text
	.p2align	2                               ; -- Begin function _Z46ncclDevFunc_AllGather_RING_SIMPLE_Sum_i8_0_0_4v
	.type	_Z46ncclDevFunc_AllGather_RING_SIMPLE_Sum_i8_0_0_4v,@function
_Z46ncclDevFunc_AllGather_RING_SIMPLE_Sum_i8_0_0_4v: ; @_Z46ncclDevFunc_AllGather_RING_SIMPLE_Sum_i8_0_0_4v
; %bb.0:
	s_waitcnt vmcnt(0) expcnt(0) lgkmcnt(0)
	s_mov_b32 s0, s33
	s_mov_b32 s33, s32
	s_or_saveexec_b64 s[2:3], -1
	scratch_store_dword off, v44, s33 offset:20 ; 4-byte Folded Spill
	s_mov_b64 exec, s[2:3]
	v_writelane_b32 v44, s0, 58
	s_add_i32 s32, s32, 32
	scratch_store_dword off, v40, s33 offset:16 ; 4-byte Folded Spill
	scratch_store_dword off, v41, s33 offset:12 ; 4-byte Folded Spill
	;; [unrolled: 1-line block ×4, first 2 shown]
	scratch_store_dword off, v63, s33       ; 4-byte Folded Spill
	v_writelane_b32 v44, s34, 0
	v_writelane_b32 v44, s35, 1
	;; [unrolled: 1-line block ×57, first 2 shown]
	s_nop 1
	v_writelane_b32 v44, s31, 57
	s_trap 2
	ds_read_b32 v0, v0
	v_mov_b32_e32 v40, v31
	s_mov_b32 s84, s12
	s_mov_b64 s[82:83], s[8:9]
	s_waitcnt lgkmcnt(0)
	v_cmp_gt_i32_e32 vcc, 1, v0
	s_cbranch_vccnz .LBB20_11
; %bb.1:
	s_mov_b32 s85, 0
	v_and_b32_e32 v41, 0x3ff, v40
	s_mov_b64 s[86:87], src_shared_base
	v_mov_b32_e32 v43, 6
	s_branch .LBB20_3
.LBB20_2:                               ;   in Loop: Header=BB20_3 Depth=1
	s_or_b64 exec, exec, s[88:89]
	s_trap 2
	ds_read_b32 v0, v0
	s_add_i32 s85, s85, 1
	s_waitcnt lgkmcnt(0)
	v_cmp_lt_i32_e32 vcc, s85, v0
	s_cbranch_vccz .LBB20_11
.LBB20_3:                               ; =>This Inner Loop Header: Depth=1
	s_trap 2
	ds_read_b32 v0, v0
	s_cmp_eq_u32 s85, 0
	s_cbranch_scc1 .LBB20_6
; %bb.4:                                ;   in Loop: Header=BB20_3 Depth=1
	s_trap 2
	s_waitcnt lgkmcnt(0)
	ds_read_b32 v1, v0
	s_waitcnt lgkmcnt(0)
	v_xor_b32_e32 v1, v1, v0
	v_and_b32_e32 v1, 0xff0000, v1
	v_cmp_eq_u32_e32 vcc, 0, v1
	s_cbranch_vccnz .LBB20_6
; %bb.5:                                ;   in Loop: Header=BB20_3 Depth=1
	s_barrier
	ds_read_b32 v0, v0
.LBB20_6:                               ;   in Loop: Header=BB20_3 Depth=1
	s_waitcnt lgkmcnt(0)
	v_lshlrev_b32_sdwa v42, v43, v0 dst_sel:DWORD dst_unused:UNUSED_PAD src0_sel:DWORD src1_sel:BYTE_2
	v_cmp_lt_u32_e32 vcc, v41, v42
	s_and_saveexec_b64 s[88:89], vcc
	s_cbranch_execz .LBB20_2
; %bb.7:                                ;   in Loop: Header=BB20_3 Depth=1
	v_cmp_lt_i32_e32 vcc, -1, v0
	s_mov_b64 s[0:1], -1
	s_cbranch_vccnz .LBB20_9
; %bb.8:                                ;   in Loop: Header=BB20_3 Depth=1
	s_mov_b64 s[8:9], s[82:83]
	s_mov_b32 s12, s84
	v_mov_b32_e32 v31, v40
	v_mov_b32_e32 v0, v41
	;; [unrolled: 1-line block ×4, first 2 shown]
	s_getpc_b64 s[0:1]
	s_add_u32 s0, s0, _ZN12_GLOBAL__N_17runRingIa7FuncSumIaE11ProtoSimpleILi1ELi4ELi0ELi4ELi0ELi0EELi0ELi4ELi0ELb0EEEviiP15ncclDevWorkColl@rel32@lo+4
	s_addc_u32 s1, s1, _ZN12_GLOBAL__N_17runRingIa7FuncSumIaE11ProtoSimpleILi1ELi4ELi0ELi4ELi0ELi0EELi0ELi4ELi0ELb0EEEviiP15ncclDevWorkColl@rel32@hi+12
	s_swappc_b64 s[30:31], s[0:1]
	s_mov_b64 s[0:1], 0
.LBB20_9:                               ;   in Loop: Header=BB20_3 Depth=1
	s_andn2_b64 vcc, exec, s[0:1]
	s_cbranch_vccnz .LBB20_2
; %bb.10:                               ;   in Loop: Header=BB20_3 Depth=1
	s_mov_b64 s[8:9], s[82:83]
	s_mov_b32 s12, s84
	v_mov_b32_e32 v31, v40
	v_mov_b32_e32 v0, v41
	;; [unrolled: 1-line block ×4, first 2 shown]
	s_getpc_b64 s[0:1]
	s_add_u32 s0, s0, _ZN12_GLOBAL__N_17runRingIa7FuncSumIaE11ProtoSimpleILi2ELi2ELi0ELi4ELi0ELi0EELi0ELi4ELi0ELb0EEEviiP15ncclDevWorkColl@rel32@lo+4
	s_addc_u32 s1, s1, _ZN12_GLOBAL__N_17runRingIa7FuncSumIaE11ProtoSimpleILi2ELi2ELi0ELi4ELi0ELi0EELi0ELi4ELi0ELb0EEEviiP15ncclDevWorkColl@rel32@hi+12
	s_swappc_b64 s[30:31], s[0:1]
	s_branch .LBB20_2
.LBB20_11:
	scratch_load_dword v63, off, s33        ; 4-byte Folded Reload
	scratch_load_dword v43, off, s33 offset:4 ; 4-byte Folded Reload
	scratch_load_dword v42, off, s33 offset:8 ; 4-byte Folded Reload
	;; [unrolled: 1-line block ×4, first 2 shown]
	v_readlane_b32 s30, v44, 56
	v_readlane_b32 s31, v44, 57
	;; [unrolled: 1-line block ×59, first 2 shown]
	s_or_saveexec_b64 s[2:3], -1
	scratch_load_dword v44, off, s33 offset:20 ; 4-byte Folded Reload
	s_mov_b64 exec, s[2:3]
	s_addk_i32 s32, 0xffe0
	s_mov_b32 s33, s0
	s_waitcnt vmcnt(0)
	s_setpc_b64 s[30:31]
.Lfunc_end20:
	.size	_Z46ncclDevFunc_AllGather_RING_SIMPLE_Sum_i8_0_0_4v, .Lfunc_end20-_Z46ncclDevFunc_AllGather_RING_SIMPLE_Sum_i8_0_0_4v
                                        ; -- End function
	.section	.AMDGPU.csdata,"",@progbits
; Function info:
; codeLenInByte = 1404
; NumSgprs: 96
; NumVgprs: 64
; NumAgprs: 60
; TotalNumVgprs: 124
; ScratchSize: 288
; MemoryBound: 0
	.text
	.p2align	2                               ; -- Begin function _Z41ncclDevFunc_AllGather_PAT_LL_Sum_i8_0_0_4v
	.type	_Z41ncclDevFunc_AllGather_PAT_LL_Sum_i8_0_0_4v,@function
_Z41ncclDevFunc_AllGather_PAT_LL_Sum_i8_0_0_4v: ; @_Z41ncclDevFunc_AllGather_PAT_LL_Sum_i8_0_0_4v
; %bb.0:
	s_waitcnt vmcnt(0) expcnt(0) lgkmcnt(0)
	s_trap 2
	ds_read_b32 v0, v0
	s_waitcnt lgkmcnt(0)
	v_cmp_gt_i32_e32 vcc, 1, v0
	s_cbranch_vccnz .LBB21_6
; %bb.1:
	s_mov_b32 s0, 0
	s_branch .LBB21_3
.LBB21_2:                               ;   in Loop: Header=BB21_3 Depth=1
	s_add_i32 s0, s0, 1
	s_waitcnt lgkmcnt(0)
	v_cmp_lt_i32_e32 vcc, s0, v0
	s_cbranch_vccz .LBB21_6
.LBB21_3:                               ; =>This Inner Loop Header: Depth=1
	s_cmp_eq_u32 s0, 0
	s_cbranch_scc1 .LBB21_2
; %bb.4:                                ;   in Loop: Header=BB21_3 Depth=1
	s_trap 2
	ds_read_b32 v1, v0
	s_waitcnt lgkmcnt(0)
	v_xor_b32_e32 v1, v1, v1
	v_and_b32_e32 v1, 0xff0000, v1
	v_cmp_eq_u32_e32 vcc, 0, v1
	s_cbranch_vccnz .LBB21_2
; %bb.5:                                ;   in Loop: Header=BB21_3 Depth=1
	s_barrier
	s_trap 2
	ds_read_b32 v0, v0
	s_branch .LBB21_2
.LBB21_6:
	s_setpc_b64 s[30:31]
.Lfunc_end21:
	.size	_Z41ncclDevFunc_AllGather_PAT_LL_Sum_i8_0_0_4v, .Lfunc_end21-_Z41ncclDevFunc_AllGather_PAT_LL_Sum_i8_0_0_4v
                                        ; -- End function
	.section	.AMDGPU.csdata,"",@progbits
; Function info:
; codeLenInByte = 120
; NumSgprs: 38
; NumVgprs: 2
; NumAgprs: 0
; TotalNumVgprs: 2
; ScratchSize: 0
; MemoryBound: 0
	.text
	.p2align	2                               ; -- Begin function _Z45ncclDevFunc_AllGather_PAT_SIMPLE_Sum_i8_0_0_4v
	.type	_Z45ncclDevFunc_AllGather_PAT_SIMPLE_Sum_i8_0_0_4v,@function
_Z45ncclDevFunc_AllGather_PAT_SIMPLE_Sum_i8_0_0_4v: ; @_Z45ncclDevFunc_AllGather_PAT_SIMPLE_Sum_i8_0_0_4v
; %bb.0:
	s_waitcnt vmcnt(0) expcnt(0) lgkmcnt(0)
	s_or_saveexec_b64 s[0:1], -1
	scratch_store_dword off, v63, s32 offset:416 ; 4-byte Folded Spill
	s_mov_b64 exec, s[0:1]
	v_accvgpr_write_b32 a31, v40            ;  Reload Reuse
	scratch_store_dword off, v41, s32 offset:68 ; 4-byte Folded Spill
	scratch_store_dword off, v42, s32 offset:64 ; 4-byte Folded Spill
	;; [unrolled: 1-line block ×17, first 2 shown]
	scratch_store_dword off, a35, s32       ; 4-byte Folded Spill
	v_writelane_b32 v63, s34, 0
	v_writelane_b32 v63, s35, 1
	;; [unrolled: 1-line block ×40, first 2 shown]
	s_nop 1
	v_writelane_b32 v63, s31, 40
	s_trap 2
	ds_read_b32 v0, v0
	s_waitcnt lgkmcnt(0)
	v_cmp_gt_i32_e32 vcc, 1, v0
	s_cbranch_vccnz .LBB22_389
; %bb.1:
	s_load_dword s0, s[8:9], 0x0
	v_mov_b32_e32 v32, 0
	v_and_b32_e32 v30, 0x3ff, v31
	s_mov_b32 s26, 0
	v_and_b32_e32 v0, 63, v30
	s_waitcnt lgkmcnt(0)
	s_cmp_lt_u32 s12, s0
	s_cselect_b32 s0, 12, 18
	s_add_u32 s0, s8, s0
	s_addc_u32 s1, s9, 0
	global_load_ushort v43, v32, s[0:1]
	s_add_i32 s12, s32, 0x48
	s_movk_i32 s8, 0x80
	s_mov_b32 s68, s12
	s_mov_b64 s[38:39], src_shared_base
	s_brev_b32 s27, 1
	v_cmp_gt_u32_e64 s[0:1], 32, v30
	v_cmp_eq_u32_e64 s[2:3], 0, v30
	v_cmp_eq_u32_e64 s[4:5], s8, v30
	v_cmp_ne_u32_e64 s[6:7], s8, v30
	v_cmp_gt_u32_e64 s[8:9], s8, v30
	v_accvgpr_write_b32 a11, v0
	v_cmp_eq_u32_e64 s[10:11], 0, v0
	s_addk_i32 s68, 0xd8
	s_mov_b64 s[28:29], 0x1f8
	v_mov_b32_e32 v36, 1
	s_mov_b64 s[30:31], 0x2000
	s_mov_b64 s[34:35], 0x400
	;; [unrolled: 1-line block ×3, first 2 shown]
	s_movk_i32 s38, 0x270e
	s_movk_i32 s69, 0x88
	v_mov_b32_e32 v46, -1
	v_mov_b32_e32 v58, 2
	s_mov_b32 s70, s26
	s_trap 2
	s_branch .LBB22_4
.LBB22_2:                               ;   in Loop: Header=BB22_4 Depth=1
	s_or_b64 exec, exec, s[22:23]
.LBB22_3:                               ;   in Loop: Header=BB22_4 Depth=1
	s_or_b64 exec, exec, s[40:41]
	s_trap 2
	ds_read_b32 v0, v0
	s_add_i32 s70, s70, 1
	s_waitcnt lgkmcnt(0)
	v_cmp_lt_i32_e32 vcc, s70, v0
	s_cbranch_vccz .LBB22_389
.LBB22_4:                               ; =>This Loop Header: Depth=1
                                        ;     Child Loop BB22_18 Depth 2
                                        ;     Child Loop BB22_26 Depth 2
	;; [unrolled: 1-line block ×4, first 2 shown]
                                        ;       Child Loop BB22_54 Depth 3
                                        ;       Child Loop BB22_63 Depth 3
	;; [unrolled: 1-line block ×12, first 2 shown]
                                        ;     Child Loop BB22_232 Depth 2
                                        ;     Child Loop BB22_243 Depth 2
	;; [unrolled: 1-line block ×7, first 2 shown]
                                        ;       Child Loop BB22_290 Depth 3
                                        ;       Child Loop BB22_352 Depth 3
	;; [unrolled: 1-line block ×5, first 2 shown]
	s_trap 2
	ds_read_b32 v0, v0
	s_cmp_eq_u32 s70, 0
	s_waitcnt lgkmcnt(0)
	v_readfirstlane_b32 s12, v0
	s_cbranch_scc1 .LBB22_7
; %bb.5:                                ;   in Loop: Header=BB22_4 Depth=1
	s_trap 2
	ds_read_b32 v0, v0
	s_waitcnt lgkmcnt(0)
	v_xor_b32_e32 v0, s12, v0
	v_and_b32_e32 v0, 0xff0000, v0
	v_cmp_eq_u32_e32 vcc, 0, v0
	s_cbranch_vccnz .LBB22_7
; %bb.6:                                ;   in Loop: Header=BB22_4 Depth=1
	s_barrier
	s_trap 2
	ds_read_b32 v0, v0
	s_waitcnt lgkmcnt(0)
	v_readfirstlane_b32 s12, v0
.LBB22_7:                               ;   in Loop: Header=BB22_4 Depth=1
	s_bfe_u32 s14, s12, 0x80010
	s_lshl_b32 s16, s14, 6
	v_cmp_gt_u32_e32 vcc, s16, v30
	s_and_saveexec_b64 s[40:41], vcc
	s_cbranch_execz .LBB22_3
; %bb.8:                                ;   in Loop: Header=BB22_4 Depth=1
	s_trap 2
	ds_read_b64 v[6:7], v0
	ds_read_b32 v4, v0
	ds_read2_b64 v[0:3], v0 offset1:1
	s_and_b32 s15, s12, 0xff
	s_bfe_u32 s13, s12, 0x80008
	s_not_b32 s12, s15
	s_add_i32 s17, s13, s12
	s_ashr_i32 s18, s17, 31
	s_waitcnt lgkmcnt(0)
	v_mul_lo_u32 v5, v2, s18
	v_mul_hi_u32 v8, v2, s17
	v_add_u32_e32 v5, v8, v5
	v_mul_lo_u32 v8, v3, s17
	v_add_u32_e32 v9, v5, v8
	v_mul_lo_u32 v8, v2, s17
	v_cmp_ne_u32_e32 vcc, s15, v4
	v_readfirstlane_b32 s72, v6
	v_readfirstlane_b32 s71, v7
	v_lshl_add_u64 v[8:9], v[8:9], 0, v[0:1]
	s_cbranch_vccz .LBB22_11
; %bb.9:                                ;   in Loop: Header=BB22_4 Depth=1
	v_cmp_ne_u32_e32 vcc, s13, v4
	s_cbranch_vccz .LBB22_12
; %bb.10:                               ;   in Loop: Header=BB22_4 Depth=1
	v_add_u32_e32 v4, s12, v4
	v_ashrrev_i32_e32 v5, 31, v4
	v_mul_lo_u32 v5, v2, v5
	v_mul_hi_u32 v10, v2, v4
	v_add_u32_e32 v5, v10, v5
	s_trap 2
	ds_read_b64 v[10:11], v0
	v_mul_lo_u32 v12, v3, v4
	v_add_u32_e32 v5, v5, v12
	v_mul_lo_u32 v4, v2, v4
	v_lshl_add_u64 v[4:5], v[4:5], 0, v[0:1]
	s_waitcnt lgkmcnt(0)
	v_lshrrev_b64 v[10:11], 12, v[10:11]
	s_cbranch_execz .LBB22_13
	s_branch .LBB22_14
.LBB22_11:                              ;   in Loop: Header=BB22_4 Depth=1
                                        ; implicit-def: $vgpr10_vgpr11
                                        ; implicit-def: $vgpr4_vgpr5
	s_branch .LBB22_15
.LBB22_12:                              ;   in Loop: Header=BB22_4 Depth=1
                                        ; implicit-def: $vgpr10_vgpr11
                                        ; implicit-def: $vgpr4_vgpr5
.LBB22_13:                              ;   in Loop: Header=BB22_4 Depth=1
	s_trap 2
	ds_read_b32 v2, v0
	v_mov_b64_e32 v[4:5], v[8:9]
	s_waitcnt lgkmcnt(0)
	v_lshrrev_b32_e32 v10, 1, v2
	v_mov_b64_e32 v[2:3], v[6:7]
.LBB22_14:                              ;   in Loop: Header=BB22_4 Depth=1
	s_cbranch_execnz .LBB22_16
.LBB22_15:                              ;   in Loop: Header=BB22_4 Depth=1
	s_trap 2
	ds_read_b64 v[2:3], v0
	v_mov_b64_e32 v[4:5], 0
	s_waitcnt lgkmcnt(0)
	v_lshlrev_b64 v[10:11], 9, v[2:3]
	v_mov_b64_e32 v[2:3], v[0:1]
.LBB22_16:                              ;   in Loop: Header=BB22_4 Depth=1
	s_barrier
	s_and_saveexec_b64 s[12:13], s[0:1]
	s_cbranch_execz .LBB22_19
; %bb.17:                               ;   in Loop: Header=BB22_4 Depth=1
	s_mul_i32 s17, s14, 0xe00
	s_mov_b64 s[14:15], 0
	v_mov_b32_e32 v1, v30
                                        ; implicit-def: $vgpr0
.LBB22_18:                              ;   Parent Loop BB22_4 Depth=1
                                        ; =>  This Inner Loop Header: Depth=2
	v_add_u32_e32 v1, s16, v1
	v_cmp_lt_u32_e32 vcc, 31, v1
	ds_write_b32 v0, v32
	s_or_b64 s[14:15], vcc, s[14:15]
	v_add_u32_e32 v0, s17, v0
	s_andn2_b64 exec, exec, s[14:15]
	s_cbranch_execnz .LBB22_18
.LBB22_19:                              ;   in Loop: Header=BB22_4 Depth=1
	s_or_b64 exec, exec, s[12:13]
	s_and_saveexec_b64 s[12:13], s[2:3]
	s_cbranch_execz .LBB22_21
; %bb.20:                               ;   in Loop: Header=BB22_4 Depth=1
	v_mov_b32_e32 v33, v32
	ds_write_b64 v0, v[32:33]
	s_trap 2
.LBB22_21:                              ;   in Loop: Header=BB22_4 Depth=1
	s_or_b64 exec, exec, s[12:13]
	s_and_saveexec_b64 s[12:13], s[4:5]
	s_cbranch_execz .LBB22_23
; %bb.22:                               ;   in Loop: Header=BB22_4 Depth=1
	ds_write_b32 v0, v32
	s_trap 2
.LBB22_23:                              ;   in Loop: Header=BB22_4 Depth=1
	s_or_b64 exec, exec, s[12:13]
	s_waitcnt lgkmcnt(0)
	s_barrier
	s_and_saveexec_b64 s[12:13], s[6:7]
	s_xor_b64 s[42:43], exec, s[12:13]
	s_cbranch_execz .LBB22_254
; %bb.24:                               ;   in Loop: Header=BB22_4 Depth=1
	s_and_saveexec_b64 s[44:45], s[8:9]
	s_cbranch_execz .LBB22_253
; %bb.25:                               ;   in Loop: Header=BB22_4 Depth=1
	s_trap 2
	ds_read_b128 v[0:3], v0
	s_mov_b64 s[12:13], 0
.LBB22_26:                              ;   Parent Loop BB22_4 Depth=1
                                        ; =>  This Inner Loop Header: Depth=2
	v_mov_b32_e32 v33, v32
	s_trap 2
	flat_load_dword v4, v[32:33] sc0 sc1
	s_waitcnt vmcnt(0) lgkmcnt(0)
	v_cmp_ne_u32_e32 vcc, 0, v4
	s_or_b64 s[12:13], vcc, s[12:13]
	s_andn2_b64 exec, exec, s[12:13]
	s_cbranch_execnz .LBB22_26
; %bb.27:                               ;   in Loop: Header=BB22_4 Depth=1
	s_or_b64 exec, exec, s[12:13]
	v_lshlrev_b32_e32 v5, 6, v4
	v_sub_u32_e32 v6, 0, v5
	v_max_i32_e32 v5, v5, v6
	v_cvt_f32_u32_e32 v6, v5
	v_sub_u32_e32 v7, 0, v5
	v_bfe_i32 v4, v4, 25, 1
	s_trap 2
	v_rcp_iflag_f32_e32 v6, v6
	v_mov_b32_e32 v33, 0x800
	v_mul_f32_e32 v6, 0x4f7ffffe, v6
	v_cvt_u32_f32_e32 v6, v6
	v_mul_lo_u32 v7, v7, v6
	v_mul_hi_u32 v7, v6, v7
	v_add_u32_e32 v6, v6, v7
	v_lshrrev_b32_e32 v6, 25, v6
	v_mul_lo_u32 v7, v6, v5
	v_sub_u32_e32 v7, 0x80, v7
	v_add_u32_e32 v8, 1, v6
	v_cmp_ge_u32_e32 vcc, v7, v5
	s_nop 1
	v_cndmask_b32_e32 v6, v6, v8, vcc
	v_sub_u32_e32 v8, v7, v5
	v_cndmask_b32_e32 v7, v7, v8, vcc
	v_add_u32_e32 v8, 1, v6
	v_cmp_ge_u32_e32 vcc, v7, v5
	s_nop 1
	v_cndmask_b32_e32 v5, v6, v8, vcc
	v_xor_b32_e32 v5, v5, v4
	v_sub_u32_e32 v48, v5, v4
	v_lshlrev_b32_e32 v24, 6, v48
	v_sub_u32_e32 v4, 0, v24
	v_max_i32_e32 v8, v24, v4
	v_cvt_f32_u32_e32 v4, v8
	v_sub_u32_e32 v7, 0, v8
	v_bfe_i32 v10, v48, 25, 1
	v_rcp_iflag_f32_e32 v6, v4
	ds_read_b64 v[4:5], v0
	v_mul_f32_e32 v6, 0x4f7ffffe, v6
	v_cvt_u32_f32_e32 v6, v6
	v_mul_lo_u32 v7, v7, v6
	v_mul_hi_u32 v7, v6, v7
	v_add_u32_e32 v11, v6, v7
	v_mul_hi_u32 v6, v30, v11
	v_mul_lo_u32 v7, v6, v8
	v_sub_u32_e32 v7, v30, v7
	v_add_u32_e32 v9, 1, v6
	v_cmp_ge_u32_e32 vcc, v7, v8
	s_nop 1
	v_cndmask_b32_e32 v6, v6, v9, vcc
	v_sub_u32_e32 v9, v7, v8
	v_cndmask_b32_e32 v7, v7, v9, vcc
	v_add_u32_e32 v9, 1, v6
	v_cmp_ge_u32_e32 vcc, v7, v8
	s_nop 1
	v_cndmask_b32_e32 v6, v6, v9, vcc
	v_xor_b32_e32 v6, v6, v10
	v_sub_u32_e32 v37, v6, v10
	v_mul_lo_u32 v9, v37, v24
	v_sub_u32_e32 v26, v30, v9
	v_cmp_gt_i32_e32 vcc, 5, v26
	v_ashrrev_i32_e32 v27, 31, v26
	s_and_saveexec_b64 s[12:13], vcc
	s_cbranch_execz .LBB22_29
; %bb.28:                               ;   in Loop: Header=BB22_4 Depth=1
	s_getpc_b64 s[14:15]
	s_add_u32 s14, s14, __const.Primitives.roles.9@rel32@lo+4
	s_addc_u32 s15, s15, __const.Primitives.roles.9@rel32@hi+12
	v_lshl_add_u64 v[6:7], v[26:27], 2, s[14:15]
	global_load_dword v6, v[6:7], off
	s_waitcnt vmcnt(0)
	v_or_b32_e32 v33, 0x800, v6
.LBB22_29:                              ;   in Loop: Header=BB22_4 Depth=1
	s_or_b64 exec, exec, s[12:13]
	ds_read_b32 v6, v0
	v_lshlrev_b64 v[12:13], v26, 1
	v_cmp_gt_i32_e32 vcc, 32, v26
	s_trap 2
	s_waitcnt lgkmcnt(0)
	v_ashrrev_i32_e32 v7, 31, v6
	v_cmp_lt_u64_e64 s[12:13], v[12:13], v[6:7]
	s_and_b64 s[14:15], vcc, s[12:13]
	s_and_saveexec_b64 s[12:13], s[14:15]
	s_cbranch_execz .LBB22_31
; %bb.30:                               ;   in Loop: Header=BB22_4 Depth=1
	v_cvt_f32_u32_e32 v7, v6
	ds_read_b32 v22, v0
	v_sub_u32_e32 v12, 0, v6
	v_lshlrev_b32_e64 v23, v26, 1
	v_rcp_iflag_f32_e32 v7, v7
	s_trap 2
	s_waitcnt lgkmcnt(0)
	v_add_u32_e32 v13, v22, v23
	ds_read_b64 v[16:17], v0
	v_mul_f32_e32 v7, 0x4f7ffffe, v7
	v_cvt_u32_f32_e32 v7, v7
	v_sub_u32_e32 v23, v6, v23
	v_add_u32_e32 v22, v23, v22
	s_mov_b32 s14, s26
	v_mul_lo_u32 v12, v12, v7
	v_mul_hi_u32 v12, v7, v12
	v_add_u32_e32 v7, v7, v12
	v_mul_hi_u32 v12, v13, v7
	v_mul_lo_u32 v12, v12, v6
	v_sub_u32_e32 v12, v13, v12
	v_sub_u32_e32 v13, v12, v6
	v_cmp_ge_u32_e32 vcc, v12, v6
	v_mul_hi_u32 v7, v22, v7
	v_mul_lo_u32 v7, v7, v6
	v_cndmask_b32_e32 v12, v12, v13, vcc
	v_sub_u32_e32 v13, v12, v6
	v_cmp_ge_u32_e32 vcc, v12, v6
	v_sub_u32_e32 v7, v22, v7
	v_sub_u32_e32 v22, v7, v6
	v_cndmask_b32_e32 v12, v12, v13, vcc
	v_ashrrev_i32_e32 v13, 31, v12
	s_waitcnt lgkmcnt(0)
	v_lshl_add_u64 v[12:13], v[12:13], 3, v[16:17]
	flat_load_dwordx2 v[18:19], v[12:13]
	v_cmp_ge_u32_e32 vcc, v7, v6
	s_mov_b32 s15, s26
	s_waitcnt vmcnt(0) lgkmcnt(0)
	v_lshl_add_u64 v[12:13], v[18:19], 0, s[28:29]
	ds_write_b64 v0, v[12:13]
	flat_load_dwordx2 v[12:13], v[18:19] offset:520
	flat_load_dwordx2 v[20:21], v[18:19] offset:608
	v_cndmask_b32_e32 v7, v7, v22, vcc
	v_sub_u32_e32 v22, v7, v6
	v_cmp_ge_u32_e32 vcc, v7, v6
	s_waitcnt vmcnt(0) lgkmcnt(0)
	ds_write_b64 v0, v[12:13]
	flat_load_dwordx4 v[12:15], v[18:19] offset:552
	v_cndmask_b32_e32 v6, v7, v22, vcc
	v_ashrrev_i32_e32 v7, 31, v6
	v_lshl_add_u64 v[6:7], v[6:7], 3, v[16:17]
	ds_write_b64 v0, v[20:21]
	s_waitcnt vmcnt(0) lgkmcnt(0)
	ds_write_b64 v0, v[12:13]
	flat_load_dwordx2 v[12:13], v[12:13] sc0 sc1
	ds_write_b64 v0, v[14:15]
	flat_load_dwordx2 v[6:7], v[6:7]
	s_waitcnt vmcnt(0) lgkmcnt(0)
	flat_load_dwordx2 v[14:15], v[6:7] offset:104
	flat_load_dword v20, v[18:19] offset:576
	v_mov_b64_e32 v[18:19], s[14:15]
	s_waitcnt vmcnt(0) lgkmcnt(0)
	ds_write2_b64 v0, v[14:15], v[6:7] offset1:1
	flat_load_dwordx2 v[14:15], v[6:7] offset:96
	s_waitcnt vmcnt(0) lgkmcnt(0)
	ds_write_b64 v0, v[14:15]
	flat_load_dwordx2 v[14:15], v[6:7] offset:16
	flat_load_dwordx2 v[16:17], v[6:7] offset:56
	ds_write_b64 v0, v[18:19]
	ds_write_b64 v0, v[12:13]
	ds_write_b32 v0, v20
	s_waitcnt vmcnt(0) lgkmcnt(0)
	ds_write2_b64 v0, v[14:15], v[16:17] offset1:1
	flat_load_dwordx2 v[12:13], v[16:17] sc0 sc1
	flat_load_dwordx2 v[14:15], v[6:7] offset:48
	s_waitcnt vmcnt(0) lgkmcnt(0)
	ds_write2_b64 v0, v[14:15], v[12:13] offset1:1
	flat_load_dword v6, v[6:7] offset:72
	ds_write_b64 v0, v[18:19]
	s_waitcnt vmcnt(0) lgkmcnt(0)
	ds_write_b32 v0, v6
.LBB22_31:                              ;   in Loop: Header=BB22_4 Depth=1
	s_or_b64 exec, exec, s[12:13]
	v_cmp_eq_u32_e32 vcc, 0, v26
	s_trap 2
	s_and_saveexec_b64 s[12:13], vcc
	s_cbranch_execz .LBB22_33
; %bb.32:                               ;   in Loop: Header=BB22_4 Depth=1
	ds_write2_b64 v0, v[2:3], v[0:1] offset0:14 offset1:15
	ds_write_b64 v0, v[4:5]
	s_trap 2
.LBB22_33:                              ;   in Loop: Header=BB22_4 Depth=1
	s_or_b64 exec, exec, s[12:13]
	v_cmp_ne_u32_e64 s[12:13], v24, v43
                                        ; implicit-def: $vgpr54_vgpr55
                                        ; implicit-def: $vgpr0
	s_and_saveexec_b64 s[14:15], s[12:13]
	s_xor_b64 s[14:15], exec, s[14:15]
	s_cbranch_execz .LBB22_49
; %bb.34:                               ;   in Loop: Header=BB22_4 Depth=1
	v_mov_b64_e32 v[54:55], 0
	v_accvgpr_read_b32 v0, a11
	s_and_saveexec_b64 s[16:17], s[10:11]
	s_cbranch_execz .LBB22_48
; %bb.35:                               ;   in Loop: Header=BB22_4 Depth=1
	s_mov_b64 s[20:21], exec
	v_mbcnt_lo_u32_b32 v0, s20, 0
	v_mbcnt_hi_u32_b32 v0, s21, v0
	v_cmp_eq_u32_e32 vcc, 0, v0
	s_waitcnt lgkmcnt(0)
	s_and_saveexec_b64 s[18:19], vcc
	s_cbranch_execz .LBB22_37
; %bb.36:                               ;   in Loop: Header=BB22_4 Depth=1
	s_bcnt1_i32_b64 s20, s[20:21]
	v_mov_b32_e32 v0, s20
	v_mov_b32_e32 v1, v32
	ds_add_u64 v0, v[0:1]
	s_trap 2
.LBB22_37:                              ;   in Loop: Header=BB22_4 Depth=1
	s_or_b64 exec, exec, s[18:19]
	s_trap 2
	ds_read_b64 v[0:1], v0
	s_waitcnt lgkmcnt(0)
	v_cmp_lt_u64_e32 vcc, 1, v[0:1]
	s_cbranch_vccnz .LBB22_47
; %bb.38:                               ;   in Loop: Header=BB22_4 Depth=1
	s_mov_b32 s48, 0
	s_mov_b64 s[18:19], 0
                                        ; implicit-def: $sgpr20_sgpr21
                                        ; implicit-def: $sgpr22_sgpr23
	s_branch .LBB22_40
.LBB22_39:                              ;   in Loop: Header=BB22_40 Depth=2
	s_or_b64 exec, exec, s[46:47]
	s_and_b64 s[24:25], exec, vcc
	s_or_b64 s[18:19], s[24:25], s[18:19]
	s_andn2_b64 s[20:21], s[20:21], exec
	s_and_b64 s[24:25], s[22:23], exec
	s_or_b64 s[20:21], s[20:21], s[24:25]
	s_andn2_b64 exec, exec, s[18:19]
	s_cbranch_execz .LBB22_44
.LBB22_40:                              ;   Parent Loop BB22_4 Depth=1
                                        ; =>  This Inner Loop Header: Depth=2
	s_add_i32 s48, s48, 1
	s_cmpk_lg_i32 s48, 0x2710
	s_cselect_b64 s[24:25], -1, 0
	s_and_b64 vcc, exec, s[24:25]
                                        ; implicit-def: $sgpr46_sgpr47
	s_cbranch_vccnz .LBB22_42
; %bb.41:                               ;   in Loop: Header=BB22_40 Depth=2
	s_trap 2
	ds_read_b64 v[0:1], v0
	s_andn2_b64 s[24:25], s[24:25], exec
	s_mov_b32 s48, 0
	s_mov_b64 s[46:47], -1
	s_waitcnt lgkmcnt(0)
	flat_load_dword v0, v[0:1] sc0 sc1
	s_waitcnt vmcnt(0) lgkmcnt(0)
	buffer_inv sc0 sc1
	v_cmp_eq_u32_e32 vcc, 0, v0
	s_and_b64 vcc, vcc, exec
	s_or_b64 s[24:25], s[24:25], vcc
.LBB22_42:                              ;   in Loop: Header=BB22_40 Depth=2
	s_andn2_b64 s[22:23], s[22:23], exec
	s_and_b64 s[46:47], s[46:47], exec
	s_mov_b64 vcc, -1
	s_or_b64 s[22:23], s[22:23], s[46:47]
	s_and_saveexec_b64 s[46:47], s[24:25]
	s_cbranch_execz .LBB22_39
; %bb.43:                               ;   in Loop: Header=BB22_40 Depth=2
	s_sleep 1
	s_trap 2
	ds_read_b64 v[0:1], v0
	s_andn2_b64 s[22:23], s[22:23], exec
	s_waitcnt lgkmcnt(0)
	v_cmp_lt_u64_e32 vcc, 1, v[0:1]
	s_orn2_b64 vcc, vcc, exec
	s_branch .LBB22_39
.LBB22_44:                              ;   in Loop: Header=BB22_4 Depth=1
	s_or_b64 exec, exec, s[18:19]
	s_and_saveexec_b64 s[18:19], s[20:21]
	s_xor_b64 s[18:19], exec, s[18:19]
	s_cbranch_execz .LBB22_46
; %bb.45:                               ;   in Loop: Header=BB22_4 Depth=1
	ds_write_b32 v0, v36
	s_trap 2
.LBB22_46:                              ;   in Loop: Header=BB22_4 Depth=1
	s_or_b64 exec, exec, s[18:19]
.LBB22_47:                              ;   in Loop: Header=BB22_4 Depth=1
	v_mov_b64_e32 v[54:55], 2
	v_mov_b32_e32 v0, 0
	;;#ASMSTART
	s_wakeup
	;;#ASMEND
.LBB22_48:                              ;   in Loop: Header=BB22_4 Depth=1
	s_or_b64 exec, exec, s[16:17]
.LBB22_49:                              ;   in Loop: Header=BB22_4 Depth=1
	s_or_saveexec_b64 s[14:15], s[14:15]
	v_accvgpr_write_b32 a10, v30
	s_xor_b64 exec, exec, s[14:15]
	s_cbranch_execz .LBB22_51
; %bb.50:                               ;   in Loop: Header=BB22_4 Depth=1
	v_mov_b64_e32 v[54:55], 0
	v_accvgpr_read_b32 v0, a11
	s_waitcnt lgkmcnt(0)
	s_barrier
.LBB22_51:                              ;   in Loop: Header=BB22_4 Depth=1
	s_or_b64 exec, exec, s[14:15]
	v_lshrrev_b32_e32 v1, 25, v11
	v_mul_lo_u32 v2, v1, v8
	v_sub_u32_e32 v2, 0x80, v2
	v_add_u32_e32 v3, 1, v1
	v_cmp_ge_u32_e32 vcc, v2, v8
	v_cmp_eq_u32_e64 s[14:15], 0, v0
	v_lshrrev_b32_e32 v0, 26, v27
	v_cndmask_b32_e32 v1, v1, v3, vcc
	v_sub_u32_e32 v3, v2, v8
	v_cndmask_b32_e32 v2, v2, v3, vcc
	v_add_u32_e32 v0, v26, v0
	v_add_u32_e32 v3, 1, v1
	v_cmp_ge_u32_e32 vcc, v2, v8
	v_ashrrev_i32_e32 v59, 6, v0
	v_and_b32_e32 v0, 0xffffffc0, v0
	v_cndmask_b32_e32 v1, v1, v3, vcc
	v_sub_u32_e32 v18, v26, v0
	v_lshlrev_b32_e32 v0, 13, v59
	v_xor_b32_e32 v1, v1, v10
	v_lshl_add_u32 v0, v18, 4, v0
	v_sub_u32_e32 v47, v1, v10
	v_ashrrev_i32_e32 v1, 31, v0
	v_accvgpr_write_b32 a17, v1
	v_lshlrev_b32_e32 v2, 13, v48
	v_accvgpr_write_b32 a16, v0
	v_add_u32_e32 v0, 0xffffe000, v2
	v_ashrrev_i32_e32 v1, 31, v0
	v_lshlrev_b32_e32 v20, 10, v48
	v_lshl_add_u64 v[44:45], v[0:1], 0, s[30:31]
	v_add_u32_e32 v0, 0xfffffc00, v20
	v_ashrrev_i32_e32 v1, 31, v0
	v_lshlrev_b32_e32 v4, 11, v48
	v_lshl_add_u64 v[22:23], v[0:1], 0, s[34:35]
	v_add_u32_e32 v0, 0xfffff800, v4
	v_ashrrev_i32_e32 v1, 31, v0
	v_lshl_add_u64 v[60:61], v[0:1], 0, s[36:37]
	v_subrev_u32_e32 v0, 64, v24
	v_ashrrev_i32_e32 v1, 31, v0
	v_lshl_add_u64 v[28:29], v[0:1], 0, 64
	v_ashrrev_i32_e32 v3, 31, v2
	v_ashrrev_i32_e32 v5, 31, v4
	v_accvgpr_read_b32 v0, a10
	v_accvgpr_write_b32 a19, v3
	v_ashrrev_i32_e32 v21, 31, v20
	v_accvgpr_write_b32 a25, v5
	v_ashrrev_i32_e32 v25, 31, v24
	v_accvgpr_write_b32 a12, v24
	v_accvgpr_write_b32 a20, v20
	;; [unrolled: 1-line block ×4, first 2 shown]
	v_cmp_gt_i32_e64 s[16:17], 1, v18
	v_cmp_eq_u32_e64 s[18:19], v0, v9
	v_accvgpr_write_b32 a18, v2
	v_accvgpr_write_b32 a24, v4
	s_mov_b64 s[46:47], 0
	v_accvgpr_write_b32 a13, v25
	v_accvgpr_write_b32 a14, v26
	;; [unrolled: 1-line block ×6, first 2 shown]
	s_trap 2
                                        ; implicit-def: $vgpr34_vgpr35
	s_branch .LBB22_53
.LBB22_52:                              ;   in Loop: Header=BB22_53 Depth=2
	s_or_b64 exec, exec, s[20:21]
	s_waitcnt lgkmcnt(0)
	v_cmp_ne_u32_e32 vcc, 0, v19
	s_or_b64 s[46:47], vcc, s[46:47]
	v_add_u32_e32 v37, v37, v47
	s_andn2_b64 exec, exec, s[46:47]
	s_cbranch_execz .LBB22_223
.LBB22_53:                              ;   Parent Loop BB22_4 Depth=1
                                        ; =>  This Loop Header: Depth=2
                                        ;       Child Loop BB22_54 Depth 3
                                        ;       Child Loop BB22_63 Depth 3
	;; [unrolled: 1-line block ×12, first 2 shown]
	s_mov_b64 s[20:21], 0
	s_trap 2
.LBB22_54:                              ;   Parent Loop BB22_4 Depth=1
                                        ;     Parent Loop BB22_53 Depth=2
                                        ; =>    This Inner Loop Header: Depth=3
	ds_read_b32 v0, v0 offset:36
	s_waitcnt lgkmcnt(0)
	v_cmp_ne_u32_e32 vcc, 0, v0
	s_or_b64 s[20:21], vcc, s[20:21]
	s_andn2_b64 exec, exec, s[20:21]
	s_cbranch_execnz .LBB22_54
; %bb.55:                               ;   in Loop: Header=BB22_53 Depth=2
	s_or_b64 exec, exec, s[20:21]
	ds_read_b32 v19, v0 offset:32
	v_and_b32_e32 v0, 2, v0
	v_cmp_ne_u32_e32 vcc, 0, v0
	s_and_saveexec_b64 s[20:21], vcc
	s_xor_b64 s[20:21], exec, s[20:21]
	s_cbranch_execz .LBB22_67
; %bb.56:                               ;   in Loop: Header=BB22_53 Depth=2
	s_and_saveexec_b64 s[22:23], s[12:13]
	s_xor_b64 s[22:23], exec, s[22:23]
	s_cbranch_execz .LBB22_83
; %bb.57:                               ;   in Loop: Header=BB22_53 Depth=2
	s_and_saveexec_b64 s[24:25], s[14:15]
	s_cbranch_execz .LBB22_146
; %bb.58:                               ;   in Loop: Header=BB22_53 Depth=2
	s_mov_b64 s[50:51], exec
	v_mbcnt_lo_u32_b32 v0, s50, 0
	v_mbcnt_hi_u32_b32 v0, s51, v0
	v_cmp_eq_u32_e32 vcc, 0, v0
	s_waitcnt lgkmcnt(0)
	s_and_saveexec_b64 s[48:49], vcc
	s_cbranch_execz .LBB22_60
; %bb.59:                               ;   in Loop: Header=BB22_53 Depth=2
	s_bcnt1_i32_b64 vcc_lo, s[50:51]
	v_mov_b32_e32 v0, vcc_lo
	v_mov_b32_e32 v1, v32
	ds_add_u64 v0, v[0:1]
	s_trap 2
.LBB22_60:                              ;   in Loop: Header=BB22_53 Depth=2
	s_or_b64 exec, exec, s[48:49]
	s_trap 2
	ds_read_b64 v[0:1], v0
	v_lshl_add_u64 v[54:55], v[54:55], 0, 2
	s_waitcnt lgkmcnt(0)
	v_cmp_lt_u64_e32 vcc, v[0:1], v[54:55]
	s_and_saveexec_b64 s[48:49], vcc
	s_cbranch_execz .LBB22_145
; %bb.61:                               ;   in Loop: Header=BB22_53 Depth=2
	s_mov_b32 s60, 0
	s_mov_b64 s[50:51], 0
                                        ; implicit-def: $sgpr52_sgpr53
                                        ; implicit-def: $sgpr54_sgpr55
	s_branch .LBB22_63
.LBB22_62:                              ;   in Loop: Header=BB22_63 Depth=3
	s_or_b64 exec, exec, s[58:59]
	s_and_b64 vcc, exec, vcc
	s_or_b64 s[50:51], vcc, s[50:51]
	s_andn2_b64 vcc, s[52:53], exec
	s_and_b64 s[52:53], s[54:55], exec
	s_or_b64 s[52:53], vcc, s[52:53]
	s_andn2_b64 exec, exec, s[50:51]
	s_cbranch_execz .LBB22_143
.LBB22_63:                              ;   Parent Loop BB22_4 Depth=1
                                        ;     Parent Loop BB22_53 Depth=2
                                        ; =>    This Inner Loop Header: Depth=3
	s_add_i32 s60, s60, 1
	s_cmpk_lg_i32 s60, 0x2710
	s_cselect_b64 s[56:57], -1, 0
	s_and_b64 vcc, exec, s[56:57]
                                        ; implicit-def: $sgpr58_sgpr59
	s_cbranch_vccnz .LBB22_65
; %bb.64:                               ;   in Loop: Header=BB22_63 Depth=3
	s_trap 2
	ds_read_b64 v[0:1], v0
	s_andn2_b64 s[56:57], s[56:57], exec
	s_mov_b32 s60, 0
	s_mov_b64 s[58:59], -1
	s_waitcnt lgkmcnt(0)
	flat_load_dword v0, v[0:1] sc0 sc1
	s_waitcnt vmcnt(0) lgkmcnt(0)
	buffer_inv sc0 sc1
	v_cmp_eq_u32_e32 vcc, 0, v0
	s_and_b64 vcc, vcc, exec
	s_or_b64 s[56:57], s[56:57], vcc
.LBB22_65:                              ;   in Loop: Header=BB22_63 Depth=3
	s_andn2_b64 s[54:55], s[54:55], exec
	s_and_b64 s[58:59], s[58:59], exec
	s_mov_b64 vcc, -1
	s_or_b64 s[54:55], s[54:55], s[58:59]
	s_and_saveexec_b64 s[58:59], s[56:57]
	s_cbranch_execz .LBB22_62
; %bb.66:                               ;   in Loop: Header=BB22_63 Depth=3
	s_sleep 1
	s_trap 2
	ds_read_b64 v[0:1], v0
	s_andn2_b64 s[54:55], s[54:55], exec
	s_waitcnt lgkmcnt(0)
	v_cmp_ge_u64_e32 vcc, v[0:1], v[54:55]
	s_orn2_b64 vcc, vcc, exec
	s_branch .LBB22_62
.LBB22_67:                              ;   in Loop: Header=BB22_53 Depth=2
	s_andn2_saveexec_b64 s[48:49], s[20:21]
	s_cbranch_execz .LBB22_88
.LBB22_68:                              ;   in Loop: Header=BB22_53 Depth=2
	ds_read_b64 v[4:5], v0
	ds_read2_b64 v[0:3], v0 offset0:14 offset1:15
	v_and_b32_e32 v7, 36, v33
	v_cmp_ne_u32_e64 s[20:21], 0, v7
	v_mov_b64_e32 v[52:53], 0
	s_waitcnt lgkmcnt(0)
	v_cmp_lt_i32_e32 vcc, -1, v4
	s_waitcnt lgkmcnt(0)
	ds_read_b32 v6, v0 offset:28
	ds_read2_b32 v[30:31], v0 offset0:5 offset1:6
	s_and_b64 s[50:51], vcc, s[20:21]
	s_and_saveexec_b64 s[20:21], s[50:51]
	s_cbranch_execz .LBB22_70
; %bb.69:                               ;   in Loop: Header=BB22_53 Depth=2
	s_trap 2
	ds_read_b64 v[34:35], v0
	v_mov_b32_e32 v53, s39
.LBB22_70:                              ;   in Loop: Header=BB22_53 Depth=2
	s_or_b64 exec, exec, s[20:21]
	v_and_b32_e32 v4, 24, v33
	v_cmp_lt_i32_e32 vcc, -1, v5
	v_cmp_ne_u32_e64 s[20:21], 0, v4
	s_and_b64 s[52:53], vcc, s[20:21]
	s_and_saveexec_b64 s[20:21], s[52:53]
	s_cbranch_execz .LBB22_72
; %bb.71:                               ;   in Loop: Header=BB22_53 Depth=2
	s_trap 2
	s_waitcnt lgkmcnt(0)
	ds_read_b64 v[34:35], v0
	v_mov_b32_e32 v53, s39
.LBB22_72:                              ;   in Loop: Header=BB22_53 Depth=2
	s_or_b64 exec, exec, s[20:21]
	v_and_b32_e32 v4, 4, v33
	v_cmp_ne_u32_e32 vcc, 0, v4
	s_waitcnt lgkmcnt(0)
	v_max_i32_e32 v56, 0, v6
	s_and_b64 s[22:23], s[50:51], vcc
	s_waitcnt lgkmcnt(0)
	v_lshl_add_u64 v[38:39], v[34:35], 0, 1
	s_and_saveexec_b64 s[20:21], s[22:23]
	s_cbranch_execz .LBB22_96
; %bb.73:                               ;   in Loop: Header=BB22_53 Depth=2
	flat_load_dwordx2 v[6:7], v[52:53] offset:24
	flat_load_dword v10, v[52:53] offset:64
	ds_read2_b32 v[8:9], v0 offset0:2 offset1:4
	v_lshl_add_u64 v[4:5], v[34:35], 0, 1
	s_mov_b64 s[22:23], 0
                                        ; implicit-def: $sgpr56_sgpr57
                                        ; implicit-def: $sgpr54_sgpr55
	s_waitcnt lgkmcnt(0)
	v_add_u32_e32 v11, v34, v9
	v_and_b32_e32 v11, 7, v11
	v_ashrrev_i32_e32 v9, 31, v8
	s_waitcnt vmcnt(0)
	v_mad_i64_i32 v[6:7], s[24:25], v11, v10, v[6:7]
	v_lshl_add_u64 v[6:7], v[6:7], 0, v[8:9]
	v_mov_b32_e32 v8, 0
	ds_write_b64 v0, v[6:7] offset:584
                                        ; implicit-def: $sgpr24_sgpr25
	s_branch .LBB22_78
.LBB22_74:                              ;   in Loop: Header=BB22_78 Depth=3
	s_or_b64 exec, exec, s[66:67]
	v_mov_b32_e32 v6, 0
	s_orn2_b64 s[64:65], s[64:65], exec
.LBB22_75:                              ;   in Loop: Header=BB22_78 Depth=3
	s_or_b64 exec, exec, s[62:63]
	s_and_b64 s[62:63], s[64:65], exec
	v_mov_b32_e32 v8, v6
.LBB22_76:                              ;   in Loop: Header=BB22_78 Depth=3
	s_or_b64 exec, exec, s[60:61]
	s_xor_b64 vcc, s[62:63], -1
	s_andn2_b64 s[56:57], s[56:57], exec
	s_and_b64 vcc, vcc, exec
	s_andn2_b64 s[54:55], s[54:55], exec
	s_or_b64 s[56:57], s[56:57], vcc
                                        ; implicit-def: $vgpr6_vgpr7
.LBB22_77:                              ;   in Loop: Header=BB22_78 Depth=3
	s_or_b64 exec, exec, s[58:59]
	s_and_b64 vcc, exec, s[56:57]
	s_or_b64 s[22:23], vcc, s[22:23]
	s_andn2_b64 s[24:25], s[24:25], exec
	s_and_b64 vcc, s[54:55], exec
	s_or_b64 s[24:25], s[24:25], vcc
	s_andn2_b64 exec, exec, s[22:23]
	s_cbranch_execz .LBB22_89
.LBB22_78:                              ;   Parent Loop BB22_4 Depth=1
                                        ;     Parent Loop BB22_53 Depth=2
                                        ; =>    This Inner Loop Header: Depth=3
	flat_load_dwordx2 v[10:11], v[52:53] offset:48
	ds_read_b32 v6, v0 offset:16
	s_or_b64 s[54:55], s[54:55], exec
	s_or_b64 s[56:57], s[56:57], exec
	s_waitcnt lgkmcnt(0)
	v_ashrrev_i32_e32 v7, 31, v6
	v_lshl_add_u64 v[12:13], v[4:5], 0, v[6:7]
	s_waitcnt vmcnt(0)
	v_cmp_lt_u64_e32 vcc, v[10:11], v[12:13]
	s_and_saveexec_b64 s[58:59], vcc
	s_cbranch_execz .LBB22_77
; %bb.79:                               ;   in Loop: Header=BB22_78 Depth=3
	flat_load_dwordx2 v[6:7], v[52:53] offset:40
	v_and_b32_e32 v9, 64, v33
	v_cmp_eq_u32_e32 vcc, 0, v9
	s_mov_b64 s[62:63], 0
	s_waitcnt vmcnt(0) lgkmcnt(0)
	flat_load_dwordx2 v[6:7], v[6:7] sc0 sc1
	s_waitcnt vmcnt(0) lgkmcnt(0)
	flat_store_dwordx2 v[52:53], v[6:7] offset:48
	s_and_saveexec_b64 s[60:61], vcc
	s_cbranch_execz .LBB22_76
; %bb.80:                               ;   in Loop: Header=BB22_78 Depth=3
	v_add_u32_e32 v6, 1, v8
	v_cmp_lt_i32_e32 vcc, s38, v8
	s_mov_b64 s[64:65], -1
	s_and_saveexec_b64 s[62:63], vcc
	s_cbranch_execz .LBB22_75
; %bb.81:                               ;   in Loop: Header=BB22_78 Depth=3
	s_trap 2
	ds_read_b64 v[6:7], v0
	s_waitcnt vmcnt(0) lgkmcnt(0)
	flat_load_dword v6, v[6:7] sc0 sc1
	s_waitcnt vmcnt(0) lgkmcnt(0)
	buffer_inv sc0 sc1
	v_cmp_ne_u32_e32 vcc, 0, v6
	s_and_saveexec_b64 s[66:67], vcc
	s_cbranch_execz .LBB22_74
; %bb.82:                               ;   in Loop: Header=BB22_78 Depth=3
	v_or_b32_e32 v33, 64, v33
	s_xor_b64 s[64:65], exec, -1
	ds_write_b32 v0, v6
	s_trap 2
	s_branch .LBB22_74
.LBB22_83:                              ;   in Loop: Header=BB22_53 Depth=2
	s_andn2_saveexec_b64 s[22:23], s[22:23]
	s_cbranch_execz .LBB22_147
.LBB22_84:                              ;   in Loop: Header=BB22_53 Depth=2
	s_waitcnt lgkmcnt(0)
	s_barrier
	s_or_b64 exec, exec, s[22:23]
	s_and_saveexec_b64 s[22:23], s[12:13]
	s_xor_b64 s[22:23], exec, s[22:23]
	s_cbranch_execnz .LBB22_148
.LBB22_85:                              ;   in Loop: Header=BB22_53 Depth=2
	s_andn2_saveexec_b64 s[22:23], s[22:23]
	s_cbranch_execz .LBB22_87
.LBB22_86:                              ;   in Loop: Header=BB22_53 Depth=2
	s_waitcnt lgkmcnt(0)
	s_barrier
.LBB22_87:                              ;   in Loop: Header=BB22_53 Depth=2
	s_or_b64 exec, exec, s[22:23]
	s_andn2_saveexec_b64 s[48:49], s[20:21]
	s_cbranch_execnz .LBB22_68
.LBB22_88:                              ;   in Loop: Header=BB22_53 Depth=2
	s_or_b64 exec, exec, s[48:49]
	s_and_saveexec_b64 s[20:21], s[18:19]
	s_cbranch_execz .LBB22_52
	s_branch .LBB22_216
.LBB22_89:                              ;   in Loop: Header=BB22_53 Depth=2
	s_or_b64 exec, exec, s[22:23]
	s_xor_b64 s[22:23], s[24:25], -1
	s_and_saveexec_b64 s[24:25], s[22:23]
	s_xor_b64 s[22:23], exec, s[24:25]
	s_cbranch_execz .LBB22_91
; %bb.90:                               ;   in Loop: Header=BB22_53 Depth=2
	ds_read_b32 v6, v0 offset:16
	s_waitcnt lgkmcnt(0)
	v_ashrrev_i32_e32 v7, 31, v6
.LBB22_91:                              ;   in Loop: Header=BB22_53 Depth=2
	s_or_b64 exec, exec, s[22:23]
	flat_load_dwordx3 v[8:10], v[52:53] offset:56
	ds_read_b32 v11, v0 offset:8
	v_lshl_add_u64 v[4:5], v[6:7], 0, v[34:35]
	s_waitcnt lgkmcnt(0)
	v_add_u32_e32 v6, v11, v56
	v_ashrrev_i32_e32 v7, 31, v6
	s_waitcnt vmcnt(0)
	v_ashrrev_i32_e32 v11, 31, v10
	v_mad_u64_u32 v[6:7], s[22:23], v4, v10, v[6:7]
	v_mul_lo_u32 v4, v4, v11
	v_mul_lo_u32 v5, v5, v10
	v_add3_u32 v7, v5, v7, v4
	v_cmp_ge_u64_e32 vcc, v[8:9], v[6:7]
	s_and_saveexec_b64 s[22:23], vcc
	s_xor_b64 s[22:23], exec, s[22:23]
	s_cbranch_execz .LBB22_93
; %bb.92:                               ;   in Loop: Header=BB22_53 Depth=2
	ds_read_b64 v[4:5], v0 offset:136
	s_waitcnt lgkmcnt(0)
	ds_write_b64 v0, v[4:5] offset:208
.LBB22_93:                              ;   in Loop: Header=BB22_53 Depth=2
	s_andn2_saveexec_b64 s[22:23], s[22:23]
	s_cbranch_execz .LBB22_95
; %bb.94:                               ;   in Loop: Header=BB22_53 Depth=2
	ds_read_b64 v[4:5], v0 offset:48
	s_waitcnt lgkmcnt(0)
	v_lshl_add_u64 v[4:5], v[2:3], 0, v[4:5]
	ds_write_b64 v0, v[4:5]
.LBB22_95:                              ;   in Loop: Header=BB22_53 Depth=2
	s_or_b64 exec, exec, s[22:23]
.LBB22_96:                              ;   in Loop: Header=BB22_53 Depth=2
	s_or_b64 exec, exec, s[20:21]
	v_and_b32_e32 v4, 8, v33
	v_cmp_ne_u32_e32 vcc, 0, v4
	s_and_b64 s[22:23], s[52:53], vcc
	s_and_saveexec_b64 s[20:21], s[22:23]
	s_cbranch_execz .LBB22_108
; %bb.97:                               ;   in Loop: Header=BB22_53 Depth=2
	v_lshl_add_u64 v[4:5], v[34:35], 0, 1
	s_mov_b64 s[22:23], 0
	v_mov_b32_e32 v6, 0
                                        ; implicit-def: $sgpr24_sgpr25
	s_branch .LBB22_102
.LBB22_98:                              ;   in Loop: Header=BB22_102 Depth=3
	s_or_b64 exec, exec, s[62:63]
	v_mov_b32_e32 v7, 0
	s_orn2_b64 s[60:61], s[60:61], exec
.LBB22_99:                              ;   in Loop: Header=BB22_102 Depth=3
	s_or_b64 exec, exec, s[58:59]
	s_and_b64 s[58:59], s[60:61], exec
	v_mov_b32_e32 v6, v7
.LBB22_100:                             ;   in Loop: Header=BB22_102 Depth=3
	s_or_b64 exec, exec, s[56:57]
	s_xor_b64 vcc, s[58:59], -1
	s_andn2_b64 s[24:25], s[24:25], exec
	s_and_b64 vcc, vcc, exec
	s_or_b64 s[24:25], s[24:25], vcc
.LBB22_101:                             ;   in Loop: Header=BB22_102 Depth=3
	s_or_b64 exec, exec, s[54:55]
	s_and_b64 vcc, exec, s[24:25]
	s_or_b64 s[22:23], vcc, s[22:23]
	s_andn2_b64 exec, exec, s[22:23]
	s_cbranch_execz .LBB22_107
.LBB22_102:                             ;   Parent Loop BB22_4 Depth=1
                                        ;     Parent Loop BB22_53 Depth=2
                                        ; =>    This Inner Loop Header: Depth=3
	flat_load_dwordx2 v[8:9], v[52:53] offset:48
	s_or_b64 s[24:25], s[24:25], exec
	s_waitcnt vmcnt(0) lgkmcnt(0)
	v_lshl_add_u64 v[8:9], v[8:9], 0, 8
	v_cmp_lt_u64_e32 vcc, v[8:9], v[4:5]
	s_and_saveexec_b64 s[54:55], vcc
	s_cbranch_execz .LBB22_101
; %bb.103:                              ;   in Loop: Header=BB22_102 Depth=3
	flat_load_dwordx2 v[8:9], v[52:53] offset:32
	v_and_b32_e32 v7, 64, v33
	v_cmp_eq_u32_e32 vcc, 0, v7
	s_mov_b64 s[58:59], 0
	s_waitcnt vmcnt(0) lgkmcnt(0)
	flat_load_dwordx2 v[8:9], v[8:9] sc0 sc1
	s_waitcnt vmcnt(0) lgkmcnt(0)
	flat_store_dwordx2 v[52:53], v[8:9] offset:48
	s_and_saveexec_b64 s[56:57], vcc
	s_cbranch_execz .LBB22_100
; %bb.104:                              ;   in Loop: Header=BB22_102 Depth=3
	v_add_u32_e32 v7, 1, v6
	v_cmp_lt_i32_e32 vcc, s38, v6
	s_mov_b64 s[60:61], -1
	s_and_saveexec_b64 s[58:59], vcc
	s_cbranch_execz .LBB22_99
; %bb.105:                              ;   in Loop: Header=BB22_102 Depth=3
	s_trap 2
	ds_read_b64 v[6:7], v0
	s_waitcnt vmcnt(0) lgkmcnt(0)
	flat_load_dword v6, v[6:7] sc0 sc1
	s_waitcnt vmcnt(0) lgkmcnt(0)
	buffer_inv sc0 sc1
	v_cmp_ne_u32_e32 vcc, 0, v6
	s_and_saveexec_b64 s[62:63], vcc
	s_cbranch_execz .LBB22_98
; %bb.106:                              ;   in Loop: Header=BB22_102 Depth=3
	v_or_b32_e32 v33, 64, v33
	s_xor_b64 s[60:61], exec, -1
	ds_write_b32 v0, v6
	s_trap 2
	s_branch .LBB22_98
.LBB22_107:                             ;   in Loop: Header=BB22_53 Depth=2
	s_or_b64 exec, exec, s[22:23]
	flat_load_dwordx2 v[4:5], v[52:53] offset:24
	flat_load_dword v7, v[52:53] offset:64
	ds_read_b32 v6, v0 offset:12
	v_and_b32_e32 v8, 7, v34
	s_waitcnt vmcnt(0) lgkmcnt(0)
	v_mad_i64_i32 v[4:5], s[22:23], v8, v7, v[4:5]
	v_ashrrev_i32_e32 v7, 31, v6
	v_lshl_add_u64 v[4:5], v[4:5], 0, v[6:7]
	ds_write_b64 v0, v[4:5] offset:584
.LBB22_108:                             ;   in Loop: Header=BB22_53 Depth=2
	s_or_b64 exec, exec, s[20:21]
	s_trap 2
	ds_read_b32 v4, v0
	ds_read_b64 v[50:51], v0
	v_and_b32_e32 v5, 1, v33
	v_cmp_eq_u32_e64 s[20:21], 1, v5
	s_waitcnt lgkmcnt(0)
	v_cmp_gt_i32_e32 vcc, 0, v4
	s_and_b64 s[24:25], vcc, s[20:21]
	s_and_saveexec_b64 s[22:23], s[24:25]
	s_cbranch_execz .LBB22_120
; %bb.109:                              ;   in Loop: Header=BB22_53 Depth=2
	ds_read_b64 v[4:5], v0 offset:40
	v_mov_b32_e32 v57, v32
	s_waitcnt lgkmcnt(0)
	v_lshl_add_u64 v[0:1], v[0:1], 0, v[4:5]
	v_lshl_add_u64 v[4:5], v[4:5], 0, v[56:57]
	v_cmp_lt_u64_e32 vcc, v[50:51], v[4:5]
	ds_write_b64 v0, v[0:1] offset:584
	s_and_saveexec_b64 s[24:25], vcc
	s_cbranch_execz .LBB22_111
; %bb.110:                              ;   in Loop: Header=BB22_53 Depth=2
	ds_read_b64 v[0:1], v0 offset:48
	v_mov_b64_e32 v[50:51], v[4:5]
	s_waitcnt lgkmcnt(0)
	v_lshl_add_u64 v[0:1], v[2:3], 0, v[0:1]
.LBB22_111:                             ;   in Loop: Header=BB22_53 Depth=2
	s_or_b64 exec, exec, s[24:25]
	ds_write_b64 v0, v[0:1]
	s_or_b64 exec, exec, s[22:23]
	s_and_saveexec_b64 s[22:23], s[12:13]
	s_xor_b64 s[22:23], exec, s[22:23]
	s_cbranch_execnz .LBB22_121
.LBB22_112:                             ;   in Loop: Header=BB22_53 Depth=2
	s_andn2_saveexec_b64 s[22:23], s[22:23]
	s_cbranch_execz .LBB22_114
.LBB22_113:                             ;   in Loop: Header=BB22_53 Depth=2
	s_waitcnt lgkmcnt(0)
	s_barrier
.LBB22_114:                             ;   in Loop: Header=BB22_53 Depth=2
	s_or_b64 exec, exec, s[22:23]
	ds_read_b32 v5, v0 offset:4
	ds_read2_b64 v[0:3], v0 offset0:17 offset1:26
	s_trap 2
	s_mov_b64 s[24:25], -1
	s_waitcnt lgkmcnt(0)
	ds_read_b32 v4, v0
	s_and_saveexec_b64 s[22:23], s[16:17]
	s_cbranch_execz .LBB22_116
; %bb.115:                              ;   in Loop: Header=BB22_53 Depth=2
	ds_read_b32 v6, v0 offset:584
	s_waitcnt lgkmcnt(0)
	v_and_b32_e32 v6, 15, v6
	v_cmp_eq_u32_e32 vcc, 0, v6
	s_orn2_b64 s[24:25], vcc, exec
.LBB22_116:                             ;   in Loop: Header=BB22_53 Depth=2
	s_or_b64 exec, exec, s[22:23]
	v_cmp_gt_i32_e32 vcc, 0, v5
	v_lshrrev_b32_e32 v5, 28, v5
	v_and_b32_e32 v5, 8, v5
	v_cndmask_b32_e64 v6, 2, 1, vcc
	v_cmp_eq_u64_e32 vcc, v[0:1], v[2:3]
	v_add_u32_e32 v57, v0, v5
	s_nop 0
	v_subbrev_co_u32_e32 v49, vcc, 0, v6, vcc
	v_cmp_lt_i32_e32 vcc, v18, v49
	s_and_saveexec_b64 s[22:23], vcc
	s_cbranch_execz .LBB22_118
; %bb.117:                              ;   in Loop: Header=BB22_53 Depth=2
	v_lshl_add_u32 v0, v18, 3, v57
	ds_read_b32 v0, v0 offset:584
	s_waitcnt lgkmcnt(0)
	v_and_b32_e32 v0, 15, v0
	v_cmp_eq_u32_e32 vcc, 0, v0
	s_and_b64 vcc, s[24:25], vcc
	s_andn2_b64 s[24:25], s[24:25], exec
	s_and_b64 vcc, vcc, exec
	s_or_b64 s[24:25], s[24:25], vcc
.LBB22_118:                             ;   in Loop: Header=BB22_53 Depth=2
	s_or_b64 exec, exec, s[22:23]
	s_xor_b64 s[24:25], s[24:25], -1
	s_waitcnt lgkmcnt(0)
	v_cmp_eq_u32_e32 vcc, 0, v4
	v_cndmask_b32_e64 v0, 0, 1, s[24:25]
	v_mov_b32_e32 v8, 0
	v_cndmask_b32_e32 v62, 0, v56, vcc
	s_mov_b64 s[22:23], -1
	;;#ASMSTART
	;;#ASMEND
	s_nop 0
	v_cmp_ne_u32_e32 vcc, 0, v0
	s_cbranch_vccz .LBB22_131
; %bb.119:                              ;   in Loop: Header=BB22_53 Depth=2
	v_mov_b32_e32 v9, v26
	v_mov_b32_e32 v4, v59
	s_and_saveexec_b64 s[24:25], s[22:23]
	s_cbranch_execnz .LBB22_171
	s_branch .LBB22_183
.LBB22_120:                             ;   in Loop: Header=BB22_53 Depth=2
	s_or_b64 exec, exec, s[22:23]
	s_and_saveexec_b64 s[22:23], s[12:13]
	s_xor_b64 s[22:23], exec, s[22:23]
	s_cbranch_execz .LBB22_112
.LBB22_121:                             ;   in Loop: Header=BB22_53 Depth=2
	s_and_saveexec_b64 s[24:25], s[14:15]
	s_cbranch_execz .LBB22_161
; %bb.122:                              ;   in Loop: Header=BB22_53 Depth=2
	s_mov_b64 s[56:57], exec
	v_mbcnt_lo_u32_b32 v0, s56, 0
	v_mbcnt_hi_u32_b32 v0, s57, v0
	v_cmp_eq_u32_e32 vcc, 0, v0
	s_waitcnt lgkmcnt(0)
	s_and_saveexec_b64 s[54:55], vcc
	s_cbranch_execz .LBB22_124
; %bb.123:                              ;   in Loop: Header=BB22_53 Depth=2
	s_bcnt1_i32_b64 vcc_lo, s[56:57]
	v_mov_b32_e32 v0, vcc_lo
	v_mov_b32_e32 v1, v32
	ds_add_u64 v0, v[0:1]
	s_trap 2
.LBB22_124:                             ;   in Loop: Header=BB22_53 Depth=2
	s_or_b64 exec, exec, s[54:55]
	s_trap 2
	ds_read_b64 v[0:1], v0
	v_lshl_add_u64 v[54:55], v[54:55], 0, 2
	s_waitcnt lgkmcnt(0)
	v_cmp_lt_u64_e32 vcc, v[0:1], v[54:55]
	s_and_saveexec_b64 s[54:55], vcc
	s_cbranch_execz .LBB22_160
; %bb.125:                              ;   in Loop: Header=BB22_53 Depth=2
	s_mov_b32 s66, 0
	s_mov_b64 s[56:57], 0
                                        ; implicit-def: $sgpr58_sgpr59
                                        ; implicit-def: $sgpr60_sgpr61
	s_branch .LBB22_127
.LBB22_126:                             ;   in Loop: Header=BB22_127 Depth=3
	s_or_b64 exec, exec, s[64:65]
	s_and_b64 vcc, exec, vcc
	s_or_b64 s[56:57], vcc, s[56:57]
	s_andn2_b64 vcc, s[58:59], exec
	s_and_b64 s[58:59], s[60:61], exec
	s_or_b64 s[58:59], vcc, s[58:59]
	s_andn2_b64 exec, exec, s[56:57]
	s_cbranch_execz .LBB22_158
.LBB22_127:                             ;   Parent Loop BB22_4 Depth=1
                                        ;     Parent Loop BB22_53 Depth=2
                                        ; =>    This Inner Loop Header: Depth=3
	s_add_i32 s66, s66, 1
	s_cmpk_lg_i32 s66, 0x2710
	s_cselect_b64 s[62:63], -1, 0
	s_and_b64 vcc, exec, s[62:63]
                                        ; implicit-def: $sgpr64_sgpr65
	s_cbranch_vccnz .LBB22_129
; %bb.128:                              ;   in Loop: Header=BB22_127 Depth=3
	s_trap 2
	ds_read_b64 v[0:1], v0
	s_andn2_b64 s[62:63], s[62:63], exec
	s_mov_b32 s66, 0
	s_mov_b64 s[64:65], -1
	s_waitcnt lgkmcnt(0)
	flat_load_dword v0, v[0:1] sc0 sc1
	s_waitcnt vmcnt(0) lgkmcnt(0)
	buffer_inv sc0 sc1
	v_cmp_eq_u32_e32 vcc, 0, v0
	s_and_b64 vcc, vcc, exec
	s_or_b64 s[62:63], s[62:63], vcc
.LBB22_129:                             ;   in Loop: Header=BB22_127 Depth=3
	s_andn2_b64 s[60:61], s[60:61], exec
	s_and_b64 s[64:65], s[64:65], exec
	s_mov_b64 vcc, -1
	s_or_b64 s[60:61], s[60:61], s[64:65]
	s_and_saveexec_b64 s[64:65], s[62:63]
	s_cbranch_execz .LBB22_126
; %bb.130:                              ;   in Loop: Header=BB22_127 Depth=3
	s_sleep 1
	s_trap 2
	ds_read_b64 v[0:1], v0
	s_andn2_b64 s[60:61], s[60:61], exec
	s_waitcnt lgkmcnt(0)
	v_cmp_ge_u64_e32 vcc, v[0:1], v[54:55]
	s_orn2_b64 vcc, vcc, exec
	s_branch .LBB22_126
.LBB22_131:                             ;   in Loop: Header=BB22_53 Depth=2
	v_lshrrev_b32_e32 v0, 13, v62
	v_sub_u32_e32 v42, v0, v59
	v_cmp_lt_i32_e32 vcc, 0, v42
	s_and_saveexec_b64 s[24:25], vcc
	s_cbranch_execz .LBB22_137
; %bb.132:                              ;   in Loop: Header=BB22_53 Depth=2
	v_accvgpr_write_b32 a4, v34
	v_accvgpr_write_b32 a5, v35
	;; [unrolled: 1-line block ×4, first 2 shown]
	ds_read_b64 v[34:35], v0 offset:584
	ds_read_b64 v[58:59], v57 offset:584
	v_accvgpr_write_b32 a8, v38
	v_accvgpr_write_b32 a6, v30
	v_accvgpr_write_b32 a9, v39
	v_accvgpr_write_b32 a7, v31
	v_accvgpr_write_b32 a3, v19
	v_accvgpr_write_b32 a1, v47
	v_cmp_lt_u32_e64 s[22:23], 1, v49
	s_mov_b64 s[54:55], 0
	v_mov_b64_e32 v[46:47], 0
	s_branch .LBB22_134
.LBB22_133:                             ;   in Loop: Header=BB22_134 Depth=3
	s_or_b64 exec, exec, s[56:57]
	v_sub_u32_e32 v42, v42, v48
	v_accvgpr_read_b32 v0, a18
	v_accvgpr_read_b32 v1, a19
	v_cmp_gt_i32_e32 vcc, 1, v42
	v_lshl_add_u64 v[46:47], v[46:47], 0, v[0:1]
	v_lshl_add_u64 v[34:35], v[34:35], 0, v[44:45]
	s_or_b64 s[54:55], vcc, s[54:55]
	v_lshl_add_u64 v[58:59], v[58:59], 0, v[44:45]
	s_andn2_b64 exec, exec, s[54:55]
	s_cbranch_execz .LBB22_136
.LBB22_134:                             ;   Parent Loop BB22_4 Depth=1
                                        ;     Parent Loop BB22_53 Depth=2
                                        ; =>    This Inner Loop Header: Depth=3
	v_accvgpr_read_b32 v39, a17
	v_accvgpr_read_b32 v38, a16
	s_waitcnt lgkmcnt(0)
	v_lshl_add_u64 v[0:1], v[38:39], 0, v[34:35]
	global_load_dwordx4 v[28:31], v[0:1], off nt
	global_load_dwordx4 v[24:27], v[0:1], off offset:1024 nt
	global_load_dwordx4 v[20:23], v[0:1], off offset:2048 nt
	;; [unrolled: 1-line block ×3, first 2 shown]
	v_add_co_u32_e32 v0, vcc, 0x1000, v0
	s_waitcnt lgkmcnt(0)
	v_lshl_add_u64 v[40:41], v[38:39], 0, v[58:59]
	v_addc_co_u32_e32 v1, vcc, 0, v1, vcc
	global_load_dwordx4 v[12:15], v[0:1], off nt
	global_load_dwordx4 v[8:11], v[0:1], off offset:1024 nt
	global_load_dwordx4 v[4:7], v[0:1], off offset:2048 nt
	s_nop 0
	global_load_dwordx4 v[0:3], v[0:1], off offset:3072 nt
	v_add_co_u32_e32 v38, vcc, 0x1000, v40
	s_nop 1
	v_addc_co_u32_e32 v39, vcc, 0, v41, vcc
	s_waitcnt vmcnt(0)
	global_store_dwordx4 v[40:41], v[28:31], off nt
	s_waitcnt vmcnt(7)
	global_store_dwordx4 v[40:41], v[24:27], off offset:1024 nt
	s_waitcnt vmcnt(7)
	global_store_dwordx4 v[40:41], v[20:23], off offset:2048 nt
	;; [unrolled: 2-line block ×3, first 2 shown]
	s_waitcnt vmcnt(7)
	global_store_dwordx4 v[38:39], v[12:15], off nt
	s_waitcnt vmcnt(7)
	global_store_dwordx4 v[38:39], v[8:11], off offset:1024 nt
	s_waitcnt vmcnt(7)
	global_store_dwordx4 v[38:39], v[4:7], off offset:2048 nt
	;; [unrolled: 2-line block ×3, first 2 shown]
	s_and_saveexec_b64 s[56:57], s[22:23]
	s_cbranch_execz .LBB22_133
; %bb.135:                              ;   in Loop: Header=BB22_134 Depth=3
	ds_read_b64 v[38:39], v57 offset:592
	v_accvgpr_read_b32 v41, a17
	v_accvgpr_read_b32 v40, a16
	v_lshl_add_u64 v[40:41], v[40:41], 0, v[46:47]
	s_waitcnt lgkmcnt(0)
	v_lshl_add_u64 v[38:39], v[40:41], 0, v[38:39]
	global_store_dwordx4 v[38:39], v[28:31], off nt
	global_store_dwordx4 v[38:39], v[24:27], off offset:1024 nt
	global_store_dwordx4 v[38:39], v[20:23], off offset:2048 nt
	global_store_dwordx4 v[38:39], v[16:19], off offset:3072 nt
	s_nop 1
	v_add_co_u32_e32 v16, vcc, 0x1000, v38
	s_nop 1
	v_addc_co_u32_e32 v17, vcc, 0, v39, vcc
	global_store_dwordx4 v[16:17], v[12:15], off nt
	global_store_dwordx4 v[16:17], v[8:11], off offset:1024 nt
	global_store_dwordx4 v[16:17], v[4:7], off offset:2048 nt
	;; [unrolled: 1-line block ×3, first 2 shown]
	s_branch .LBB22_133
.LBB22_136:                             ;   in Loop: Header=BB22_53 Depth=2
	s_or_b64 exec, exec, s[54:55]
	v_accvgpr_read_b32 v25, a13
	v_accvgpr_read_b32 v20, a20
	;; [unrolled: 1-line block ×7, first 2 shown]
	v_mov_b32_e32 v46, -1
	v_accvgpr_read_b32 v58, a0
	v_accvgpr_read_b32 v24, a12
	;; [unrolled: 1-line block ×13, first 2 shown]
.LBB22_137:                             ;   in Loop: Header=BB22_53 Depth=2
	s_or_b64 exec, exec, s[24:25]
	v_and_b32_e32 v0, 0x7fffe000, v62
	v_cmp_ne_u32_e32 vcc, v0, v62
	s_mov_b64 s[22:23], 0
	v_mov_b32_e32 v8, 0
                                        ; implicit-def: $vgpr9
                                        ; implicit-def: $vgpr4
	s_and_saveexec_b64 s[54:55], vcc
	s_cbranch_execz .LBB22_170
; %bb.138:                              ;   in Loop: Header=BB22_53 Depth=2
	v_lshlrev_b32_e32 v1, 6, v42
	v_sub_u32_e32 v1, v18, v1
	v_ashrrev_i32_e32 v3, 31, v1
	v_lshrrev_b32_e32 v3, 26, v3
	v_add_u32_e32 v3, v1, v3
	v_ashrrev_i32_e32 v4, 6, v3
	v_and_b32_e32 v3, 0xffffffc0, v3
	v_and_b32_e32 v2, 0x1fff, v62
	v_sub_u32_e32 v12, v1, v3
	v_and_b32_e32 v5, 0x1c00, v62
	v_lshlrev_b32_e32 v1, 4, v12
	v_sub_u32_e32 v14, v2, v5
	v_lshl_add_u32 v1, v4, 10, v1
	v_bfe_u32 v3, v62, 10, 3
	v_cmp_lt_i32_e32 vcc, 15, v14
	v_sub_u32_e32 v15, v2, v1
	s_nop 0
	v_addc_co_u32_e64 v2, s[22:23], 0, v3, vcc
	v_sub_u32_e32 v13, v2, v4
	v_cmp_lt_i32_e64 s[22:23], 15, v15
	s_and_saveexec_b64 s[56:57], s[22:23]
	s_cbranch_execz .LBB22_167
; %bb.139:                              ;   in Loop: Header=BB22_53 Depth=2
	ds_read_b64 v[6:7], v57 offset:584
	ds_read_b64 v[8:9], v0 offset:584
	v_add_u32_e32 v4, v1, v0
	v_ashrrev_i32_e32 v5, 31, v4
	v_cmp_lt_i32_e64 s[22:23], 1, v49
	s_mov_b64 s[58:59], 0
	v_mov_b64_e32 v[10:11], v[4:5]
	s_branch .LBB22_141
.LBB22_140:                             ;   in Loop: Header=BB22_141 Depth=3
	s_or_b64 exec, exec, s[24:25]
	v_sub_u32_e32 v15, v15, v20
	v_cmp_gt_i32_e64 s[24:25], 16, v15
	v_sub_u32_e32 v13, v13, v48
	v_lshl_add_u64 v[10:11], v[10:11], 0, v[20:21]
	s_or_b64 s[58:59], s[24:25], s[58:59]
	v_lshl_add_u64 v[4:5], v[4:5], 0, v[22:23]
	s_andn2_b64 exec, exec, s[58:59]
	s_cbranch_execz .LBB22_166
.LBB22_141:                             ;   Parent Loop BB22_4 Depth=1
                                        ;     Parent Loop BB22_53 Depth=2
                                        ; =>    This Inner Loop Header: Depth=3
	s_waitcnt lgkmcnt(0)
	v_lshl_add_u64 v[0:1], v[8:9], 0, v[4:5]
	global_load_dwordx4 v[0:3], v[0:1], off nt
	v_lshl_add_u64 v[16:17], v[6:7], 0, v[4:5]
	s_waitcnt vmcnt(0)
	global_store_dwordx4 v[16:17], v[0:3], off nt
	s_and_saveexec_b64 s[24:25], s[22:23]
	s_cbranch_execz .LBB22_140
; %bb.142:                              ;   in Loop: Header=BB22_141 Depth=3
	ds_read_b64 v[16:17], v57 offset:592
	s_waitcnt lgkmcnt(0)
	v_lshl_add_u64 v[16:17], v[10:11], 0, v[16:17]
	global_store_dwordx4 v[16:17], v[0:3], off nt
	s_branch .LBB22_140
.LBB22_143:                             ;   in Loop: Header=BB22_53 Depth=2
	s_or_b64 exec, exec, s[50:51]
	s_and_saveexec_b64 vcc, s[52:53]
	s_xor_b64 vcc, exec, vcc
	s_cbranch_execz .LBB22_145
; %bb.144:                              ;   in Loop: Header=BB22_53 Depth=2
	ds_write_b32 v0, v36
	s_trap 2
.LBB22_145:                             ;   in Loop: Header=BB22_53 Depth=2
	s_or_b64 exec, exec, s[48:49]
	;;#ASMSTART
	s_wakeup
	;;#ASMEND
.LBB22_146:                             ;   in Loop: Header=BB22_53 Depth=2
	s_or_b64 exec, exec, s[24:25]
	s_andn2_saveexec_b64 s[22:23], s[22:23]
	s_cbranch_execnz .LBB22_84
.LBB22_147:                             ;   in Loop: Header=BB22_53 Depth=2
	s_or_b64 exec, exec, s[22:23]
	s_and_saveexec_b64 s[22:23], s[12:13]
	s_xor_b64 s[22:23], exec, s[22:23]
	s_cbranch_execz .LBB22_85
.LBB22_148:                             ;   in Loop: Header=BB22_53 Depth=2
	s_and_saveexec_b64 s[24:25], s[14:15]
	s_cbranch_execz .LBB22_165
; %bb.149:                              ;   in Loop: Header=BB22_53 Depth=2
	s_mov_b64 s[50:51], exec
	v_mbcnt_lo_u32_b32 v0, s50, 0
	v_mbcnt_hi_u32_b32 v0, s51, v0
	v_cmp_eq_u32_e32 vcc, 0, v0
	s_waitcnt lgkmcnt(0)
	s_and_saveexec_b64 s[48:49], vcc
	s_cbranch_execz .LBB22_151
; %bb.150:                              ;   in Loop: Header=BB22_53 Depth=2
	s_bcnt1_i32_b64 vcc_lo, s[50:51]
	v_mov_b32_e32 v0, vcc_lo
	v_mov_b32_e32 v1, v32
	ds_add_u64 v0, v[0:1]
	s_trap 2
.LBB22_151:                             ;   in Loop: Header=BB22_53 Depth=2
	s_or_b64 exec, exec, s[48:49]
	s_trap 2
	ds_read_b64 v[0:1], v0
	v_lshl_add_u64 v[54:55], v[54:55], 0, 2
	s_waitcnt lgkmcnt(0)
	v_cmp_lt_u64_e32 vcc, v[0:1], v[54:55]
	s_and_saveexec_b64 s[48:49], vcc
	s_cbranch_execz .LBB22_164
; %bb.152:                              ;   in Loop: Header=BB22_53 Depth=2
	s_mov_b32 s60, 0
	s_mov_b64 s[50:51], 0
                                        ; implicit-def: $sgpr52_sgpr53
                                        ; implicit-def: $sgpr54_sgpr55
	s_branch .LBB22_154
.LBB22_153:                             ;   in Loop: Header=BB22_154 Depth=3
	s_or_b64 exec, exec, s[58:59]
	s_and_b64 vcc, exec, vcc
	s_or_b64 s[50:51], vcc, s[50:51]
	s_andn2_b64 vcc, s[52:53], exec
	s_and_b64 s[52:53], s[54:55], exec
	s_or_b64 s[52:53], vcc, s[52:53]
	s_andn2_b64 exec, exec, s[50:51]
	s_cbranch_execz .LBB22_162
.LBB22_154:                             ;   Parent Loop BB22_4 Depth=1
                                        ;     Parent Loop BB22_53 Depth=2
                                        ; =>    This Inner Loop Header: Depth=3
	s_add_i32 s60, s60, 1
	s_cmpk_lg_i32 s60, 0x2710
	s_cselect_b64 s[56:57], -1, 0
	s_and_b64 vcc, exec, s[56:57]
                                        ; implicit-def: $sgpr58_sgpr59
	s_cbranch_vccnz .LBB22_156
; %bb.155:                              ;   in Loop: Header=BB22_154 Depth=3
	s_trap 2
	ds_read_b64 v[0:1], v0
	s_andn2_b64 s[56:57], s[56:57], exec
	s_mov_b32 s60, 0
	s_mov_b64 s[58:59], -1
	s_waitcnt lgkmcnt(0)
	flat_load_dword v0, v[0:1] sc0 sc1
	s_waitcnt vmcnt(0) lgkmcnt(0)
	buffer_inv sc0 sc1
	v_cmp_eq_u32_e32 vcc, 0, v0
	s_and_b64 vcc, vcc, exec
	s_or_b64 s[56:57], s[56:57], vcc
.LBB22_156:                             ;   in Loop: Header=BB22_154 Depth=3
	s_andn2_b64 s[54:55], s[54:55], exec
	s_and_b64 s[58:59], s[58:59], exec
	s_mov_b64 vcc, -1
	s_or_b64 s[54:55], s[54:55], s[58:59]
	s_and_saveexec_b64 s[58:59], s[56:57]
	s_cbranch_execz .LBB22_153
; %bb.157:                              ;   in Loop: Header=BB22_154 Depth=3
	s_sleep 1
	s_trap 2
	ds_read_b64 v[0:1], v0
	s_andn2_b64 s[54:55], s[54:55], exec
	s_waitcnt lgkmcnt(0)
	v_cmp_ge_u64_e32 vcc, v[0:1], v[54:55]
	s_orn2_b64 vcc, vcc, exec
	s_branch .LBB22_153
.LBB22_158:                             ;   in Loop: Header=BB22_53 Depth=2
	s_or_b64 exec, exec, s[56:57]
	s_and_saveexec_b64 vcc, s[58:59]
	s_xor_b64 vcc, exec, vcc
	s_cbranch_execz .LBB22_160
; %bb.159:                              ;   in Loop: Header=BB22_53 Depth=2
	ds_write_b32 v0, v36
	s_trap 2
.LBB22_160:                             ;   in Loop: Header=BB22_53 Depth=2
	s_or_b64 exec, exec, s[54:55]
	;;#ASMSTART
	s_wakeup
	;;#ASMEND
.LBB22_161:                             ;   in Loop: Header=BB22_53 Depth=2
	s_or_b64 exec, exec, s[24:25]
	s_andn2_saveexec_b64 s[22:23], s[22:23]
	s_cbranch_execnz .LBB22_113
	s_branch .LBB22_114
.LBB22_162:                             ;   in Loop: Header=BB22_53 Depth=2
	s_or_b64 exec, exec, s[50:51]
	s_and_saveexec_b64 vcc, s[52:53]
	s_xor_b64 vcc, exec, vcc
	s_cbranch_execz .LBB22_164
; %bb.163:                              ;   in Loop: Header=BB22_53 Depth=2
	ds_write_b32 v0, v36
	s_trap 2
.LBB22_164:                             ;   in Loop: Header=BB22_53 Depth=2
	s_or_b64 exec, exec, s[48:49]
	;;#ASMSTART
	s_wakeup
	;;#ASMEND
.LBB22_165:                             ;   in Loop: Header=BB22_53 Depth=2
	s_or_b64 exec, exec, s[24:25]
	s_andn2_saveexec_b64 s[22:23], s[22:23]
	s_cbranch_execnz .LBB22_86
	s_branch .LBB22_87
.LBB22_166:                             ;   in Loop: Header=BB22_53 Depth=2
	s_or_b64 exec, exec, s[58:59]
.LBB22_167:                             ;   in Loop: Header=BB22_53 Depth=2
	s_or_b64 exec, exec, s[56:57]
	v_and_b32_e32 v1, 15, v62
	v_cndmask_b32_e32 v0, v14, v1, vcc
	v_cmp_ne_u32_e64 s[22:23], 0, v0
	s_mov_b64 s[24:25], 0
	v_mov_b32_e32 v8, 0
                                        ; implicit-def: $vgpr9
                                        ; implicit-def: $vgpr4
	s_and_saveexec_b64 s[56:57], s[22:23]
	s_cbranch_execz .LBB22_169
; %bb.168:                              ;   in Loop: Header=BB22_53 Depth=2
	v_sub_u32_e32 v1, v14, v1
	v_and_b32_e32 v2, 0x7ffffc00, v62
	v_cndmask_b32_e32 v1, 0, v1, vcc
	v_cmp_lt_i32_e32 vcc, 0, v13
	v_add_u32_e32 v8, v1, v2
	s_mov_b64 s[24:25], exec
	v_cndmask_b32_e32 v1, 0, v48, vcc
	v_sub_u32_e32 v1, v1, v13
	v_lshl_add_u32 v9, v1, 6, v12
	v_ashrrev_i32_e32 v1, 31, v9
	v_lshrrev_b32_e32 v1, 26, v1
	v_add_u32_e32 v1, v9, v1
	v_ashrrev_i32_e32 v4, 6, v1
.LBB22_169:                             ;   in Loop: Header=BB22_53 Depth=2
	s_or_b64 exec, exec, s[56:57]
	s_and_b64 s[22:23], s[24:25], exec
	v_mov_b32_e32 v62, v0
.LBB22_170:                             ;   in Loop: Header=BB22_53 Depth=2
	s_or_b64 exec, exec, s[54:55]
	s_and_saveexec_b64 s[24:25], s[22:23]
	s_cbranch_execz .LBB22_183
.LBB22_171:                             ;   in Loop: Header=BB22_53 Depth=2
	v_ashrrev_i32_e32 v0, 31, v62
	v_lshrrev_b32_e32 v0, 21, v0
	v_add_u32_e32 v0, v62, v0
	v_ashrrev_i32_e32 v12, 11, v0
	v_sub_u32_e32 v10, v12, v4
	v_ashrrev_i32_e32 v0, 31, v9
	v_cmp_lt_i32_e32 vcc, 0, v10
	v_lshrrev_b32_e32 v11, 26, v0
	s_and_saveexec_b64 s[54:55], vcc
	s_cbranch_execz .LBB22_177
; %bb.172:                              ;   in Loop: Header=BB22_53 Depth=2
	ds_read_b64 v[0:1], v0 offset:584
	ds_read_b64 v[2:3], v57 offset:584
	v_add_u32_e32 v5, v9, v11
	v_and_b32_e32 v5, 0xffffffc0, v5
	v_sub_u32_e32 v5, v9, v5
	v_lshlrev_b32_e32 v4, 11, v4
	v_accvgpr_write_b32 a34, v38
	v_accvgpr_write_b32 a33, v31
	;; [unrolled: 1-line block ×3, first 2 shown]
	v_add3_u32 v4, v5, v4, v8
	v_accvgpr_write_b32 a35, v39
	v_accvgpr_write_b32 a32, v30
	;; [unrolled: 1-line block ×4, first 2 shown]
	v_ashrrev_i32_e32 v5, 31, v4
	v_cmp_lt_i32_e32 vcc, 1, v49
	s_mov_b64 s[56:57], 0
	v_mov_b64_e32 v[6:7], 0
	s_branch .LBB22_174
.LBB22_173:                             ;   in Loop: Header=BB22_174 Depth=3
	s_or_b64 exec, exec, s[22:23]
	v_sub_u32_e32 v10, v10, v48
	v_accvgpr_read_b32 v14, a24
	v_accvgpr_read_b32 v15, a25
	v_cmp_gt_i32_e64 s[22:23], 1, v10
	v_lshl_add_u64 v[6:7], v[6:7], 0, v[14:15]
	v_lshl_add_u64 v[0:1], v[0:1], 0, v[60:61]
	s_or_b64 s[56:57], s[22:23], s[56:57]
	v_lshl_add_u64 v[2:3], v[2:3], 0, v[60:61]
	s_andn2_b64 exec, exec, s[56:57]
	s_cbranch_execz .LBB22_176
.LBB22_174:                             ;   Parent Loop BB22_4 Depth=1
                                        ;     Parent Loop BB22_53 Depth=2
                                        ; =>    This Inner Loop Header: Depth=3
	s_waitcnt lgkmcnt(0)
	v_lshl_add_u64 v[38:39], v[4:5], 0, v[0:1]
	flat_load_ubyte v13, v[38:39] nt
	flat_load_ubyte v14, v[38:39] offset:64 nt
	flat_load_ubyte v15, v[38:39] offset:128 nt
	flat_load_ubyte v16, v[38:39] offset:192 nt
	flat_load_ubyte v17, v[38:39] offset:256 nt
	flat_load_ubyte v18, v[38:39] offset:320 nt
	flat_load_ubyte v19, v[38:39] offset:384 nt
	flat_load_ubyte v20, v[38:39] offset:448 nt
	flat_load_ubyte v21, v[38:39] offset:512 nt
	flat_load_ubyte v22, v[38:39] offset:576 nt
	flat_load_ubyte v23, v[38:39] offset:640 nt
	flat_load_ubyte v24, v[38:39] offset:704 nt
	flat_load_ubyte v25, v[38:39] offset:768 nt
	flat_load_ubyte v26, v[38:39] offset:832 nt
	flat_load_ubyte v27, v[38:39] offset:896 nt
	flat_load_ubyte v28, v[38:39] offset:960 nt
	flat_load_ubyte v29, v[38:39] offset:1024 nt
	flat_load_ubyte v30, v[38:39] offset:1088 nt
	flat_load_ubyte v31, v[38:39] offset:1152 nt
	flat_load_ubyte v34, v[38:39] offset:1216 nt
	flat_load_ubyte v35, v[38:39] offset:1280 nt
	flat_load_ubyte v42, v[38:39] offset:1344 nt
	flat_load_ubyte a0, v[38:39] offset:1408 nt
	flat_load_ubyte a1, v[38:39] offset:1472 nt
	flat_load_ubyte a2, v[38:39] offset:1536 nt
	flat_load_ubyte a3, v[38:39] offset:1600 nt
	flat_load_ubyte a4, v[38:39] offset:1664 nt
	flat_load_ubyte a5, v[38:39] offset:1728 nt
	flat_load_ubyte a6, v[38:39] offset:1792 nt
	flat_load_ubyte a7, v[38:39] offset:1856 nt
	flat_load_ubyte a8, v[38:39] offset:1920 nt
	flat_load_ubyte a9, v[38:39] offset:1984 nt
	s_waitcnt lgkmcnt(0)
	v_lshl_add_u64 v[38:39], v[4:5], 0, v[2:3]
	s_waitcnt vmcnt(0)
	flat_store_byte v[38:39], v13 nt
	flat_store_byte v[38:39], v14 offset:64 nt
	flat_store_byte v[38:39], v15 offset:128 nt
	;; [unrolled: 1-line block ×31, first 2 shown]
	s_and_saveexec_b64 s[22:23], vcc
	s_cbranch_execz .LBB22_173
; %bb.175:                              ;   in Loop: Header=BB22_174 Depth=3
	ds_read_b64 v[38:39], v57 offset:592
	v_lshl_add_u64 v[40:41], v[4:5], 0, v[6:7]
	s_waitcnt lgkmcnt(0)
	v_lshl_add_u64 v[38:39], v[40:41], 0, v[38:39]
	flat_store_byte v[38:39], v13 nt
	flat_store_byte v[38:39], v14 offset:64 nt
	flat_store_byte v[38:39], v15 offset:128 nt
	;; [unrolled: 1-line block ×31, first 2 shown]
	s_branch .LBB22_173
.LBB22_176:                             ;   in Loop: Header=BB22_53 Depth=2
	s_or_b64 exec, exec, s[56:57]
	v_accvgpr_read_b32 v25, a13
	v_accvgpr_read_b32 v20, a20
	;; [unrolled: 1-line block ×17, first 2 shown]
.LBB22_177:                             ;   in Loop: Header=BB22_53 Depth=2
	s_or_b64 exec, exec, s[54:55]
	v_lshlrev_b32_e32 v0, 11, v12
	v_cmp_ne_u32_e32 vcc, v62, v0
	s_and_b64 exec, exec, vcc
	s_cbranch_execz .LBB22_183
; %bb.178:                              ;   in Loop: Header=BB22_53 Depth=2
	v_add_u32_e32 v1, v9, v11
	v_and_b32_e32 v1, 0xffffffc0, v1
	v_sub_u32_e32 v1, v9, v1
	v_lshlrev_b32_e32 v2, 6, v10
	v_sub_u32_e32 v1, v1, v2
	v_add_u32_e32 v0, v0, v1
	v_sub_u32_e32 v9, v62, v0
	v_cmp_lt_i32_e32 vcc, 0, v9
	s_and_b64 exec, exec, vcc
	s_cbranch_execz .LBB22_183
; %bb.179:                              ;   in Loop: Header=BB22_53 Depth=2
	v_add_u32_e32 v0, v0, v8
	ds_read_b64 v[2:3], v57 offset:584
	ds_read_b64 v[4:5], v0 offset:584
	v_ashrrev_i32_e32 v1, 31, v0
	v_cmp_lt_i32_e32 vcc, 1, v49
	s_mov_b64 s[54:55], 0
	v_mov_b64_e32 v[6:7], v[0:1]
	s_branch .LBB22_181
.LBB22_180:                             ;   in Loop: Header=BB22_181 Depth=3
	s_or_b64 exec, exec, s[22:23]
	v_sub_u32_e32 v9, v9, v24
	v_cmp_gt_i32_e64 s[22:23], 1, v9
	v_lshl_add_u64 v[6:7], v[6:7], 0, v[24:25]
	s_or_b64 s[54:55], s[22:23], s[54:55]
	v_lshl_add_u64 v[0:1], v[0:1], 0, v[28:29]
	s_andn2_b64 exec, exec, s[54:55]
	s_cbranch_execz .LBB22_183
.LBB22_181:                             ;   Parent Loop BB22_4 Depth=1
                                        ;     Parent Loop BB22_53 Depth=2
                                        ; =>    This Inner Loop Header: Depth=3
	s_waitcnt lgkmcnt(0)
	v_lshl_add_u64 v[10:11], v[4:5], 0, v[0:1]
	flat_load_ubyte v8, v[10:11] nt
	v_lshl_add_u64 v[10:11], v[2:3], 0, v[0:1]
	s_waitcnt vmcnt(0) lgkmcnt(0)
	flat_store_byte v[10:11], v8 nt
	s_and_saveexec_b64 s[22:23], vcc
	s_cbranch_execz .LBB22_180
; %bb.182:                              ;   in Loop: Header=BB22_181 Depth=3
	ds_read_b64 v[10:11], v57 offset:592
	s_waitcnt lgkmcnt(0)
	v_lshl_add_u64 v[10:11], v[6:7], 0, v[10:11]
	flat_store_byte v[10:11], v8 nt
	s_branch .LBB22_180
.LBB22_183:                             ;   in Loop: Header=BB22_53 Depth=2
	s_or_b64 exec, exec, s[24:25]
	v_cmp_ne_u32_e32 vcc, 0, v31
	v_and_b32_e32 v0, 16, v33
	s_and_b64 s[22:23], vcc, s[52:53]
	v_cmp_ne_u32_e32 vcc, 0, v0
	s_and_b64 s[22:23], s[22:23], vcc
	s_and_saveexec_b64 s[24:25], s[22:23]
	s_cbranch_execz .LBB22_187
; %bb.184:                              ;   in Loop: Header=BB22_53 Depth=2
	flat_load_dwordx2 v[0:1], v[52:53] offset:16
	s_waitcnt vmcnt(0) lgkmcnt(0)
	v_cmp_ne_u64_e32 vcc, 0, v[0:1]
	s_and_saveexec_b64 s[52:53], vcc
	s_cbranch_execz .LBB22_186
; %bb.185:                              ;   in Loop: Header=BB22_53 Depth=2
	ds_read_b32 v2, v0 offset:12
	v_and_b32_e32 v3, 7, v34
	v_mad_u64_u32 v[0:1], vcc, v3, 24, v[0:1]
	s_waitcnt lgkmcnt(0)
	v_add_u32_e32 v2, v2, v56
	v_ashrrev_i32_e32 v3, 31, v2
	flat_store_dwordx2 v[0:1], v[2:3] offset:8
.LBB22_186:                             ;   in Loop: Header=BB22_53 Depth=2
	s_or_b64 exec, exec, s[52:53]
	flat_load_dwordx2 v[0:1], v[52:53] offset:8
	v_mov_b64_e32 v[34:35], v[38:39]
	flat_store_dwordx2 v[52:53], v[38:39]
	s_waitcnt vmcnt(0) lgkmcnt(0)
	flat_store_dwordx2 v[0:1], v[38:39] offset:104 nt
.LBB22_187:                             ;   in Loop: Header=BB22_53 Depth=2
	s_or_b64 exec, exec, s[24:25]
	v_cmp_ne_u32_e32 vcc, 0, v30
	v_and_b32_e32 v0, 32, v33
	s_and_b64 s[24:25], s[50:51], vcc
	v_cmp_ne_u32_e32 vcc, 0, v0
	s_and_b64 s[24:25], s[24:25], vcc
	s_and_saveexec_b64 vcc, s[24:25]
	s_cbranch_execz .LBB22_189
; %bb.188:                              ;   in Loop: Header=BB22_53 Depth=2
	flat_load_dwordx2 v[0:1], v[52:53] offset:8
	v_lshl_add_u64 v[34:35], v[34:35], 0, 1
	flat_store_dwordx2 v[52:53], v[34:35]
	s_waitcnt vmcnt(0) lgkmcnt(0)
	flat_store_dwordx2 v[0:1], v[34:35] offset:104 nt
.LBB22_189:                             ;   in Loop: Header=BB22_53 Depth=2
	s_or_b64 exec, exec, vcc
	ds_read_b32 v0, v0
	s_waitcnt lgkmcnt(0)
	v_cmp_lt_i32_e32 vcc, -1, v0
	s_and_saveexec_b64 s[50:51], vcc
	s_xor_b64 s[50:51], exec, s[50:51]
	s_cbranch_execz .LBB22_204
; %bb.190:                              ;   in Loop: Header=BB22_53 Depth=2
	v_and_b32_e32 v0, 4, v33
	v_cmp_ne_u32_e32 vcc, 0, v0
	s_and_saveexec_b64 s[52:53], vcc
	s_cbranch_execz .LBB22_192
; %bb.191:                              ;   in Loop: Header=BB22_53 Depth=2
	flat_load_dword v4, v[52:53] offset:64
	ds_read2_b32 v[0:1], v0 offset0:2 offset1:4
	s_waitcnt lgkmcnt(0)
	v_add_u32_e32 v0, v0, v56
	v_ashrrev_i32_e32 v3, 31, v1
	v_mov_b32_e32 v2, v1
	v_ashrrev_i32_e32 v1, 31, v0
	v_lshl_add_u64 v[2:3], v[34:35], 0, v[2:3]
	s_waitcnt vmcnt(0)
	v_ashrrev_i32_e32 v5, 31, v4
	v_mad_u64_u32 v[0:1], vcc, v2, v4, v[0:1]
	v_mul_lo_u32 v2, v2, v5
	v_mul_lo_u32 v3, v3, v4
	v_add3_u32 v1, v3, v1, v2
	flat_atomic_smax_x2 v[52:53], v[0:1] offset:56
.LBB22_192:                             ;   in Loop: Header=BB22_53 Depth=2
	s_or_b64 exec, exec, s[52:53]
                                        ; implicit-def: $vgpr50_vgpr51
	s_andn2_saveexec_b64 s[50:51], s[50:51]
	s_cbranch_execnz .LBB22_205
.LBB22_193:                             ;   in Loop: Header=BB22_53 Depth=2
	s_or_b64 exec, exec, s[50:51]
	s_and_saveexec_b64 s[20:21], s[12:13]
	s_xor_b64 s[20:21], exec, s[20:21]
	s_cbranch_execz .LBB22_211
.LBB22_194:                             ;   in Loop: Header=BB22_53 Depth=2
	s_and_saveexec_b64 s[50:51], s[14:15]
	s_cbranch_execz .LBB22_220
; %bb.195:                              ;   in Loop: Header=BB22_53 Depth=2
	s_mov_b64 s[54:55], exec
	v_mbcnt_lo_u32_b32 v0, s54, 0
	v_mbcnt_hi_u32_b32 v0, s55, v0
	v_cmp_eq_u32_e32 vcc, 0, v0
	s_waitcnt lgkmcnt(0)
	s_and_saveexec_b64 s[52:53], vcc
	s_cbranch_execz .LBB22_197
; %bb.196:                              ;   in Loop: Header=BB22_53 Depth=2
	s_bcnt1_i32_b64 vcc_lo, s[54:55]
	v_mov_b32_e32 v0, vcc_lo
	v_mov_b32_e32 v1, v32
	ds_add_u64 v0, v[0:1]
	s_trap 2
.LBB22_197:                             ;   in Loop: Header=BB22_53 Depth=2
	s_or_b64 exec, exec, s[52:53]
	s_trap 2
	ds_read_b64 v[0:1], v0
	v_lshl_add_u64 v[54:55], v[54:55], 0, 2
	s_waitcnt lgkmcnt(0)
	v_cmp_lt_u64_e32 vcc, v[0:1], v[54:55]
	s_and_saveexec_b64 s[52:53], vcc
	s_cbranch_execz .LBB22_219
; %bb.198:                              ;   in Loop: Header=BB22_53 Depth=2
	s_mov_b32 s64, 0
	s_mov_b64 s[54:55], 0
                                        ; implicit-def: $sgpr56_sgpr57
                                        ; implicit-def: $sgpr58_sgpr59
	s_branch .LBB22_200
.LBB22_199:                             ;   in Loop: Header=BB22_200 Depth=3
	s_or_b64 exec, exec, s[62:63]
	s_and_b64 vcc, exec, vcc
	s_or_b64 s[54:55], vcc, s[54:55]
	s_andn2_b64 vcc, s[56:57], exec
	s_and_b64 s[56:57], s[58:59], exec
	s_or_b64 s[56:57], vcc, s[56:57]
	s_andn2_b64 exec, exec, s[54:55]
	s_cbranch_execz .LBB22_217
.LBB22_200:                             ;   Parent Loop BB22_4 Depth=1
                                        ;     Parent Loop BB22_53 Depth=2
                                        ; =>    This Inner Loop Header: Depth=3
	s_add_i32 s64, s64, 1
	s_cmpk_lg_i32 s64, 0x2710
	s_cselect_b64 s[60:61], -1, 0
	s_and_b64 vcc, exec, s[60:61]
                                        ; implicit-def: $sgpr62_sgpr63
	s_cbranch_vccnz .LBB22_202
; %bb.201:                              ;   in Loop: Header=BB22_200 Depth=3
	s_trap 2
	ds_read_b64 v[0:1], v0
	s_andn2_b64 s[60:61], s[60:61], exec
	s_mov_b32 s64, 0
	s_mov_b64 s[62:63], -1
	s_waitcnt vmcnt(0) lgkmcnt(0)
	flat_load_dword v0, v[0:1] sc0 sc1
	s_waitcnt vmcnt(0) lgkmcnt(0)
	buffer_inv sc0 sc1
	v_cmp_eq_u32_e32 vcc, 0, v0
	s_and_b64 vcc, vcc, exec
	s_or_b64 s[60:61], s[60:61], vcc
.LBB22_202:                             ;   in Loop: Header=BB22_200 Depth=3
	s_andn2_b64 s[58:59], s[58:59], exec
	s_and_b64 s[62:63], s[62:63], exec
	s_mov_b64 vcc, -1
	s_or_b64 s[58:59], s[58:59], s[62:63]
	s_and_saveexec_b64 s[62:63], s[60:61]
	s_cbranch_execz .LBB22_199
; %bb.203:                              ;   in Loop: Header=BB22_200 Depth=3
	s_sleep 1
	s_trap 2
	ds_read_b64 v[0:1], v0
	s_andn2_b64 s[58:59], s[58:59], exec
	s_waitcnt lgkmcnt(0)
	v_cmp_ge_u64_e32 vcc, v[0:1], v[54:55]
	s_orn2_b64 vcc, vcc, exec
	s_branch .LBB22_199
.LBB22_204:                             ;   in Loop: Header=BB22_53 Depth=2
	s_andn2_saveexec_b64 s[50:51], s[50:51]
	s_cbranch_execz .LBB22_193
.LBB22_205:                             ;   in Loop: Header=BB22_53 Depth=2
	s_and_saveexec_b64 s[52:53], s[20:21]
	s_cbranch_execz .LBB22_210
; %bb.206:                              ;   in Loop: Header=BB22_53 Depth=2
	s_mov_b64 s[54:55], exec
	s_mov_b64 s[20:21], s[26:27]
.LBB22_207:                             ;   Parent Loop BB22_4 Depth=1
                                        ;     Parent Loop BB22_53 Depth=2
                                        ; =>    This Inner Loop Header: Depth=3
	s_ff1_i32_b64 s56, s[54:55]
	v_readlane_b32 s57, v51, s56
	v_readlane_b32 s58, v50, s56
	s_nop 0
	v_mov_b32_e32 v1, s57
	v_mov_b32_e32 v0, s58
	v_cmp_gt_i64_e32 vcc, s[20:21], v[0:1]
	s_and_b64 vcc, vcc, exec
	s_cselect_b32 s21, s21, s57
	s_cselect_b32 s20, s20, s58
	s_lshl_b64 vcc, 1, s56
	s_andn2_b64 s[54:55], s[54:55], vcc
	s_cmp_lg_u64 s[54:55], 0
	s_cbranch_scc1 .LBB22_207
; %bb.208:                              ;   in Loop: Header=BB22_53 Depth=2
	v_mbcnt_lo_u32_b32 v0, exec_lo, 0
	v_mbcnt_hi_u32_b32 v0, exec_hi, v0
	v_cmp_eq_u32_e32 vcc, 0, v0
	s_and_saveexec_b64 s[54:55], vcc
	s_xor_b64 s[54:55], exec, s[54:55]
	s_cbranch_execz .LBB22_210
; %bb.209:                              ;   in Loop: Header=BB22_53 Depth=2
	v_mov_b64_e32 v[0:1], s[20:21]
	ds_max_i64 v0, v[0:1]
	s_trap 2
.LBB22_210:                             ;   in Loop: Header=BB22_53 Depth=2
	s_or_b64 exec, exec, s[52:53]
	s_or_b64 exec, exec, s[50:51]
	s_and_saveexec_b64 s[20:21], s[12:13]
	s_xor_b64 s[20:21], exec, s[20:21]
	s_cbranch_execnz .LBB22_194
.LBB22_211:                             ;   in Loop: Header=BB22_53 Depth=2
	s_andn2_saveexec_b64 s[20:21], s[20:21]
	s_cbranch_execz .LBB22_221
.LBB22_212:                             ;   in Loop: Header=BB22_53 Depth=2
	s_waitcnt lgkmcnt(0)
	s_barrier
	s_or_b64 exec, exec, s[20:21]
	s_and_saveexec_b64 s[20:21], s[22:23]
	s_cbranch_execnz .LBB22_222
.LBB22_213:                             ;   in Loop: Header=BB22_53 Depth=2
	s_or_b64 exec, exec, s[20:21]
	s_and_saveexec_b64 s[20:21], s[24:25]
	s_cbranch_execz .LBB22_215
.LBB22_214:                             ;   in Loop: Header=BB22_53 Depth=2
	flat_load_dwordx2 v[0:1], v[52:53] offset:32
	s_waitcnt vmcnt(0) lgkmcnt(0)
	flat_store_dwordx2 v[0:1], v[34:35] nt
.LBB22_215:                             ;   in Loop: Header=BB22_53 Depth=2
	s_or_b64 exec, exec, s[20:21]
	s_or_b64 exec, exec, s[48:49]
	s_and_saveexec_b64 s[20:21], s[18:19]
	s_cbranch_execz .LBB22_52
.LBB22_216:                             ;   in Loop: Header=BB22_53 Depth=2
	ds_write_b32 v0, v32 offset:36
	s_branch .LBB22_52
.LBB22_217:                             ;   in Loop: Header=BB22_53 Depth=2
	s_or_b64 exec, exec, s[54:55]
	s_and_saveexec_b64 vcc, s[56:57]
	s_xor_b64 vcc, exec, vcc
	s_cbranch_execz .LBB22_219
; %bb.218:                              ;   in Loop: Header=BB22_53 Depth=2
	ds_write_b32 v0, v36
	s_trap 2
.LBB22_219:                             ;   in Loop: Header=BB22_53 Depth=2
	s_or_b64 exec, exec, s[52:53]
	;;#ASMSTART
	s_wakeup
	;;#ASMEND
.LBB22_220:                             ;   in Loop: Header=BB22_53 Depth=2
	s_or_b64 exec, exec, s[50:51]
	s_andn2_saveexec_b64 s[20:21], s[20:21]
	s_cbranch_execnz .LBB22_212
.LBB22_221:                             ;   in Loop: Header=BB22_53 Depth=2
	s_or_b64 exec, exec, s[20:21]
	s_and_saveexec_b64 s[20:21], s[22:23]
	s_cbranch_execz .LBB22_213
.LBB22_222:                             ;   in Loop: Header=BB22_53 Depth=2
	flat_load_dwordx2 v[0:1], v[52:53] offset:40
	s_waitcnt vmcnt(0) lgkmcnt(0)
	flat_store_dwordx2 v[0:1], v[34:35] nt
	s_or_b64 exec, exec, s[20:21]
	s_and_saveexec_b64 s[20:21], s[24:25]
	s_cbranch_execnz .LBB22_214
	s_branch .LBB22_215
.LBB22_223:                             ;   in Loop: Header=BB22_4 Depth=1
	s_or_b64 exec, exec, s[46:47]
	v_and_b32_e32 v0, 0x800, v33
	v_cmp_eq_u32_e32 vcc, 0, v0
	s_and_b64 s[16:17], exec, vcc
	v_accvgpr_read_b32 v30, a10
	s_mov_b64 exec, s[16:17]
	s_cbranch_execz .LBB22_253
; %bb.224:                              ;   in Loop: Header=BB22_4 Depth=1
	v_and_b32_e32 v0, 48, v33
	v_cmp_ne_u32_e32 vcc, 0, v0
	s_and_saveexec_b64 s[16:17], vcc
	s_cbranch_execz .LBB22_226
; %bb.225:                              ;   in Loop: Header=BB22_4 Depth=1
	v_mov_b64_e32 v[0:1], 0x68
	flat_store_dwordx2 v[0:1], v[34:35]
.LBB22_226:                             ;   in Loop: Header=BB22_4 Depth=1
	s_or_b64 exec, exec, s[16:17]
	v_and_b32_e32 v0, 0x88, v33
	v_cmp_eq_u32_e32 vcc, s69, v0
	s_and_saveexec_b64 s[16:17], vcc
	s_cbranch_execz .LBB22_237
; %bb.227:                              ;   in Loop: Header=BB22_4 Depth=1
	v_add_u32_e32 v0, -1, v34
	v_and_b32_e32 v0, 7, v0
	v_mad_u64_u32 v[0:1], s[18:19], v0, 24, 8
	s_mov_b64 s[18:19], 0
	v_mov_b32_e32 v2, 0
                                        ; implicit-def: $sgpr20_sgpr21
	s_branch .LBB22_232
.LBB22_228:                             ;   in Loop: Header=BB22_232 Depth=2
	s_or_b64 exec, exec, s[50:51]
	v_mov_b32_e32 v3, 0
	s_orn2_b64 s[48:49], s[48:49], exec
.LBB22_229:                             ;   in Loop: Header=BB22_232 Depth=2
	s_or_b64 exec, exec, s[46:47]
	s_and_b64 s[46:47], s[48:49], exec
	v_mov_b32_e32 v2, v3
.LBB22_230:                             ;   in Loop: Header=BB22_232 Depth=2
	s_or_b64 exec, exec, s[24:25]
	s_xor_b64 s[24:25], s[46:47], -1
	s_andn2_b64 s[20:21], s[20:21], exec
	s_and_b64 s[24:25], s[24:25], exec
	s_or_b64 s[20:21], s[20:21], s[24:25]
.LBB22_231:                             ;   in Loop: Header=BB22_232 Depth=2
	s_or_b64 exec, exec, s[22:23]
	s_and_b64 s[22:23], exec, s[20:21]
	s_or_b64 s[18:19], s[22:23], s[18:19]
	s_andn2_b64 exec, exec, s[18:19]
	s_cbranch_execz .LBB22_237
.LBB22_232:                             ;   Parent Loop BB22_4 Depth=1
                                        ; =>  This Inner Loop Header: Depth=2
	flat_load_dwordx2 v[4:5], v[0:1] sc0 sc1
	s_waitcnt vmcnt(0)
	s_or_b64 s[20:21], s[20:21], exec
	s_waitcnt lgkmcnt(0)
	v_cmp_ne_u64_e32 vcc, -1, v[4:5]
	s_and_saveexec_b64 s[22:23], vcc
	s_cbranch_execz .LBB22_231
; %bb.233:                              ;   in Loop: Header=BB22_232 Depth=2
	v_and_b32_e32 v3, 64, v33
	v_cmp_eq_u32_e32 vcc, 0, v3
	s_mov_b64 s[46:47], 0
	s_and_saveexec_b64 s[24:25], vcc
	s_cbranch_execz .LBB22_230
; %bb.234:                              ;   in Loop: Header=BB22_232 Depth=2
	v_add_u32_e32 v3, 1, v2
	v_cmp_lt_i32_e32 vcc, s38, v2
	s_mov_b64 s[48:49], -1
	s_and_saveexec_b64 s[46:47], vcc
	s_cbranch_execz .LBB22_229
; %bb.235:                              ;   in Loop: Header=BB22_232 Depth=2
	s_trap 2
	ds_read_b64 v[2:3], v0
	s_waitcnt lgkmcnt(0)
	flat_load_dword v2, v[2:3] sc0 sc1
	s_waitcnt vmcnt(0) lgkmcnt(0)
	buffer_inv sc0 sc1
	v_cmp_ne_u32_e32 vcc, 0, v2
	s_and_saveexec_b64 s[50:51], vcc
	s_cbranch_execz .LBB22_228
; %bb.236:                              ;   in Loop: Header=BB22_232 Depth=2
	v_or_b32_e32 v33, 64, v33
	s_xor_b64 s[48:49], exec, -1
	ds_write_b32 v0, v2
	s_trap 2
	s_branch .LBB22_228
.LBB22_237:                             ;   in Loop: Header=BB22_4 Depth=1
	s_or_b64 exec, exec, s[16:17]
	v_cmp_ne_u32_e32 vcc, 1, v48
	s_and_b64 exec, exec, vcc
	s_cbranch_execz .LBB22_253
; %bb.238:                              ;   in Loop: Header=BB22_4 Depth=1
	s_and_saveexec_b64 s[16:17], s[12:13]
	s_xor_b64 s[12:13], exec, s[16:17]
	s_cbranch_execz .LBB22_251
; %bb.239:                              ;   in Loop: Header=BB22_4 Depth=1
	s_and_saveexec_b64 s[16:17], s[14:15]
	s_cbranch_execz .LBB22_250
; %bb.240:                              ;   in Loop: Header=BB22_4 Depth=1
	v_mov_b64_e32 v[0:1], 1
	s_waitcnt lgkmcnt(0)
	ds_add_u64 v0, v[0:1] offset:272
	ds_read_b64 v[0:1], v0 offset:272
	v_ashrrev_i32_e32 v49, 31, v48
	s_waitcnt lgkmcnt(0)
	v_cmp_lt_u64_e32 vcc, v[0:1], v[48:49]
	s_and_saveexec_b64 s[14:15], vcc
	s_cbranch_execz .LBB22_249
; %bb.241:                              ;   in Loop: Header=BB22_4 Depth=1
	s_mov_b32 s48, 0
	s_mov_b64 s[18:19], 0
                                        ; implicit-def: $sgpr20_sgpr21
                                        ; implicit-def: $sgpr22_sgpr23
	s_branch .LBB22_243
.LBB22_242:                             ;   in Loop: Header=BB22_243 Depth=2
	s_or_b64 exec, exec, s[46:47]
	s_and_b64 s[24:25], exec, vcc
	s_or_b64 s[18:19], s[24:25], s[18:19]
	s_andn2_b64 s[20:21], s[20:21], exec
	s_and_b64 s[24:25], s[22:23], exec
	s_or_b64 s[20:21], s[20:21], s[24:25]
	s_andn2_b64 exec, exec, s[18:19]
	s_cbranch_execz .LBB22_247
.LBB22_243:                             ;   Parent Loop BB22_4 Depth=1
                                        ; =>  This Inner Loop Header: Depth=2
	s_add_i32 s48, s48, 1
	s_cmpk_lg_i32 s48, 0x2710
	s_cselect_b64 s[24:25], -1, 0
	s_and_b64 vcc, exec, s[24:25]
                                        ; implicit-def: $sgpr46_sgpr47
	s_cbranch_vccnz .LBB22_245
; %bb.244:                              ;   in Loop: Header=BB22_243 Depth=2
	s_trap 2
	ds_read_b64 v[0:1], v0
	s_andn2_b64 s[24:25], s[24:25], exec
	s_mov_b32 s48, 0
	s_mov_b64 s[46:47], -1
	s_waitcnt vmcnt(0) lgkmcnt(0)
	flat_load_dword v0, v[0:1] sc0 sc1
	s_waitcnt vmcnt(0) lgkmcnt(0)
	buffer_inv sc0 sc1
	v_cmp_eq_u32_e32 vcc, 0, v0
	s_and_b64 vcc, vcc, exec
	s_or_b64 s[24:25], s[24:25], vcc
.LBB22_245:                             ;   in Loop: Header=BB22_243 Depth=2
	s_andn2_b64 s[22:23], s[22:23], exec
	s_and_b64 s[46:47], s[46:47], exec
	s_mov_b64 vcc, -1
	s_or_b64 s[22:23], s[22:23], s[46:47]
	s_and_saveexec_b64 s[46:47], s[24:25]
	s_cbranch_execz .LBB22_242
; %bb.246:                              ;   in Loop: Header=BB22_243 Depth=2
	s_sleep 1
	ds_read_b64 v[0:1], v0 offset:272
	s_andn2_b64 s[22:23], s[22:23], exec
	s_waitcnt lgkmcnt(0)
	v_cmp_ge_u64_e32 vcc, v[0:1], v[48:49]
	s_orn2_b64 vcc, vcc, exec
	s_branch .LBB22_242
.LBB22_247:                             ;   in Loop: Header=BB22_4 Depth=1
	s_or_b64 exec, exec, s[18:19]
	s_and_saveexec_b64 s[18:19], s[20:21]
	s_xor_b64 s[18:19], exec, s[18:19]
	s_cbranch_execz .LBB22_249
; %bb.248:                              ;   in Loop: Header=BB22_4 Depth=1
	ds_write_b32 v0, v36
	s_trap 2
.LBB22_249:                             ;   in Loop: Header=BB22_4 Depth=1
	s_or_b64 exec, exec, s[14:15]
	;;#ASMSTART
	s_wakeup
	;;#ASMEND
.LBB22_250:                             ;   in Loop: Header=BB22_4 Depth=1
	s_or_b64 exec, exec, s[16:17]
.LBB22_251:                             ;   in Loop: Header=BB22_4 Depth=1
	s_andn2_saveexec_b64 s[12:13], s[12:13]
	s_cbranch_execz .LBB22_253
; %bb.252:                              ;   in Loop: Header=BB22_4 Depth=1
	s_waitcnt lgkmcnt(0)
	s_barrier
.LBB22_253:                             ;   in Loop: Header=BB22_4 Depth=1
	s_or_b64 exec, exec, s[44:45]
                                        ; implicit-def: $vgpr2_vgpr3
                                        ; implicit-def: $vgpr8_vgpr9
                                        ; implicit-def: $vgpr6_vgpr7
                                        ; implicit-def: $vgpr10_vgpr11
                                        ; implicit-def: $vgpr4_vgpr5
.LBB22_254:                             ;   in Loop: Header=BB22_4 Depth=1
	s_andn2_saveexec_b64 s[12:13], s[42:43]
	s_cbranch_execz .LBB22_3
; %bb.255:                              ;   in Loop: Header=BB22_4 Depth=1
	v_sub_u32_e64 v1, s71, 1 clamp
	v_lshl_add_u64 v[8:9], v[8:9], 0, v[6:7]
	v_readfirstlane_b32 s12, v1
	s_flbit_i32_b32 s12, s12
	s_sub_i32 s12, 32, s12
	s_lshl_b32 s12, 1, s12
	s_cmp_gt_u32 s71, 1
	v_lshl_add_u64 v[6:7], v[4:5], 0, v[2:3]
	s_cselect_b32 s19, s12, 1
	s_lshr_b32 s12, s71, 31
	v_and_b32_e32 v0, 0x3ffffe00, v10
	scratch_store_dwordx4 off, v[4:7], s32 offset:72
	scratch_store_dwordx2 off, v[8:9], s32 offset:88
	scratch_store_dword off, v0, s32 offset:96
	v_mov_b32_e32 v5, s71
	s_add_i32 s71, s71, s12
	s_mov_b32 s18, 1
	v_mov_b32_e32 v4, s72
	v_mov_b32_e32 v6, s19
	;; [unrolled: 1-line block ×4, first 2 shown]
	s_ashr_i32 s17, s71, 1
	scratch_store_dwordx3 off, v[4:6], s32 offset:104
	scratch_store_dword off, v6, s32 offset:140
	scratch_store_dwordx2 off, v[58:59], s32 offset:124
	s_branch .LBB22_257
.LBB22_256:                             ;   in Loop: Header=BB22_257 Depth=2
	s_andn2_b64 vcc, exec, s[14:15]
	s_cbranch_vccz .LBB22_261
.LBB22_257:                             ;   Parent Loop BB22_4 Depth=1
                                        ; =>  This Inner Loop Header: Depth=2
	s_mov_b32 s20, s18
	s_ashr_i32 s12, s18, 31
	v_mul_hi_u32 v4, v2, s20
	v_mul_lo_u32 v5, v2, s12
	v_add_u32_e32 v4, v4, v5
	v_mul_lo_u32 v5, v3, s20
	v_add_u32_e32 v5, v4, v5
	v_mul_lo_u32 v4, v2, s20
	v_cmp_lt_u64_e32 vcc, v[0:1], v[4:5]
	s_mov_b32 s16, s19
	v_mov_b64_e32 v[6:7], 0
	s_cbranch_vccnz .LBB22_259
; %bb.258:                              ;   in Loop: Header=BB22_257 Depth=2
	v_cvt_f32_u32_e32 v5, v4
	v_sub_u32_e32 v6, 0, v4
	v_rcp_iflag_f32_e32 v5, v5
	s_nop 0
	v_mul_f32_e32 v5, 0x4f7ffffe, v5
	v_cvt_u32_f32_e32 v5, v5
	v_mul_lo_u32 v6, v6, v5
	v_mul_hi_u32 v6, v5, v6
	v_add_u32_e32 v5, v5, v6
	v_mul_hi_u32 v5, v0, v5
	v_mul_lo_u32 v7, v5, v4
	v_sub_u32_e32 v7, v0, v7
	v_add_u32_e32 v6, 1, v5
	v_sub_u32_e32 v8, v7, v4
	v_cmp_ge_u32_e32 vcc, v7, v4
	s_nop 1
	v_cndmask_b32_e32 v7, v7, v8, vcc
	v_cndmask_b32_e32 v5, v5, v6, vcc
	v_add_u32_e32 v6, 1, v5
	v_cmp_ge_u32_e32 vcc, v7, v4
	v_mov_b32_e32 v7, v32
	s_nop 0
	v_cndmask_b32_e32 v6, v5, v6, vcc
.LBB22_259:                             ;   in Loop: Header=BB22_257 Depth=2
	s_cmp_lt_i32 s20, s17
	s_cselect_b64 s[12:13], -1, 0
	s_cmp_ge_i32 s20, s17
	v_cmp_gt_u64_e32 vcc, 2, v[6:7]
	s_cselect_b64 s[18:19], -1, 0
	s_or_b64 s[18:19], s[18:19], vcc
	s_mov_b64 s[14:15], -1
	s_and_b64 vcc, exec, s[18:19]
                                        ; implicit-def: $sgpr18
                                        ; implicit-def: $sgpr19
	s_cbranch_vccnz .LBB22_256
; %bb.260:                              ;   in Loop: Header=BB22_257 Depth=2
	s_lshr_b32 s14, s16, 31
	s_lshl_b32 s18, s20, 1
	s_add_i32 s14, s16, s14
	v_mov_b32_e32 v4, s18
	s_ashr_i32 s19, s14, 1
	scratch_store_dword off, v4, s32 offset:128
	v_mov_b32_e32 v4, s19
	s_mov_b64 s[14:15], 0
	scratch_store_dword off, v4, s32 offset:140
	s_branch .LBB22_256
.LBB22_261:                             ;   in Loop: Header=BB22_4 Depth=1
	v_mov_b32_e32 v4, s20
	s_cmp_gt_i32 s20, 1
	s_mov_b32 s21, 2
	scratch_store_dword off, v4, s32 offset:116
	s_cbranch_scc1 .LBB22_263
; %bb.262:                              ;   in Loop: Header=BB22_4 Depth=1
	v_mov_b32_e32 v4, s20
	s_mov_b32 s21, s20
	scratch_store_dword off, v4, s32 offset:124
.LBB22_263:                             ;   in Loop: Header=BB22_4 Depth=1
	s_andn2_b64 vcc, exec, s[12:13]
	s_cbranch_vccnz .LBB22_268
; %bb.264:                              ;   in Loop: Header=BB22_4 Depth=1
	s_lshr_b32 s13, s16, 31
	s_lshl_b32 s12, s20, 1
	s_add_i32 s13, s16, s13
	v_mov_b32_e32 v4, s12
	s_ashr_i32 s13, s13, 1
	scratch_store_dword off, v4, s32 offset:128
	v_mov_b32_e32 v4, s13
	s_cmp_ge_i32 s12, s17
	scratch_store_dword off, v4, s32 offset:140
	s_cbranch_scc1 .LBB22_267
; %bb.265:                              ;   in Loop: Header=BB22_4 Depth=1
	s_ashr_i32 s14, s16, 31
	s_lshr_b32 s13, s14, 30
	s_lshl_b32 s12, s20, 2
	s_add_i32 s13, s16, s13
	v_mov_b32_e32 v4, s12
	s_ashr_i32 s13, s13, 2
	scratch_store_dword off, v4, s32 offset:128
	v_mov_b32_e32 v4, s13
	s_cmp_ge_i32 s12, s17
	scratch_store_dword off, v4, s32 offset:140
	s_cbranch_scc1 .LBB22_267
; %bb.266:                              ;   in Loop: Header=BB22_4 Depth=1
	s_lshr_b32 s13, s14, 29
	s_lshl_b32 s12, s20, 3
	s_add_i32 s13, s16, s13
	v_mov_b32_e32 v4, s12
	s_ashr_i32 s13, s13, 3
	scratch_store_dword off, v4, s32 offset:128
	v_mov_b32_e32 v4, s13
	scratch_store_dword off, v4, s32 offset:140
.LBB22_267:                             ;   in Loop: Header=BB22_4 Depth=1
	s_mov_b32 s20, s12
	s_mov_b32 s16, s13
.LBB22_268:                             ;   in Loop: Header=BB22_4 Depth=1
	v_sub_u32_e64 v4, s16, 1 clamp
	s_nop 0
	v_readfirstlane_b32 s12, v4
	s_flbit_i32_b32 s12, s12
	s_sub_i32 s14, 32, s12
	s_cmp_lt_u32 s16, 2
	s_cselect_b64 s[12:13], -1, 0
	s_and_b64 vcc, s[12:13], exec
	v_cmp_lt_i64_e64 s[12:13], v[0:1], v[2:3]
	s_cselect_b32 s23, 0, s14
	s_mov_b32 s16, 0
	v_cndmask_b32_e64 v0, v2, v0, s[12:13]
	s_lshr_b32 s12, s20, 31
	s_add_i32 s12, s20, s12
	s_ashr_i32 s22, s12, 1
	s_add_i32 s12, s20, -2
	s_cmp_lt_u32 s12, -3
	s_cselect_b64 s[12:13], -1, 0
	s_and_b64 s[14:15], s[12:13], exec
	s_cselect_b32 s14, 2, 1
	scratch_store_dword off, v0, s32 offset:100
	v_mov_b32_e32 v0, s22
	v_mov_b32_e32 v1, s14
	;; [unrolled: 1-line block ×4, first 2 shown]
	scratch_store_dwordx4 off, v[0:3], s32 offset:144
	s_cbranch_vccnz .LBB22_284
; %bb.269:                              ;   in Loop: Header=BB22_4 Depth=1
	s_cmp_gt_u32 s23, 1
	s_mov_b64 s[14:15], -1
	s_cbranch_scc0 .LBB22_273
; %bb.270:                              ;   in Loop: Header=BB22_4 Depth=1
	s_and_b32 s16, s23, 62
	s_mov_b32 s14, s23
	s_mov_b32 s15, 1
	;; [unrolled: 1-line block ×5, first 2 shown]
.LBB22_271:                             ;   Parent Loop BB22_4 Depth=1
                                        ; =>  This Inner Loop Header: Depth=2
	v_mov_b32_e32 v37, v36
	s_sub_i32 s24, s14, s15
	s_sub_i32 s25, s23, s17
	s_add_i32 vcc_lo, s19, 0xffffff80
	s_add_i32 s17, s17, 2
	s_add_i32 s15, s15, 2
	s_add_i32 s18, s18, -2
	scratch_store_dwordx2 off, v[36:37], s19
	s_add_i32 s19, s19, 8
	v_mov_b32_e32 v0, s25
	v_mov_b32_e32 v1, s24
	s_cmp_lg_u32 s18, 0
	scratch_store_dwordx2 off, v[0:1], vcc_lo
	s_cbranch_scc1 .LBB22_271
; %bb.272:                              ;   in Loop: Header=BB22_4 Depth=1
	s_cmp_lg_u32 s23, s16
	s_cselect_b64 s[14:15], -1, 0
.LBB22_273:                             ;   in Loop: Header=BB22_4 Depth=1
	s_and_b64 vcc, exec, s[14:15]
	s_cbranch_vccz .LBB22_276
; %bb.274:                              ;   in Loop: Header=BB22_4 Depth=1
	s_lshl_b32 s14, s16, 2
	s_add_i32 s14, s68, s14
	s_sub_i32 s15, s23, s16
.LBB22_275:                             ;   Parent Loop BB22_4 Depth=1
                                        ; =>  This Inner Loop Header: Depth=2
	s_add_i32 s16, s14, 0xffffff80
	v_mov_b32_e32 v0, s15
	scratch_store_dword off, v36, s14
	s_add_i32 s14, s14, 4
	s_add_i32 s15, s15, -1
	s_cmp_eq_u32 s15, 0
	scratch_store_dword off, v0, s16
	s_cbranch_scc0 .LBB22_275
.LBB22_276:                             ;   in Loop: Header=BB22_4 Depth=1
	s_mov_b32 s24, 0
	v_mov_b32_e32 v3, 0
	s_mov_b32 s25, s68
	s_branch .LBB22_280
.LBB22_277:                             ;   in Loop: Header=BB22_280 Depth=2
	s_or_b64 exec, exec, s[18:19]
	v_add_u32_e32 v1, 1, v1
	scratch_store_dword off, v1, s25
.LBB22_278:                             ;   in Loop: Header=BB22_280 Depth=2
	s_or_b64 exec, exec, s[16:17]
	v_mov_b32_e32 v3, v0
.LBB22_279:                             ;   in Loop: Header=BB22_280 Depth=2
	s_or_b64 exec, exec, s[14:15]
	s_add_i32 s24, s24, 1
	s_add_i32 s25, s25, 4
	s_cmp_lg_u32 s23, s24
	s_cbranch_scc0 .LBB22_284
.LBB22_280:                             ;   Parent Loop BB22_4 Depth=1
                                        ; =>  This Inner Loop Header: Depth=2
	s_add_i32 s42, s25, 0xffffff80
	scratch_load_dword v0, off, s42
	s_waitcnt vmcnt(0)
	v_add_u32_e32 v0, -1, v0
	v_cmp_eq_u32_e32 vcc, 0, v0
	scratch_store_dword off, v0, s42
	s_and_saveexec_b64 s[14:15], vcc
	s_cbranch_execz .LBB22_279
; %bb.281:                              ;   in Loop: Header=BB22_280 Depth=2
	s_lshl_b32 s43, 1, s24
	v_xor_b32_e32 v0, s43, v3
	v_mov_b32_e32 v1, s43
	scratch_store_dword off, v0, s32 offset:156
	scratch_store_dword off, v1, s42
	v_and_b32_e32 v1, s43, v3
	v_cmp_ne_u32_e32 vcc, 0, v1
	s_and_saveexec_b64 s[16:17], vcc
	s_cbranch_execz .LBB22_278
; %bb.282:                              ;   in Loop: Header=BB22_280 Depth=2
	scratch_load_dword v1, off, s25
	v_mov_b32_e32 v2, s23
	s_waitcnt vmcnt(0)
	v_ffbl_b32_e32 v4, v1
	v_cmp_eq_u32_e32 vcc, 0, v1
	s_nop 1
	v_cndmask_b32_e32 v2, v4, v2, vcc
	v_add3_u32 v2, s43, -1, v2
	v_cmp_eq_u32_e32 vcc, 0, v2
	scratch_store_dword off, v2, s42
	s_and_saveexec_b64 s[18:19], vcc
	s_cbranch_execz .LBB22_277
; %bb.283:                              ;   in Loop: Header=BB22_280 Depth=2
	v_mov_b32_e32 v0, s43
	scratch_store_dword off, v3, s32 offset:156
	scratch_store_dword off, v0, s42
	v_mov_b32_e32 v0, v3
	s_branch .LBB22_277
.LBB22_284:                             ;   in Loop: Header=BB22_4 Depth=1
	s_nop 0
	v_mov_b32_e32 v0, v3
	v_mov_b32_e32 v1, v32
	s_andn2_b64 vcc, exec, s[12:13]
	scratch_store_dwordx2 off, v[0:1], s32 offset:132
	s_cbranch_vccnz .LBB22_286
; %bb.285:                              ;   in Loop: Header=BB22_4 Depth=1
	s_lshl_b32 s12, s22, 1
	s_ashr_i32 s13, s22, 31
	s_add_i32 s12, s12, s13
	s_xor_b32 s12, s12, s13
	v_cvt_f32_u32_e32 v0, s12
	s_ashr_i32 s14, s20, 31
	s_xor_b32 s13, s14, s13
	s_sub_i32 s14, 0, s12
	v_rcp_iflag_f32_e32 v0, v0
	s_abs_i32 s15, s20
	v_mul_f32_e32 v0, 0x4f7ffffe, v0
	v_cvt_u32_f32_e32 v0, v0
	s_nop 0
	v_readfirstlane_b32 s16, v0
	s_mul_i32 s14, s14, s16
	s_mul_hi_u32 s14, s16, s14
	s_add_i32 s16, s16, s14
	s_mul_hi_u32 s14, s15, s16
	s_mul_i32 s16, s14, s12
	s_sub_i32 s15, s15, s16
	s_add_i32 s17, s14, 1
	s_sub_i32 s16, s15, s12
	s_cmp_ge_u32 s15, s12
	s_cselect_b32 s14, s17, s14
	s_cselect_b32 s15, s16, s15
	s_add_i32 s16, s14, 1
	s_cmp_ge_u32 s15, s12
	s_cselect_b32 s12, s16, s14
	s_xor_b32 s12, s12, s13
	s_sub_i32 s20, s12, s13
.LBB22_286:                             ;   in Loop: Header=BB22_4 Depth=1
	v_mov_b32_e32 v0, s20
	scratch_store_dword off, v0, s32 offset:120
	v_mov_b32_e32 v0, s21
	s_mov_b32 s54, 0
	s_mov_b64 s[22:23], 0
	ds_write_b32 v0, v0
	s_trap 2
	s_branch .LBB22_289
.LBB22_287:                             ;   in Loop: Header=BB22_289 Depth=2
	s_or_b64 exec, exec, s[12:13]
	s_andn2_b64 s[18:19], s[18:19], exec
.LBB22_288:                             ;   in Loop: Header=BB22_289 Depth=2
	s_or_b64 exec, exec, s[16:17]
	s_add_i32 s54, s54, 1
	s_and_b64 s[12:13], exec, s[18:19]
	v_cndmask_b32_e64 v0, 1, 3, s[14:15]
	s_or_b64 s[22:23], s[12:13], s[22:23]
	ds_write_b32 v0, v0 offset:36
	s_andn2_b64 exec, exec, s[22:23]
	s_cbranch_execz .LBB22_2
.LBB22_289:                             ;   Parent Loop BB22_4 Depth=1
                                        ; =>  This Loop Header: Depth=2
                                        ;       Child Loop BB22_290 Depth 3
                                        ;       Child Loop BB22_352 Depth 3
	;; [unrolled: 1-line block ×5, first 2 shown]
	s_trap 2
.LBB22_290:                             ;   Parent Loop BB22_4 Depth=1
                                        ;     Parent Loop BB22_289 Depth=2
                                        ; =>    This Inner Loop Header: Depth=3
	ds_read_b32 v0, v0 offset:36
	s_waitcnt lgkmcnt(0)
	v_cmp_ne_u32_e32 vcc, 0, v0
	s_cbranch_vccnz .LBB22_290
; %bb.291:                              ;   in Loop: Header=BB22_289 Depth=2
	scratch_load_dword v10, off, s32 offset:148
	scratch_load_dword v12, off, s32 offset:120
	;; [unrolled: 1-line block ×3, first 2 shown]
	scratch_load_dwordx2 v[4:5], off, s32 offset:72
	scratch_load_dword v11, off, s32 offset:136
	s_mov_b64 s[14:15], -1
	s_waitcnt vmcnt(0)
	ds_write2_b32 v0, v13, v32 offset0:7 offset1:8
	ds_write_b64 v0, v[4:5] offset:40
	v_cmp_lt_i32_e32 vcc, v11, v12
	s_and_saveexec_b64 s[24:25], vcc
	s_cbranch_execz .LBB22_327
; %bb.292:                              ;   in Loop: Header=BB22_289 Depth=2
	v_cmp_lt_i32_e32 vcc, 0, v10
                                        ; implicit-def: $sgpr12_sgpr13
	s_and_saveexec_b64 s[14:15], vcc
	s_xor_b64 s[42:43], exec, s[14:15]
	s_cbranch_execz .LBB22_320
; %bb.293:                              ;   in Loop: Header=BB22_289 Depth=2
	v_cmp_lt_i32_e32 vcc, 1, v10
                                        ; implicit-def: $sgpr44_sgpr45
	s_and_saveexec_b64 s[12:13], vcc
	s_xor_b64 s[16:17], exec, s[12:13]
	s_cbranch_execz .LBB22_305
; %bb.294:                              ;   in Loop: Header=BB22_289 Depth=2
	v_cmp_eq_u32_e32 vcc, 2, v10
	s_mov_b64 s[12:13], 0
	s_and_saveexec_b64 s[18:19], vcc
	s_cbranch_execz .LBB22_304
; %bb.295:                              ;   in Loop: Header=BB22_289 Depth=2
	scratch_load_dword v2, off, s32 offset:116
	scratch_load_dwordx2 v[0:1], off, s32 offset:140
	v_sub_u32_e32 v8, 0, v11
	v_max_i32_e32 v16, v11, v8
	v_lshlrev_b32_e32 v6, 1, v11
	v_ashrrev_i32_e32 v9, 31, v11
	v_or_b32_e32 v14, 1, v6
                                        ; implicit-def: $sgpr12_sgpr13
	s_waitcnt vmcnt(1)
	v_sub_u32_e32 v3, 0, v2
	v_max_i32_e32 v3, v2, v3
	v_cvt_f32_u32_e32 v7, v3
	s_waitcnt vmcnt(0)
	v_mul_lo_u32 v8, v0, v1
	v_rcp_iflag_f32_e32 v15, v7
	v_ashrrev_i32_e32 v7, 31, v2
	v_mul_f32_e32 v0, 0x4f7ffffe, v15
	v_cvt_u32_f32_e32 v1, v0
	v_mul_lo_u32 v0, v8, v14
	v_xor_b32_e32 v14, v9, v7
	v_sub_u32_e32 v9, 0, v3
	v_mul_lo_u32 v9, v9, v1
	v_mul_hi_u32 v9, v1, v9
	v_add_u32_e32 v9, v1, v9
	v_mul_hi_u32 v1, v16, v9
	v_mul_lo_u32 v15, v1, v3
	v_sub_u32_e32 v15, v16, v15
	v_add_u32_e32 v17, 1, v1
	v_cmp_ge_u32_e32 vcc, v15, v3
	v_sub_u32_e32 v16, v15, v3
	s_nop 0
	v_cndmask_b32_e32 v1, v1, v17, vcc
	v_cndmask_b32_e32 v15, v15, v16, vcc
	v_add_u32_e32 v16, 1, v1
	v_cmp_ge_u32_e32 vcc, v15, v3
	s_nop 1
	v_cndmask_b32_e32 v1, v1, v16, vcc
	v_xor_b32_e32 v1, v1, v14
	v_sub_u32_e32 v1, v1, v14
	v_mul_lo_u32 v14, v1, v2
	v_sub_u32_e32 v15, v11, v14
	v_add_u32_e32 v14, -1, v2
	v_cmp_ne_u32_e32 vcc, v15, v14
                                        ; implicit-def: $vgpr14
	s_and_saveexec_b64 s[14:15], vcc
	s_xor_b64 s[14:15], exec, s[14:15]
	s_cbranch_execz .LBB22_297
; %bb.296:                              ;   in Loop: Header=BB22_289 Depth=2
	scratch_load_dword v14, off, s32 offset:108
	v_lshl_add_u32 v16, v8, 1, v0
	s_waitcnt vmcnt(0)
	v_cmp_ge_i32_e32 vcc, v16, v14
	s_and_b64 s[12:13], vcc, exec
.LBB22_297:                             ;   in Loop: Header=BB22_289 Depth=2
	s_andn2_saveexec_b64 s[14:15], s[14:15]
	s_cbranch_execz .LBB22_299
; %bb.298:                              ;   in Loop: Header=BB22_289 Depth=2
	scratch_load_dword v14, off, s32 offset:108
	s_or_b64 s[12:13], s[12:13], exec
.LBB22_299:                             ;   in Loop: Header=BB22_289 Depth=2
	s_or_b64 exec, exec, s[14:15]
	scratch_load_dword v18, off, s32 offset:112
	scratch_load_dword v19, off, s32 offset:104
	scratch_load_dwordx2 v[16:17], off, s32 offset:88
	s_waitcnt vmcnt(3)
	v_sub_u32_e32 v20, 0, v14
	v_max_i32_e32 v20, v14, v20
	v_cvt_f32_u32_e32 v21, v20
	v_cndmask_b32_e64 v22, 0, 1, s[12:13]
	v_mul_lo_u32 v15, v15, v13
	ds_write2_b32 v0, v32, v22 offset0:5 offset1:6
	ds_write2_b32 v0, v15, v1 offset0:3 offset1:4
	v_rcp_iflag_f32_e32 v21, v21
	v_sub_u32_e32 v1, 0, v20
	v_ffbl_b32_e32 v23, v0
	v_cmp_eq_u32_e64 s[12:13], 0, v8
	v_mul_f32_e32 v21, 0x4f7ffffe, v21
	v_cvt_u32_f32_e32 v21, v21
	v_cmp_ge_i32_e32 vcc, v0, v14
                                        ; implicit-def: $sgpr20_sgpr21
	v_mul_lo_u32 v1, v1, v21
	v_mul_hi_u32 v1, v21, v1
	v_add_u32_e32 v15, v21, v1
	s_waitcnt vmcnt(2)
	v_cndmask_b32_e64 v1, v23, v18, s[12:13]
	v_lshl_add_u32 v0, -1, v1, v0
	s_waitcnt vmcnt(1)
	v_add3_u32 v14, v0, v14, v19
	v_sub_u32_e32 v19, 0, v14
	v_ashrrev_i32_e32 v18, 31, v14
	v_max_i32_e32 v14, v14, v19
	v_mul_hi_u32 v15, v14, v15
	v_mul_lo_u32 v15, v15, v20
	v_sub_u32_e32 v14, v14, v15
	v_sub_u32_e32 v15, v14, v20
	v_cmp_ge_u32_e64 s[14:15], v14, v20
	v_cmp_ne_u32_e64 s[12:13], 0, v0
	v_ffbl_b32_e32 v0, v0
	v_cndmask_b32_e64 v14, v14, v15, s[14:15]
	v_sub_u32_e32 v15, v14, v20
	v_cmp_ge_u32_e64 s[14:15], v14, v20
	s_nop 1
	v_cndmask_b32_e64 v14, v14, v15, s[14:15]
	v_xor_b32_e32 v14, v14, v18
	v_sub_u32_e32 v14, v14, v18
	v_ashrrev_i32_e32 v18, 31, v14
	s_waitcnt vmcnt(0)
	v_mul_lo_u32 v17, v17, v14
	v_mad_u64_u32 v[14:15], s[14:15], v16, v14, v[4:5]
	v_mul_lo_u32 v16, v16, v18
	v_add3_u32 v15, v17, v15, v16
	ds_write2_b64 v0, v[0:1], v[14:15] offset1:6
	s_and_saveexec_b64 s[14:15], s[12:13]
	s_xor_b64 s[14:15], exec, s[14:15]
	s_cbranch_execz .LBB22_301
; %bb.300:                              ;   in Loop: Header=BB22_289 Depth=2
	v_mul_lo_u32 v1, v8, v6
	v_add_u32_e32 v0, 1, v0
	v_ashrrev_i32_e32 v0, v0, v1
	v_sub_u32_e32 v6, 0, v0
	v_ashrrev_i32_e32 v1, 31, v0
	v_max_i32_e32 v6, v0, v6
	v_xor_b32_e32 v1, v1, v7
	v_mul_hi_u32 v7, v6, v9
	v_mul_lo_u32 v8, v7, v3
	v_sub_u32_e32 v6, v6, v8
	v_add_u32_e32 v8, 1, v7
	v_cmp_ge_u32_e64 s[12:13], v6, v3
	s_and_b64 s[20:21], vcc, exec
	s_nop 0
	v_cndmask_b32_e64 v7, v7, v8, s[12:13]
	v_sub_u32_e32 v8, v6, v3
	v_cndmask_b32_e64 v6, v6, v8, s[12:13]
	v_add_u32_e32 v8, 1, v7
	v_cmp_ge_u32_e64 s[12:13], v6, v3
	s_nop 1
	v_cndmask_b32_e64 v3, v7, v8, s[12:13]
	v_xor_b32_e32 v3, v3, v1
	v_sub_u32_e32 v1, v3, v1
	v_mul_lo_u32 v2, v1, v2
	v_sub_u32_e32 v0, v0, v2
	v_mul_lo_u32 v0, v0, v13
	ds_write2_b32 v0, v0, v1 offset0:2 offset1:4
.LBB22_301:                             ;   in Loop: Header=BB22_289 Depth=2
	s_andn2_saveexec_b64 s[12:13], s[14:15]
	s_cbranch_execz .LBB22_303
; %bb.302:                              ;   in Loop: Header=BB22_289 Depth=2
	s_andn2_b64 s[14:15], s[20:21], exec
	s_and_b64 s[20:21], vcc, exec
	s_or_b64 s[20:21], s[14:15], s[20:21]
	ds_write_b32 v0, v46 offset:8
.LBB22_303:                             ;   in Loop: Header=BB22_289 Depth=2
	s_or_b64 exec, exec, s[12:13]
	s_and_b64 s[12:13], s[20:21], exec
.LBB22_304:                             ;   in Loop: Header=BB22_289 Depth=2
	s_or_b64 exec, exec, s[18:19]
	s_and_b64 s[44:45], s[12:13], exec
                                        ; implicit-def: $vgpr13
.LBB22_305:                             ;   in Loop: Header=BB22_289 Depth=2
	s_andn2_saveexec_b64 s[46:47], s[16:17]
	s_cbranch_execz .LBB22_319
; %bb.306:                              ;   in Loop: Header=BB22_289 Depth=2
	scratch_load_dword v6, off, s32 offset:140
	scratch_load_dwordx4 v[0:3], off, s32 offset:104
	scratch_load_dword v15, off, s32 offset:132
	scratch_load_dwordx2 v[8:9], off, s32 offset:88
	v_ashrrev_i32_e32 v7, 31, v11
	v_sub_u32_e32 v14, 0, v11
	v_max_i32_e32 v21, v11, v14
	s_waitcnt vmcnt(3)
	v_mul_lo_u32 v18, v6, v11
	s_waitcnt vmcnt(2)
	v_sub_u32_e32 v16, 0, v1
	v_ashrrev_i32_e32 v19, 31, v3
	v_max_i32_e32 v22, v1, v16
	v_xor_b32_e32 v23, v7, v19
	v_add_u32_e32 v7, v3, v19
	v_cvt_f32_u32_e32 v24, v22
	v_xor_b32_e32 v20, v7, v19
	v_cvt_f32_u32_e32 v26, v20
	s_waitcnt vmcnt(1)
	v_add_u32_e32 v14, v18, v15
	v_rcp_iflag_f32_e32 v24, v24
	v_ffbl_b32_e32 v16, v14
	v_rcp_iflag_f32_e32 v26, v26
	v_cmp_eq_u32_e32 vcc, 0, v14
	v_mul_f32_e32 v24, 0x4f7ffffe, v24
	v_cvt_u32_f32_e32 v24, v24
	v_cndmask_b32_e32 v7, v16, v2, vcc
	v_lshlrev_b32_e64 v2, v7, -1
	v_mul_f32_e32 v26, 0x4f7ffffe, v26
	v_add_u32_e32 v16, v2, v14
	v_cvt_u32_f32_e32 v26, v26
	v_add3_u32 v0, v0, v1, v16
	v_sub_u32_e32 v25, 0, v22
	v_sub_u32_e32 v29, 0, v0
	;; [unrolled: 1-line block ×3, first 2 shown]
	v_ashrrev_i32_e32 v28, 31, v0
	v_max_i32_e32 v29, v0, v29
	v_mul_lo_u32 v0, v25, v24
	v_mul_hi_u32 v0, v24, v0
	v_mul_lo_u32 v25, v27, v26
	v_add_u32_e32 v0, v24, v0
	v_mul_hi_u32 v24, v26, v25
	v_mul_hi_u32 v25, v29, v0
	v_add_u32_e32 v0, v26, v24
	v_mul_lo_u32 v24, v25, v22
	v_mul_hi_u32 v25, v21, v0
	v_sub_u32_e32 v24, v29, v24
	v_mul_lo_u32 v26, v25, v20
	v_sub_u32_e32 v29, v24, v22
	v_sub_u32_e32 v21, v21, v26
	v_cmp_ge_u32_e32 vcc, v24, v22
	v_add_u32_e32 v27, 1, v25
	v_sub_u32_e32 v26, v21, v20
	v_cndmask_b32_e32 v24, v24, v29, vcc
	v_cmp_ge_u32_e32 vcc, v21, v20
	v_add_u32_e32 v17, -1, v3
	v_add_u32_e32 v6, v14, v6
	v_cndmask_b32_e32 v25, v25, v27, vcc
	v_sub_u32_e32 v27, v24, v22
	v_cndmask_b32_e32 v21, v21, v26, vcc
	v_cmp_ge_u32_e32 vcc, v24, v22
	v_add_u32_e32 v26, 1, v25
	v_cmp_ge_i32_e64 s[14:15], v6, v1
	v_cndmask_b32_e32 v22, v24, v27, vcc
	v_cmp_ge_u32_e32 vcc, v21, v20
	v_xor_b32_e32 v22, v22, v28
	v_sub_u32_e32 v22, v22, v28
	v_cndmask_b32_e32 v21, v25, v26, vcc
	v_xor_b32_e32 v21, v21, v23
	v_sub_u32_e32 v21, v21, v23
	v_mul_lo_u32 v26, v21, v3
	v_cmp_eq_u32_e32 vcc, 0, v7
	v_ashrrev_i32_e32 v25, 31, v22
	s_waitcnt vmcnt(0)
	v_mul_lo_u32 v9, v9, v22
	v_mad_u64_u32 v[22:23], s[20:21], v8, v22, v[4:5]
	v_cndmask_b32_e64 v24, v21, 0, vcc
	v_sub_u32_e32 v21, v11, v26
	v_cmp_eq_u32_e64 s[20:21], v21, v17
	v_cmp_gt_i32_e64 s[16:17], v6, v1
	v_mul_lo_u32 v8, v8, v25
	s_or_b64 s[14:15], s[20:21], s[14:15]
	v_add3_u32 v23, v9, v23, v8
	v_mul_lo_u32 v8, v21, v13
	v_cndmask_b32_e64 v21, 0, 1, s[14:15]
	s_or_b64 s[14:15], s[20:21], s[16:17]
	s_and_b64 s[14:15], vcc, s[14:15]
	v_cmp_ne_u32_e64 s[12:13], 0, v7
	v_cmp_ne_u32_e64 s[18:19], 0, v16
	v_ffbl_b32_e32 v6, v16
	v_mov_b32_e32 v9, v8
	v_cndmask_b32_e64 v25, 0, 1, s[14:15]
	ds_write_b64 v0, v[22:23] offset:48
	ds_write2_b64 v0, v[6:7], v[8:9] offset1:1
	ds_write_b32 v0, v21 offset:24
	ds_write_b64 v0, v[24:25] offset:16
	s_and_saveexec_b64 s[14:15], s[18:19]
	s_xor_b64 s[16:17], exec, s[14:15]
	s_cbranch_execz .LBB22_314
; %bb.307:                              ;   in Loop: Header=BB22_289 Depth=2
	v_sub_u32_e32 v7, 0, v15
	v_cmp_eq_u32_e64 s[14:15], v2, v7
	s_and_saveexec_b64 s[18:19], s[14:15]
	s_cbranch_execz .LBB22_313
; %bb.308:                              ;   in Loop: Header=BB22_289 Depth=2
	v_add_u32_e32 v2, 1, v6
	v_ashrrev_i32_e32 v7, v2, v18
	v_sub_u32_e32 v8, 0, v7
	v_max_i32_e32 v8, v7, v8
	v_mul_hi_u32 v0, v8, v0
	v_mul_lo_u32 v9, v0, v20
	v_sub_u32_e32 v8, v8, v9
	v_add_u32_e32 v9, 1, v0
	v_cmp_ge_u32_e64 s[14:15], v8, v20
	v_ashrrev_i32_e32 v2, 31, v7
	v_xor_b32_e32 v2, v2, v19
	v_cndmask_b32_e64 v0, v0, v9, s[14:15]
	v_sub_u32_e32 v9, v8, v20
	v_cndmask_b32_e64 v8, v8, v9, s[14:15]
	v_add_u32_e32 v9, 1, v0
	v_cmp_ge_u32_e64 s[14:15], v8, v20
	s_nop 1
	v_cndmask_b32_e64 v0, v0, v9, s[14:15]
	v_xor_b32_e32 v0, v0, v2
	v_sub_u32_e32 v2, v0, v2
	v_mul_lo_u32 v0, v2, v3
	v_sub_u32_e32 v0, v7, v0
	v_mul_lo_u32 v3, v0, v13
	ds_write_b32 v0, v3 offset:8
                                        ; implicit-def: $sgpr14
	s_and_saveexec_b64 s[20:21], s[12:13]
	s_xor_b64 s[12:13], exec, s[20:21]
; %bb.309:                              ;   in Loop: Header=BB22_289 Depth=2
	s_mov_b32 s14, 0
                                        ; implicit-def: $vgpr0
                                        ; implicit-def: $vgpr17
                                        ; implicit-def: $vgpr7
                                        ; implicit-def: $vgpr6
; %bb.310:                              ;   in Loop: Header=BB22_289 Depth=2
	s_or_saveexec_b64 s[20:21], s[12:13]
	v_mov_b32_e32 v3, s14
	s_xor_b64 exec, exec, s[20:21]
; %bb.311:                              ;   in Loop: Header=BB22_289 Depth=2
	v_cmp_eq_u32_e64 s[12:13], v0, v17
	v_lshlrev_b32_e32 v0, 1, v7
	v_add_lshl_u32 v0, v0, 3, v6
	v_cmp_ge_i32_e64 s[14:15], v0, v1
	s_or_b64 s[12:13], s[12:13], s[14:15]
	v_cndmask_b32_e64 v3, 0, 1, s[12:13]
	v_mov_b32_e32 v2, 0
; %bb.312:                              ;   in Loop: Header=BB22_289 Depth=2
	s_or_b64 exec, exec, s[20:21]
	ds_write_b64 v0, v[2:3] offset:16
.LBB22_313:                             ;   in Loop: Header=BB22_289 Depth=2
	s_or_b64 exec, exec, s[18:19]
.LBB22_314:                             ;   in Loop: Header=BB22_289 Depth=2
	s_andn2_saveexec_b64 s[12:13], s[16:17]
	s_cbranch_execz .LBB22_316
; %bb.315:                              ;   in Loop: Header=BB22_289 Depth=2
	ds_write2_b32 v0, v46, v32 offset0:2 offset1:5
.LBB22_316:                             ;   in Loop: Header=BB22_289 Depth=2
	s_or_b64 exec, exec, s[12:13]
	v_cmp_ge_i32_e64 s[14:15], v14, v1
	v_cmp_lt_i32_e64 s[12:13], v16, v1
	s_and_b64 s[12:13], s[14:15], s[12:13]
	s_and_b64 s[16:17], vcc, s[12:13]
	s_and_saveexec_b64 s[12:13], s[16:17]
	s_cbranch_execz .LBB22_318
; %bb.317:                              ;   in Loop: Header=BB22_289 Depth=2
	s_andn2_b64 s[14:15], s[14:15], exec
	ds_write2_b32 v0, v46, v46 offset0:1 offset1:3
	ds_write_b32 v0, v32 offset:24
.LBB22_318:                             ;   in Loop: Header=BB22_289 Depth=2
	s_or_b64 exec, exec, s[12:13]
	s_andn2_b64 s[12:13], s[44:45], exec
	s_and_b64 s[14:15], s[14:15], exec
	s_or_b64 s[44:45], s[12:13], s[14:15]
.LBB22_319:                             ;   in Loop: Header=BB22_289 Depth=2
	s_or_b64 exec, exec, s[46:47]
	s_and_b64 s[12:13], s[44:45], exec
                                        ; implicit-def: $vgpr13
.LBB22_320:                             ;   in Loop: Header=BB22_289 Depth=2
	s_andn2_saveexec_b64 s[14:15], s[42:43]
	s_cbranch_execz .LBB22_326
; %bb.321:                              ;   in Loop: Header=BB22_289 Depth=2
	v_cmp_eq_u32_e32 vcc, 0, v10
	s_mov_b64 s[18:19], 0
	s_and_saveexec_b64 s[16:17], vcc
	s_cbranch_execz .LBB22_325
; %bb.322:                              ;   in Loop: Header=BB22_289 Depth=2
	scratch_load_dword v8, off, s32 offset:140
	scratch_load_dword v6, off, s32 offset:132
	scratch_load_dwordx2 v[0:1], off, s32 offset:104
	scratch_load_dword v9, off, s32 offset:116
	scratch_load_dwordx2 v[2:3], off, s32 offset:88
	v_sub_u32_e32 v7, 0, v11
	v_max_i32_e32 v15, v11, v7
	v_mov_b32_e32 v33, v46
	v_ashrrev_i32_e32 v14, 31, v11
	s_waitcnt vmcnt(2)
	ds_write2_b32 v0, v46, v32 offset0:3 offset1:4
	ds_write_b64 v0, v[32:33]
	v_mad_u64_u32 v[6:7], s[18:19], v8, v11, v[6:7]
	v_sub_u32_e32 v7, 0, v1
	s_waitcnt vmcnt(1)
	v_sub_u32_e32 v16, 0, v9
	v_max_i32_e32 v7, v1, v7
	v_add_u32_e32 v17, -1, v9
	v_max_i32_e32 v9, v9, v16
	v_cvt_f32_u32_e32 v16, v7
	v_cvt_f32_u32_e32 v18, v9
	v_add_u32_e32 v0, v0, v6
	v_sub_u32_e32 v20, 0, v0
	v_rcp_iflag_f32_e32 v16, v16
	v_rcp_iflag_f32_e32 v18, v18
	v_sub_u32_e32 v21, 0, v7
	v_ashrrev_i32_e32 v19, 31, v0
	v_mul_f32_e32 v16, 0x4f7ffffe, v16
	v_mul_f32_e32 v18, 0x4f7ffffe, v18
	v_cvt_u32_f32_e32 v16, v16
	v_cvt_u32_f32_e32 v18, v18
	v_sub_u32_e32 v22, 0, v9
	v_max_i32_e32 v0, v0, v20
	v_mul_lo_u32 v20, v21, v16
	v_mul_lo_u32 v21, v22, v18
	v_mul_hi_u32 v20, v16, v20
	v_mul_hi_u32 v21, v18, v21
	v_add_u32_e32 v16, v16, v20
	v_add_u32_e32 v18, v18, v21
	v_mul_hi_u32 v16, v0, v16
	v_mul_hi_u32 v18, v15, v18
	v_mul_lo_u32 v16, v16, v7
	v_mul_lo_u32 v18, v18, v9
	v_sub_u32_e32 v0, v0, v16
	v_sub_u32_e32 v15, v15, v18
	;; [unrolled: 1-line block ×3, first 2 shown]
	v_cmp_ge_u32_e32 vcc, v0, v7
	v_sub_u32_e32 v18, v15, v9
	v_mov_b32_e32 v33, v32
	v_cndmask_b32_e32 v0, v0, v16, vcc
	v_cmp_ge_u32_e32 vcc, v15, v9
	v_sub_u32_e32 v16, v0, v7
	s_nop 0
	v_cndmask_b32_e32 v15, v15, v18, vcc
	v_cmp_ge_u32_e32 vcc, v0, v7
	v_sub_u32_e32 v18, v15, v9
	s_nop 0
	v_cndmask_b32_e32 v0, v0, v16, vcc
	v_cmp_ge_u32_e32 vcc, v15, v9
	v_xor_b32_e32 v0, v0, v19
	v_sub_u32_e32 v0, v0, v19
	v_cndmask_b32_e32 v7, v15, v18, vcc
	v_xor_b32_e32 v7, v7, v14
	v_ashrrev_i32_e32 v9, 31, v0
	v_sub_u32_e32 v7, v7, v14
	s_waitcnt vmcnt(0)
	v_mul_lo_u32 v3, v3, v0
	v_mad_u64_u32 v[14:15], s[18:19], v2, v0, v[4:5]
	v_mul_lo_u32 v2, v2, v9
	v_mul_lo_u32 v0, v7, v13
	v_add3_u32 v15, v3, v15, v2
	v_cmp_ne_u32_e32 vcc, v7, v17
	ds_write_b32 v0, v0 offset:8
	ds_write2_b64 v0, v[32:33], v[14:15] offset0:5 offset1:6
	v_mov_b32_e32 v0, 1
	s_and_saveexec_b64 s[18:19], vcc
; %bb.323:                              ;   in Loop: Header=BB22_289 Depth=2
	v_add_u32_e32 v0, v6, v8
	v_cmp_ge_i32_e32 vcc, v0, v1
	s_nop 1
	v_cndmask_b32_e64 v0, 0, 1, vcc
; %bb.324:                              ;   in Loop: Header=BB22_289 Depth=2
	s_or_b64 exec, exec, s[18:19]
	v_cmp_ge_i32_e32 vcc, v6, v1
	s_and_b64 s[18:19], vcc, exec
	ds_write2_b32 v0, v0, v32 offset0:5 offset1:6
.LBB22_325:                             ;   in Loop: Header=BB22_289 Depth=2
	s_or_b64 exec, exec, s[16:17]
	s_andn2_b64 s[12:13], s[12:13], exec
	s_and_b64 s[16:17], s[18:19], exec
	s_or_b64 s[12:13], s[12:13], s[16:17]
.LBB22_326:                             ;   in Loop: Header=BB22_289 Depth=2
	s_or_b64 exec, exec, s[14:15]
	s_orn2_b64 s[14:15], s[12:13], exec
.LBB22_327:                             ;   in Loop: Header=BB22_289 Depth=2
	s_or_b64 exec, exec, s[24:25]
	scratch_load_dword v0, off, s32 offset:124
	v_add_u32_e32 v1, 1, v11
	scratch_store_dword off, v1, s32 offset:136
                                        ; implicit-def: $sgpr18_sgpr19
	s_waitcnt vmcnt(1)
	v_max_i32_e32 v2, v12, v0
	v_cmp_le_i32_e32 vcc, v2, v1
	s_and_saveexec_b64 s[12:13], vcc
	s_xor_b64 s[16:17], exec, s[12:13]
	s_cbranch_execz .LBB22_384
; %bb.328:                              ;   in Loop: Header=BB22_289 Depth=2
	v_cmp_lt_i32_e32 vcc, 1, v10
                                        ; implicit-def: $vgpr2
	s_and_saveexec_b64 s[12:13], vcc
	s_xor_b64 s[12:13], exec, s[12:13]
	s_cbranch_execz .LBB22_332
; %bb.329:                              ;   in Loop: Header=BB22_289 Depth=2
	v_cmp_eq_u32_e32 vcc, 2, v10
	v_mov_b32_e32 v2, 1
	s_and_saveexec_b64 s[18:19], vcc
	s_cbranch_execz .LBB22_331
; %bb.330:                              ;   in Loop: Header=BB22_289 Depth=2
	scratch_load_dword v0, off, s32 offset:144
	s_waitcnt vmcnt(0)
	v_lshrrev_b32_e32 v1, 31, v0
	v_add_u32_e32 v2, 1, v0
	v_add_u32_e32 v0, v0, v1
	v_cmp_gt_u32_e32 vcc, 3, v2
	v_ashrrev_i32_e32 v0, 1, v0
	scratch_store_dword off, v0, s32 offset:144
	v_cndmask_b32_e64 v2, 2, 1, vcc
.LBB22_331:                             ;   in Loop: Header=BB22_289 Depth=2
	s_or_b64 exec, exec, s[18:19]
.LBB22_332:                             ;   in Loop: Header=BB22_289 Depth=2
	s_andn2_saveexec_b64 s[12:13], s[12:13]
	s_cbranch_execz .LBB22_336
; %bb.333:                              ;   in Loop: Header=BB22_289 Depth=2
	v_cmp_eq_u32_e32 vcc, 1, v10
	v_mov_b32_e32 v2, 1
	s_and_saveexec_b64 s[18:19], vcc
	s_cbranch_execz .LBB22_335
; %bb.334:                              ;   in Loop: Header=BB22_289 Depth=2
	scratch_load_dword v0, off, s32 offset:132
	s_waitcnt vmcnt(0)
	v_and_b32_e32 v0, 0x80000001, v0
	v_cmp_ne_u32_e32 vcc, 1, v0
	s_nop 1
	v_cndmask_b32_e64 v2, 0, 1, vcc
.LBB22_335:                             ;   in Loop: Header=BB22_289 Depth=2
	s_or_b64 exec, exec, s[18:19]
.LBB22_336:                             ;   in Loop: Header=BB22_289 Depth=2
	s_or_b64 exec, exec, s[12:13]
	v_cmp_eq_u32_e32 vcc, 0, v10
	v_cmp_ne_u32_e64 s[20:21], 0, v10
	s_mov_b64 s[12:13], -1
	scratch_store_dword off, v2, s32 offset:148
	s_and_saveexec_b64 s[18:19], s[20:21]
	s_cbranch_execz .LBB22_346
; %bb.337:                              ;   in Loop: Header=BB22_289 Depth=2
	v_cmp_eq_u32_e64 s[12:13], 1, v10
	s_mov_b64 s[42:43], 0
	s_and_saveexec_b64 s[24:25], s[12:13]
	s_cbranch_execz .LBB22_339
; %bb.338:                              ;   in Loop: Header=BB22_289 Depth=2
	scratch_load_dword v0, off, s32 offset:132
	s_waitcnt vmcnt(0)
	v_and_b32_e32 v0, 1, v0
	v_cmp_eq_u32_e64 s[12:13], 0, v0
	s_and_b64 s[42:43], s[12:13], exec
.LBB22_339:                             ;   in Loop: Header=BB22_289 Depth=2
	s_or_b64 exec, exec, s[24:25]
	s_orn2_b64 s[12:13], s[42:43], exec
	s_or_b64 exec, exec, s[18:19]
	s_and_saveexec_b64 s[18:19], s[12:13]
	s_cbranch_execnz .LBB22_347
.LBB22_340:                             ;   in Loop: Header=BB22_289 Depth=2
	s_or_b64 exec, exec, s[18:19]
	s_mov_b64 s[12:13], 0
	s_and_saveexec_b64 s[18:19], vcc
	s_cbranch_execz .LBB22_342
.LBB22_341:                             ;   in Loop: Header=BB22_289 Depth=2
	scratch_load_dword v0, off, s32 offset:140
	scratch_load_dword v1, off, s32 offset:132
	s_andn2_b64 s[20:21], s[20:21], exec
	s_mov_b64 s[12:13], exec
	s_waitcnt vmcnt(1)
	v_lshrrev_b32_e32 v3, 31, v0
	v_add_u32_e32 v0, v0, v3
	v_ashrrev_i32_e32 v0, 1, v0
	s_waitcnt vmcnt(0)
	v_cmp_ne_u32_e32 vcc, v1, v0
	s_and_b64 s[24:25], vcc, exec
	s_or_b64 s[20:21], s[20:21], s[24:25]
.LBB22_342:                             ;   in Loop: Header=BB22_289 Depth=2
	s_or_b64 exec, exec, s[18:19]
                                        ; implicit-def: $sgpr18_sgpr19
	s_and_saveexec_b64 s[24:25], s[20:21]
	s_xor_b64 s[20:21], exec, s[24:25]
	s_cbranch_execz .LBB22_356
; %bb.343:                              ;   in Loop: Header=BB22_289 Depth=2
	scratch_load_dword v0, off, s32 offset:128
	v_cmp_lt_u32_e32 vcc, 1, v2
	scratch_store_dword off, v32, s32 offset:136
	s_waitcnt vmcnt(1)
	scratch_store_dword off, v0, s32 offset:120
	s_and_saveexec_b64 s[18:19], vcc
	s_cbranch_execz .LBB22_345
; %bb.344:                              ;   in Loop: Header=BB22_289 Depth=2
	scratch_load_dword v1, off, s32 offset:144
	v_sub_u32_e32 v6, 0, v0
	v_max_i32_e32 v6, v0, v6
	s_waitcnt vmcnt(0)
	v_lshlrev_b32_e32 v1, 1, v1
	v_sub_u32_e32 v2, 0, v1
	v_max_i32_e32 v2, v1, v2
	v_cvt_f32_u32_e32 v3, v2
	v_xor_b32_e32 v0, v0, v1
	v_sub_u32_e32 v1, 0, v2
	v_ashrrev_i32_e32 v0, 31, v0
	v_rcp_iflag_f32_e32 v3, v3
	s_nop 0
	v_mul_f32_e32 v3, 0x4f7ffffe, v3
	v_cvt_u32_f32_e32 v3, v3
	v_mul_lo_u32 v1, v1, v3
	v_mul_hi_u32 v1, v3, v1
	v_add_u32_e32 v1, v3, v1
	v_mul_hi_u32 v1, v6, v1
	v_mul_lo_u32 v3, v1, v2
	v_sub_u32_e32 v3, v6, v3
	v_add_u32_e32 v7, 1, v1
	v_cmp_ge_u32_e32 vcc, v3, v2
	v_sub_u32_e32 v6, v3, v2
	s_nop 0
	v_cndmask_b32_e32 v1, v1, v7, vcc
	v_cndmask_b32_e32 v3, v3, v6, vcc
	v_add_u32_e32 v6, 1, v1
	v_cmp_ge_u32_e32 vcc, v3, v2
	s_nop 1
	v_cndmask_b32_e32 v1, v1, v6, vcc
	v_xor_b32_e32 v1, v1, v0
	v_sub_u32_e32 v0, v1, v0
	scratch_store_dword off, v0, s32 offset:120
.LBB22_345:                             ;   in Loop: Header=BB22_289 Depth=2
	s_or_b64 exec, exec, s[18:19]
	s_mov_b64 s[18:19], 0
	s_andn2_b64 s[12:13], s[12:13], exec
	s_or_b64 exec, exec, s[20:21]
	s_and_saveexec_b64 s[20:21], s[12:13]
	s_cbranch_execz .LBB22_383
	s_branch .LBB22_357
.LBB22_346:                             ;   in Loop: Header=BB22_289 Depth=2
	s_or_b64 exec, exec, s[18:19]
	s_and_saveexec_b64 s[18:19], s[12:13]
	s_cbranch_execz .LBB22_340
.LBB22_347:                             ;   in Loop: Header=BB22_289 Depth=2
	scratch_load_dwordx2 v[0:1], off, s32 offset:152
	s_waitcnt vmcnt(0)
	v_cmp_lt_i32_e64 s[12:13], 0, v0
	s_and_saveexec_b64 s[24:25], s[12:13]
	s_cbranch_execz .LBB22_377
; %bb.348:                              ;   in Loop: Header=BB22_289 Depth=2
	s_mov_b32 s50, 0
	s_mov_b64 s[42:43], 0
	s_mov_b32 s51, s68
	s_branch .LBB22_352
.LBB22_349:                             ;   in Loop: Header=BB22_352 Depth=3
	s_or_b64 exec, exec, s[48:49]
	v_add_u32_e32 v1, 1, v6
	scratch_store_dword off, v1, s51
.LBB22_350:                             ;   in Loop: Header=BB22_352 Depth=3
	s_or_b64 exec, exec, s[46:47]
	v_mov_b32_e32 v1, v3
.LBB22_351:                             ;   in Loop: Header=BB22_352 Depth=3
	s_or_b64 exec, exec, s[44:45]
	s_add_i32 s50, s50, 1
	s_add_i32 s51, s51, 4
	v_cmp_eq_u32_e64 s[12:13], s50, v0
	s_or_b64 s[42:43], s[12:13], s[42:43]
	s_andn2_b64 exec, exec, s[42:43]
	s_cbranch_execz .LBB22_376
.LBB22_352:                             ;   Parent Loop BB22_4 Depth=1
                                        ;     Parent Loop BB22_289 Depth=2
                                        ; =>    This Inner Loop Header: Depth=3
	s_add_i32 s52, s51, 0xffffff80
	scratch_load_dword v3, off, s52
	s_waitcnt vmcnt(0)
	v_add_u32_e32 v3, -1, v3
	v_cmp_eq_u32_e64 s[12:13], 0, v3
	scratch_store_dword off, v3, s52
	s_and_saveexec_b64 s[44:45], s[12:13]
	s_cbranch_execz .LBB22_351
; %bb.353:                              ;   in Loop: Header=BB22_352 Depth=3
	s_lshl_b32 s53, 1, s50
	v_xor_b32_e32 v3, s53, v1
	v_mov_b32_e32 v6, s53
	scratch_store_dword off, v3, s32 offset:156
	scratch_store_dword off, v6, s52
	v_and_b32_e32 v6, s53, v1
	v_cmp_ne_u32_e64 s[12:13], 0, v6
	s_and_saveexec_b64 s[46:47], s[12:13]
	s_cbranch_execz .LBB22_350
; %bb.354:                              ;   in Loop: Header=BB22_352 Depth=3
	scratch_load_dword v6, off, s51
	s_waitcnt vmcnt(0)
	v_ffbl_b32_e32 v7, v6
	v_cmp_eq_u32_e64 s[12:13], 0, v6
	s_nop 1
	v_cndmask_b32_e64 v7, v7, v0, s[12:13]
	v_add3_u32 v7, s53, -1, v7
	v_cmp_eq_u32_e64 s[12:13], 0, v7
	scratch_store_dword off, v7, s52
	s_and_saveexec_b64 s[48:49], s[12:13]
	s_cbranch_execz .LBB22_349
; %bb.355:                              ;   in Loop: Header=BB22_352 Depth=3
	v_mov_b32_e32 v3, s53
	scratch_store_dword off, v1, s32 offset:156
	scratch_store_dword off, v3, s52
	v_mov_b32_e32 v3, v1
	s_branch .LBB22_349
.LBB22_356:                             ;   in Loop: Header=BB22_289 Depth=2
	s_or_b64 exec, exec, s[20:21]
	s_and_saveexec_b64 s[20:21], s[12:13]
	s_cbranch_execz .LBB22_383
.LBB22_357:                             ;   in Loop: Header=BB22_289 Depth=2
	scratch_load_dword v0, off, s32 offset:96
	scratch_load_dwordx2 v[6:7], off, s32 offset:80
                                        ; implicit-def: $sgpr24_sgpr25
	s_waitcnt vmcnt(1)
	v_ashrrev_i32_e32 v1, 31, v0
	v_lshl_add_u64 v[4:5], v[4:5], 0, v[0:1]
	s_waitcnt vmcnt(0)
	v_cmp_le_u64_e32 vcc, v[6:7], v[4:5]
	scratch_store_dwordx2 off, v[4:5], s32 offset:72
	s_and_saveexec_b64 s[12:13], vcc
	s_xor_b64 s[12:13], exec, s[12:13]
	s_cbranch_execz .LBB22_359
; %bb.358:                              ;   in Loop: Header=BB22_289 Depth=2
	s_mov_b64 s[24:25], -1
	ds_write_b32 v0, v58 offset:32
                                        ; implicit-def: $vgpr6_vgpr7
                                        ; implicit-def: $vgpr4_vgpr5
                                        ; implicit-def: $vgpr0_vgpr1
.LBB22_359:                             ;   in Loop: Header=BB22_289 Depth=2
	s_andn2_saveexec_b64 s[42:43], s[12:13]
	s_cbranch_execz .LBB22_382
; %bb.360:                              ;   in Loop: Header=BB22_289 Depth=2
	scratch_load_dword v3, off, s32 offset:128
	scratch_load_dword v2, off, s32 offset:152
	v_sub_co_u32_e32 v4, vcc, v6, v4
	scratch_store_dword off, v32, s32 offset:156
	s_nop 0
	v_subb_co_u32_e32 v5, vcc, v7, v5, vcc
	v_cmp_lt_i64_e32 vcc, v[0:1], v[4:5]
	s_waitcnt vmcnt(2)
	v_add_u32_e32 v1, -2, v3
	v_cndmask_b32_e32 v0, v4, v0, vcc
	scratch_store_dword off, v0, s32 offset:100
	v_lshrrev_b32_e32 v0, 31, v3
	v_add_u32_e32 v0, v3, v0
	v_cmp_gt_u32_e32 vcc, -3, v1
	s_waitcnt vmcnt(2)
	v_cmp_lt_i32_e64 s[12:13], 0, v2
	v_ashrrev_i32_e32 v0, 1, v0
	v_cndmask_b32_e64 v1, 1, 2, vcc
	v_mov_b32_e32 v4, 0
	scratch_store_dwordx2 off, v[0:1], s32 offset:144
	s_and_saveexec_b64 s[44:45], s[12:13]
	s_cbranch_execz .LBB22_379
; %bb.361:                              ;   in Loop: Header=BB22_289 Depth=2
	v_cmp_ne_u32_e64 s[12:13], 1, v2
	s_mov_b64 s[48:49], -1
	v_mov_b32_e32 v4, 0
	s_and_saveexec_b64 s[46:47], s[12:13]
	s_cbranch_execz .LBB22_365
; %bb.362:                              ;   in Loop: Header=BB22_289 Depth=2
	v_and_b32_e32 v4, 0x7ffffffe, v2
	v_mov_b32_e32 v1, v2
	s_mov_b32 s50, 1
	s_mov_b32 s51, 0
	s_mov_b64 s[48:49], 0
	v_mov_b32_e32 v5, v4
	s_mov_b32 s52, s68
.LBB22_363:                             ;   Parent Loop BB22_4 Depth=1
                                        ;     Parent Loop BB22_289 Depth=2
                                        ; =>    This Inner Loop Header: Depth=3
	v_mov_b32_e32 v37, v36
	v_add_u32_e32 v5, -2, v5
	v_subrev_u32_e32 v7, s50, v1
	v_subrev_u32_e32 v6, s51, v2
	s_add_i32 s53, s52, 0xffffff80
	s_add_i32 s51, s51, 2
	;; [unrolled: 1-line block ×3, first 2 shown]
	scratch_store_dwordx2 off, v[36:37], s52
	s_add_i32 s52, s52, 8
	v_cmp_eq_u32_e64 s[12:13], 0, v5
	s_or_b64 s[48:49], s[12:13], s[48:49]
	scratch_store_dwordx2 off, v[6:7], s53
	s_andn2_b64 exec, exec, s[48:49]
	s_cbranch_execnz .LBB22_363
; %bb.364:                              ;   in Loop: Header=BB22_289 Depth=2
	s_or_b64 exec, exec, s[48:49]
	v_cmp_ne_u32_e64 s[12:13], v2, v4
	s_orn2_b64 s[48:49], s[12:13], exec
.LBB22_365:                             ;   in Loop: Header=BB22_289 Depth=2
	s_or_b64 exec, exec, s[46:47]
	s_and_saveexec_b64 s[46:47], s[48:49]
	s_cbranch_execz .LBB22_368
; %bb.366:                              ;   in Loop: Header=BB22_289 Depth=2
	v_lshl_add_u32 v1, v4, 2, s68
	v_sub_u32_e32 v4, v2, v4
	s_mov_b64 s[48:49], 0
.LBB22_367:                             ;   Parent Loop BB22_4 Depth=1
                                        ;     Parent Loop BB22_289 Depth=2
                                        ; =>    This Inner Loop Header: Depth=3
	v_add_u32_e32 v5, 0xffffff80, v1
	scratch_store_dword v1, v36, off
	scratch_store_dword v5, v4, off
	v_add_u32_e32 v4, -1, v4
	v_cmp_eq_u32_e64 s[12:13], 0, v4
	s_or_b64 s[48:49], s[12:13], s[48:49]
	v_add_u32_e32 v1, 4, v1
	s_andn2_b64 exec, exec, s[48:49]
	s_cbranch_execnz .LBB22_367
.LBB22_368:                             ;   in Loop: Header=BB22_289 Depth=2
	s_or_b64 exec, exec, s[46:47]
	s_mov_b32 s55, 0
	s_mov_b64 s[46:47], 0
	v_mov_b32_e32 v4, 0
	s_mov_b32 s56, s68
	s_branch .LBB22_372
.LBB22_369:                             ;   in Loop: Header=BB22_372 Depth=3
	s_or_b64 exec, exec, s[52:53]
	v_add_u32_e32 v4, 1, v5
	scratch_store_dword off, v4, s56
.LBB22_370:                             ;   in Loop: Header=BB22_372 Depth=3
	s_or_b64 exec, exec, s[50:51]
	v_mov_b32_e32 v4, v1
.LBB22_371:                             ;   in Loop: Header=BB22_372 Depth=3
	s_or_b64 exec, exec, s[48:49]
	s_add_i32 s55, s55, 1
	s_add_i32 s56, s56, 4
	v_cmp_eq_u32_e64 s[12:13], s55, v2
	s_or_b64 s[46:47], s[12:13], s[46:47]
	s_andn2_b64 exec, exec, s[46:47]
	s_cbranch_execz .LBB22_378
.LBB22_372:                             ;   Parent Loop BB22_4 Depth=1
                                        ;     Parent Loop BB22_289 Depth=2
                                        ; =>    This Inner Loop Header: Depth=3
	s_add_i32 s57, s56, 0xffffff80
	scratch_load_dword v1, off, s57
	s_waitcnt vmcnt(0)
	v_add_u32_e32 v1, -1, v1
	v_cmp_eq_u32_e64 s[12:13], 0, v1
	scratch_store_dword off, v1, s57
	s_and_saveexec_b64 s[48:49], s[12:13]
	s_cbranch_execz .LBB22_371
; %bb.373:                              ;   in Loop: Header=BB22_372 Depth=3
	s_lshl_b32 s58, 1, s55
	v_xor_b32_e32 v1, s58, v4
	v_mov_b32_e32 v5, s58
	scratch_store_dword off, v1, s32 offset:156
	scratch_store_dword off, v5, s57
	v_and_b32_e32 v5, s58, v4
	v_cmp_ne_u32_e64 s[12:13], 0, v5
	s_and_saveexec_b64 s[50:51], s[12:13]
	s_cbranch_execz .LBB22_370
; %bb.374:                              ;   in Loop: Header=BB22_372 Depth=3
	scratch_load_dword v5, off, s56
	s_waitcnt vmcnt(0)
	v_ffbl_b32_e32 v6, v5
	v_cmp_eq_u32_e64 s[12:13], 0, v5
	s_nop 1
	v_cndmask_b32_e64 v6, v6, v2, s[12:13]
	v_add3_u32 v6, s58, -1, v6
	v_cmp_eq_u32_e64 s[12:13], 0, v6
	scratch_store_dword off, v6, s57
	s_and_saveexec_b64 s[52:53], s[12:13]
	s_cbranch_execz .LBB22_369
; %bb.375:                              ;   in Loop: Header=BB22_372 Depth=3
	v_mov_b32_e32 v1, s58
	scratch_store_dword off, v4, s32 offset:156
	scratch_store_dword off, v1, s57
	v_mov_b32_e32 v1, v4
	s_branch .LBB22_369
.LBB22_376:                             ;   in Loop: Header=BB22_289 Depth=2
	s_or_b64 exec, exec, s[42:43]
.LBB22_377:                             ;   in Loop: Header=BB22_289 Depth=2
	s_or_b64 exec, exec, s[24:25]
	scratch_store_dword off, v1, s32 offset:132
	s_or_b64 exec, exec, s[18:19]
	s_mov_b64 s[12:13], 0
	s_and_saveexec_b64 s[18:19], vcc
	s_cbranch_execz .LBB22_342
	s_branch .LBB22_341
.LBB22_378:                             ;   in Loop: Header=BB22_289 Depth=2
	s_or_b64 exec, exec, s[46:47]
.LBB22_379:                             ;   in Loop: Header=BB22_289 Depth=2
	s_or_b64 exec, exec, s[44:45]
	v_mov_b32_e32 v5, v32
	scratch_store_dwordx2 off, v[4:5], s32 offset:132
	s_and_saveexec_b64 s[12:13], vcc
	s_cbranch_execz .LBB22_381
; %bb.380:                              ;   in Loop: Header=BB22_289 Depth=2
	v_ashrrev_i32_e32 v1, 31, v0
	v_lshl_add_u32 v0, v0, 1, v1
	v_xor_b32_e32 v0, v0, v1
	v_cvt_f32_u32_e32 v2, v0
	v_ashrrev_i32_e32 v4, 31, v3
	v_xor_b32_e32 v1, v4, v1
	v_sub_u32_e32 v4, 0, v0
	v_rcp_iflag_f32_e32 v2, v2
	v_sub_u32_e32 v5, 0, v3
	v_max_i32_e32 v3, v3, v5
	v_mul_f32_e32 v2, 0x4f7ffffe, v2
	v_cvt_u32_f32_e32 v2, v2
	v_mul_lo_u32 v4, v4, v2
	v_mul_hi_u32 v4, v2, v4
	v_add_u32_e32 v2, v2, v4
	v_mul_hi_u32 v2, v3, v2
	v_mul_lo_u32 v4, v2, v0
	v_sub_u32_e32 v3, v3, v4
	v_add_u32_e32 v5, 1, v2
	v_cmp_ge_u32_e32 vcc, v3, v0
	v_sub_u32_e32 v4, v3, v0
	s_nop 0
	v_cndmask_b32_e32 v2, v2, v5, vcc
	v_cndmask_b32_e32 v3, v3, v4, vcc
	v_add_u32_e32 v4, 1, v2
	v_cmp_ge_u32_e32 vcc, v3, v0
	s_nop 1
	v_cndmask_b32_e32 v0, v2, v4, vcc
	v_xor_b32_e32 v0, v0, v1
	v_sub_u32_e32 v3, v0, v1
.LBB22_381:                             ;   in Loop: Header=BB22_289 Depth=2
	s_or_b64 exec, exec, s[12:13]
	s_andn2_b64 s[24:25], s[24:25], exec
	scratch_store_dword off, v3, s32 offset:120
.LBB22_382:                             ;   in Loop: Header=BB22_289 Depth=2
	s_or_b64 exec, exec, s[42:43]
	s_andn2_b64 s[12:13], s[18:19], exec
	s_and_b64 s[18:19], s[24:25], exec
	s_or_b64 s[18:19], s[12:13], s[18:19]
.LBB22_383:                             ;   in Loop: Header=BB22_289 Depth=2
	s_or_b64 exec, exec, s[20:21]
	s_and_b64 s[18:19], s[18:19], exec
                                        ; implicit-def: $vgpr10
                                        ; implicit-def: $vgpr4_vgpr5
                                        ; implicit-def: $vgpr12
                                        ; implicit-def: $vgpr0
                                        ; implicit-def: $vgpr11
.LBB22_384:                             ;   in Loop: Header=BB22_289 Depth=2
	s_andn2_saveexec_b64 s[16:17], s[16:17]
	s_cbranch_execz .LBB22_288
; %bb.385:                              ;   in Loop: Header=BB22_289 Depth=2
	scratch_load_dword v1, off, s32 offset:132
	v_cmp_eq_u32_e32 vcc, 0, v10
	s_waitcnt vmcnt(0)
	v_cmp_eq_u32_e64 s[12:13], 1, v1
	s_and_b64 s[20:21], vcc, s[12:13]
	s_and_saveexec_b64 s[12:13], s[20:21]
	s_cbranch_execz .LBB22_287
; %bb.386:                              ;   in Loop: Header=BB22_289 Depth=2
	scratch_load_dword v2, off, s32 offset:96
	scratch_load_dwordx2 v[6:7], off, s32 offset:80
	s_waitcnt vmcnt(1)
	v_ashrrev_i32_e32 v3, 31, v2
	v_lshl_add_u64 v[2:3], v[4:5], 0, v[2:3]
	s_waitcnt vmcnt(0)
	v_cmp_ge_u64_e32 vcc, v[2:3], v[6:7]
	s_and_b64 exec, exec, vcc
	s_cbranch_execz .LBB22_287
; %bb.387:                              ;   in Loop: Header=BB22_289 Depth=2
	v_sub_u32_e32 v1, 0, v0
	v_max_i32_e32 v0, v0, v1
	v_cvt_f32_u32_e32 v1, v0
	v_sub_u32_e32 v5, 0, v0
	v_add_u32_e32 v2, -1, v12
	v_sub_u32_e32 v3, 1, v12
	v_rcp_iflag_f32_e32 v1, v1
	v_max_i32_e32 v3, v2, v3
	v_ashrrev_i32_e32 v4, 31, v2
	v_mul_f32_e32 v1, 0x4f7ffffe, v1
	v_cvt_u32_f32_e32 v1, v1
	v_mul_lo_u32 v5, v5, v1
	v_mul_hi_u32 v5, v1, v5
	v_add_u32_e32 v1, v1, v5
	v_mul_hi_u32 v1, v3, v1
	v_mul_lo_u32 v1, v1, v0
	v_sub_u32_e32 v1, v3, v1
	v_sub_u32_e32 v3, v1, v0
	v_cmp_ge_u32_e32 vcc, v1, v0
	s_nop 1
	v_cndmask_b32_e32 v1, v1, v3, vcc
	v_sub_u32_e32 v3, v1, v0
	v_cmp_ge_u32_e32 vcc, v1, v0
	s_nop 1
	v_cndmask_b32_e32 v0, v1, v3, vcc
	v_xor_b32_e32 v0, v0, v4
	v_sub_u32_e32 v0, v4, v0
	v_add_u32_e32 v0, v2, v0
	v_cmp_ge_i32_e32 vcc, v11, v0
	s_and_b64 exec, exec, vcc
	s_cbranch_execz .LBB22_287
; %bb.388:                              ;   in Loop: Header=BB22_289 Depth=2
	ds_write_b32 v0, v36 offset:32
	s_branch .LBB22_287
.LBB22_389:
	scratch_load_dword a35, off, s32        ; 4-byte Folded Reload
	scratch_load_dword a34, off, s32 offset:4 ; 4-byte Folded Reload
	scratch_load_dword a33, off, s32 offset:8 ; 4-byte Folded Reload
	;; [unrolled: 1-line block ×17, first 2 shown]
	v_readlane_b32 s30, v63, 39
	v_readlane_b32 s31, v63, 40
	;; [unrolled: 1-line block ×41, first 2 shown]
	v_accvgpr_read_b32 v40, a31             ;  Reload Reuse
	s_or_saveexec_b64 s[0:1], -1
	scratch_load_dword v63, off, s32 offset:416 ; 4-byte Folded Reload
	s_mov_b64 exec, s[0:1]
	s_waitcnt vmcnt(0)
	s_setpc_b64 s[30:31]
.Lfunc_end22:
	.size	_Z45ncclDevFunc_AllGather_PAT_SIMPLE_Sum_i8_0_0_4v, .Lfunc_end22-_Z45ncclDevFunc_AllGather_PAT_SIMPLE_Sum_i8_0_0_4v
                                        ; -- End function
	.section	.AMDGPU.csdata,"",@progbits
; Function info:
; codeLenInByte = 16468
; NumSgprs: 79
; NumVgprs: 64
; NumAgprs: 36
; TotalNumVgprs: 100
; ScratchSize: 424
; MemoryBound: 0
	.text
	.p2alignl 6, 3212836864
	.fill 256, 4, 3212836864
	.type	__const.__assert_fail.fmt,@object ; @__const.__assert_fail.fmt
	.section	.rodata.str1.16,"aMS",@progbits,1
	.p2align	4, 0x0
__const.__assert_fail.fmt:
	.asciz	"%s:%u: %s: Device-side assertion `%s' failed.\n"
	.size	__const.__assert_fail.fmt, 47

	.type	.str.1,@object                  ; @.str.1
	.section	.rodata.str1.1,"aMS",@progbits,1
.str.1:
	.asciz	"2*(nrecv+nsend) <= nthreads"
	.size	.str.1, 28

	.type	.str.2,@object                  ; @.str.2
.str.2:
	.asciz	"/root/src/amdgpu-assembly/repos/ROCm__rccl/hipify/src/device/prims_simple.h"
	.size	.str.2, 76

	.type	__const.Primitives.roles,@object ; @__const.Primitives.roles
	.section	.rodata,"a",@progbits
	.p2align	4, 0x0
__const.Primitives.roles:
	.long	4                               ; 0x4
	.long	32                              ; 0x20
	.long	8                               ; 0x8
	.long	16                              ; 0x10
	.long	3                               ; 0x3
	.size	__const.Primitives.roles, 20

	.type	__PRETTY_FUNCTION__._ZN10PrimitivesIa7FuncSumIaE12FanSymmetricILi1EELi0E11ProtoSimpleILi1ELi4ELi0ELi1ELi0ELi0EELi0ELb0ELi0ELi0ELi0EEC2EiiPKiS8_PKvPvmhhhP15ncclDevWorkCollP14ncclDevWorkP2pii,@object ; @__PRETTY_FUNCTION__._ZN10PrimitivesIa7FuncSumIaE12FanSymmetricILi1EELi0E11ProtoSimpleILi1ELi4ELi0ELi1ELi0ELi0EELi0ELb0ELi0ELi0ELi0EEC2EiiPKiS8_PKvPvmhhhP15ncclDevWorkCollP14ncclDevWorkP2pii
	.section	.rodata.str1.1,"aMS",@progbits,1
__PRETTY_FUNCTION__._ZN10PrimitivesIa7FuncSumIaE12FanSymmetricILi1EELi0E11ProtoSimpleILi1ELi4ELi0ELi1ELi0ELi0EELi0ELb0ELi0ELi0ELi0EEC2EiiPKiS8_PKvPvmhhhP15ncclDevWorkCollP14ncclDevWorkP2pii:
	.asciz	"Primitives<signed char, FuncSum<signed char>, FanSymmetric<1>, 0, ProtoSimple<1, 4, 0, 1>, 0>::Primitives(int, int, const int *, const int *, const void *, void *, uint64_t, uint8_t, uint8_t, uint8_t, struct ncclDevWorkColl *, struct ncclDevWorkP2p *, int, int) [T = signed char, RedOp = FuncSum<signed char>, Fan = FanSymmetric<1>, Direct = 0, Proto = ProtoSimple<1, 4, 0, 1>, P2p = 0, isNetOffload = false, Metadata = 0, Pipeline = 0, useAcc = 0]"
	.size	__PRETTY_FUNCTION__._ZN10PrimitivesIa7FuncSumIaE12FanSymmetricILi1EELi0E11ProtoSimpleILi1ELi4ELi0ELi1ELi0ELi0EELi0ELb0ELi0ELi0ELi0EEC2EiiPKiS8_PKvPvmhhhP15ncclDevWorkCollP14ncclDevWorkP2pii, 449

	.type	__PRETTY_FUNCTION__._ZN10PrimitivesIa7FuncSumIaE12FanSymmetricILi1EELi0E11ProtoSimpleILi2ELi2ELi0ELi1ELi0ELi0EELi0ELb0ELi0ELi0ELi0EEC2EiiPKiS8_PKvPvmhhhP15ncclDevWorkCollP14ncclDevWorkP2pii,@object ; @__PRETTY_FUNCTION__._ZN10PrimitivesIa7FuncSumIaE12FanSymmetricILi1EELi0E11ProtoSimpleILi2ELi2ELi0ELi1ELi0ELi0EELi0ELb0ELi0ELi0ELi0EEC2EiiPKiS8_PKvPvmhhhP15ncclDevWorkCollP14ncclDevWorkP2pii
__PRETTY_FUNCTION__._ZN10PrimitivesIa7FuncSumIaE12FanSymmetricILi1EELi0E11ProtoSimpleILi2ELi2ELi0ELi1ELi0ELi0EELi0ELb0ELi0ELi0ELi0EEC2EiiPKiS8_PKvPvmhhhP15ncclDevWorkCollP14ncclDevWorkP2pii:
	.asciz	"Primitives<signed char, FuncSum<signed char>, FanSymmetric<1>, 0, ProtoSimple<2, 2, 0, 1>, 0>::Primitives(int, int, const int *, const int *, const void *, void *, uint64_t, uint8_t, uint8_t, uint8_t, struct ncclDevWorkColl *, struct ncclDevWorkP2p *, int, int) [T = signed char, RedOp = FuncSum<signed char>, Fan = FanSymmetric<1>, Direct = 0, Proto = ProtoSimple<2, 2, 0, 1>, P2p = 0, isNetOffload = false, Metadata = 0, Pipeline = 0, useAcc = 0]"
	.size	__PRETTY_FUNCTION__._ZN10PrimitivesIa7FuncSumIaE12FanSymmetricILi1EELi0E11ProtoSimpleILi2ELi2ELi0ELi1ELi0ELi0EELi0ELb0ELi0ELi0ELi0EEC2EiiPKiS8_PKvPvmhhhP15ncclDevWorkCollP14ncclDevWorkP2pii, 449

	.type	__const.Primitives.roles.6,@object ; @__const.Primitives.roles.6
	.section	.rodata,"a",@progbits
	.p2align	4, 0x0
__const.Primitives.roles.6:
	.long	4                               ; 0x4
	.long	32                              ; 0x20
	.long	8                               ; 0x8
	.long	16                              ; 0x10
	.long	3                               ; 0x3
	.size	__const.Primitives.roles.6, 20

	.type	__PRETTY_FUNCTION__._ZN10PrimitivesIa7FuncSumIaE12FanSymmetricILi1EELi0E11ProtoSimpleILi1ELi4ELi0ELi2ELi0ELi0EELi0ELb0ELi0ELi0ELi0EEC2EiiPKiS8_PKvPvmhhhP15ncclDevWorkCollP14ncclDevWorkP2pii,@object ; @__PRETTY_FUNCTION__._ZN10PrimitivesIa7FuncSumIaE12FanSymmetricILi1EELi0E11ProtoSimpleILi1ELi4ELi0ELi2ELi0ELi0EELi0ELb0ELi0ELi0ELi0EEC2EiiPKiS8_PKvPvmhhhP15ncclDevWorkCollP14ncclDevWorkP2pii
	.section	.rodata.str1.1,"aMS",@progbits,1
__PRETTY_FUNCTION__._ZN10PrimitivesIa7FuncSumIaE12FanSymmetricILi1EELi0E11ProtoSimpleILi1ELi4ELi0ELi2ELi0ELi0EELi0ELb0ELi0ELi0ELi0EEC2EiiPKiS8_PKvPvmhhhP15ncclDevWorkCollP14ncclDevWorkP2pii:
	.asciz	"Primitives<signed char, FuncSum<signed char>, FanSymmetric<1>, 0, ProtoSimple<1, 4, 0, 2>, 0>::Primitives(int, int, const int *, const int *, const void *, void *, uint64_t, uint8_t, uint8_t, uint8_t, struct ncclDevWorkColl *, struct ncclDevWorkP2p *, int, int) [T = signed char, RedOp = FuncSum<signed char>, Fan = FanSymmetric<1>, Direct = 0, Proto = ProtoSimple<1, 4, 0, 2>, P2p = 0, isNetOffload = false, Metadata = 0, Pipeline = 0, useAcc = 0]"
	.size	__PRETTY_FUNCTION__._ZN10PrimitivesIa7FuncSumIaE12FanSymmetricILi1EELi0E11ProtoSimpleILi1ELi4ELi0ELi2ELi0ELi0EELi0ELb0ELi0ELi0ELi0EEC2EiiPKiS8_PKvPvmhhhP15ncclDevWorkCollP14ncclDevWorkP2pii, 449

	.type	__PRETTY_FUNCTION__._ZN10PrimitivesIa7FuncSumIaE12FanSymmetricILi1EELi0E11ProtoSimpleILi2ELi2ELi0ELi2ELi0ELi0EELi0ELb0ELi0ELi0ELi0EEC2EiiPKiS8_PKvPvmhhhP15ncclDevWorkCollP14ncclDevWorkP2pii,@object ; @__PRETTY_FUNCTION__._ZN10PrimitivesIa7FuncSumIaE12FanSymmetricILi1EELi0E11ProtoSimpleILi2ELi2ELi0ELi2ELi0ELi0EELi0ELb0ELi0ELi0ELi0EEC2EiiPKiS8_PKvPvmhhhP15ncclDevWorkCollP14ncclDevWorkP2pii
__PRETTY_FUNCTION__._ZN10PrimitivesIa7FuncSumIaE12FanSymmetricILi1EELi0E11ProtoSimpleILi2ELi2ELi0ELi2ELi0ELi0EELi0ELb0ELi0ELi0ELi0EEC2EiiPKiS8_PKvPvmhhhP15ncclDevWorkCollP14ncclDevWorkP2pii:
	.asciz	"Primitives<signed char, FuncSum<signed char>, FanSymmetric<1>, 0, ProtoSimple<2, 2, 0, 2>, 0>::Primitives(int, int, const int *, const int *, const void *, void *, uint64_t, uint8_t, uint8_t, uint8_t, struct ncclDevWorkColl *, struct ncclDevWorkP2p *, int, int) [T = signed char, RedOp = FuncSum<signed char>, Fan = FanSymmetric<1>, Direct = 0, Proto = ProtoSimple<2, 2, 0, 2>, P2p = 0, isNetOffload = false, Metadata = 0, Pipeline = 0, useAcc = 0]"
	.size	__PRETTY_FUNCTION__._ZN10PrimitivesIa7FuncSumIaE12FanSymmetricILi1EELi0E11ProtoSimpleILi2ELi2ELi0ELi2ELi0ELi0EELi0ELb0ELi0ELi0ELi0EEC2EiiPKiS8_PKvPvmhhhP15ncclDevWorkCollP14ncclDevWorkP2pii, 449

	.type	__const.Primitives.roles.9,@object ; @__const.Primitives.roles.9
	.section	.rodata,"a",@progbits
	.p2align	4, 0x0
__const.Primitives.roles.9:
	.long	4                               ; 0x4
	.long	32                              ; 0x20
	.long	8                               ; 0x8
	.long	16                              ; 0x10
	.long	3                               ; 0x3
	.size	__const.Primitives.roles.9, 20

	.type	__PRETTY_FUNCTION__._ZN10PrimitivesIa7FuncSumIaE12FanSymmetricILi1EELi0E11ProtoSimpleILi1ELi4ELi0ELi4ELi0ELi0EELi0ELb0ELi0ELi0ELi0EEC2EiiPKiS8_PKvPvmhhhP15ncclDevWorkCollP14ncclDevWorkP2pii,@object ; @__PRETTY_FUNCTION__._ZN10PrimitivesIa7FuncSumIaE12FanSymmetricILi1EELi0E11ProtoSimpleILi1ELi4ELi0ELi4ELi0ELi0EELi0ELb0ELi0ELi0ELi0EEC2EiiPKiS8_PKvPvmhhhP15ncclDevWorkCollP14ncclDevWorkP2pii
	.section	.rodata.str1.1,"aMS",@progbits,1
__PRETTY_FUNCTION__._ZN10PrimitivesIa7FuncSumIaE12FanSymmetricILi1EELi0E11ProtoSimpleILi1ELi4ELi0ELi4ELi0ELi0EELi0ELb0ELi0ELi0ELi0EEC2EiiPKiS8_PKvPvmhhhP15ncclDevWorkCollP14ncclDevWorkP2pii:
	.asciz	"Primitives<signed char, FuncSum<signed char>, FanSymmetric<1>, 0, ProtoSimple<1, 4, 0, 4>, 0>::Primitives(int, int, const int *, const int *, const void *, void *, uint64_t, uint8_t, uint8_t, uint8_t, struct ncclDevWorkColl *, struct ncclDevWorkP2p *, int, int) [T = signed char, RedOp = FuncSum<signed char>, Fan = FanSymmetric<1>, Direct = 0, Proto = ProtoSimple<1, 4, 0, 4>, P2p = 0, isNetOffload = false, Metadata = 0, Pipeline = 0, useAcc = 0]"
	.size	__PRETTY_FUNCTION__._ZN10PrimitivesIa7FuncSumIaE12FanSymmetricILi1EELi0E11ProtoSimpleILi1ELi4ELi0ELi4ELi0ELi0EELi0ELb0ELi0ELi0ELi0EEC2EiiPKiS8_PKvPvmhhhP15ncclDevWorkCollP14ncclDevWorkP2pii, 449

	.type	__PRETTY_FUNCTION__._ZN10PrimitivesIa7FuncSumIaE12FanSymmetricILi1EELi0E11ProtoSimpleILi2ELi2ELi0ELi4ELi0ELi0EELi0ELb0ELi0ELi0ELi0EEC2EiiPKiS8_PKvPvmhhhP15ncclDevWorkCollP14ncclDevWorkP2pii,@object ; @__PRETTY_FUNCTION__._ZN10PrimitivesIa7FuncSumIaE12FanSymmetricILi1EELi0E11ProtoSimpleILi2ELi2ELi0ELi4ELi0ELi0EELi0ELb0ELi0ELi0ELi0EEC2EiiPKiS8_PKvPvmhhhP15ncclDevWorkCollP14ncclDevWorkP2pii
__PRETTY_FUNCTION__._ZN10PrimitivesIa7FuncSumIaE12FanSymmetricILi1EELi0E11ProtoSimpleILi2ELi2ELi0ELi4ELi0ELi0EELi0ELb0ELi0ELi0ELi0EEC2EiiPKiS8_PKvPvmhhhP15ncclDevWorkCollP14ncclDevWorkP2pii:
	.asciz	"Primitives<signed char, FuncSum<signed char>, FanSymmetric<1>, 0, ProtoSimple<2, 2, 0, 4>, 0>::Primitives(int, int, const int *, const int *, const void *, void *, uint64_t, uint8_t, uint8_t, uint8_t, struct ncclDevWorkColl *, struct ncclDevWorkP2p *, int, int) [T = signed char, RedOp = FuncSum<signed char>, Fan = FanSymmetric<1>, Direct = 0, Proto = ProtoSimple<2, 2, 0, 4>, P2p = 0, isNetOffload = false, Metadata = 0, Pipeline = 0, useAcc = 0]"
	.size	__PRETTY_FUNCTION__._ZN10PrimitivesIa7FuncSumIaE12FanSymmetricILi1EELi0E11ProtoSimpleILi2ELi2ELi0ELi4ELi0ELi0EELi0ELb0ELi0ELi0ELi0EEC2EiiPKiS8_PKvPvmhhhP15ncclDevWorkCollP14ncclDevWorkP2pii, 449

	.type	__hip_cuid_edba61649d993e4a,@object ; @__hip_cuid_edba61649d993e4a
	.section	.bss,"aw",@nobits
	.globl	__hip_cuid_edba61649d993e4a
__hip_cuid_edba61649d993e4a:
	.byte	0                               ; 0x0
	.size	__hip_cuid_edba61649d993e4a, 1

	.ident	"AMD clang version 19.0.0git (https://github.com/RadeonOpenCompute/llvm-project roc-6.4.0 25133 c7fe45cf4b819c5991fe208aaa96edf142730f1d)"
	.section	".note.GNU-stack","",@progbits
	.addrsig
	.addrsig_sym _Z42ncclDevFunc_AllGather_RING_LL_Sum_i8_0_0_1v
	.addrsig_sym _Z46ncclDevFunc_AllGather_RING_SIMPLE_Sum_i8_0_0_1v
	.addrsig_sym _Z41ncclDevFunc_AllGather_PAT_LL_Sum_i8_0_0_1v
	.addrsig_sym _Z45ncclDevFunc_AllGather_PAT_SIMPLE_Sum_i8_0_0_1v
	.addrsig_sym _Z42ncclDevFunc_AllGather_RING_LL_Sum_i8_0_0_2v
	.addrsig_sym _Z46ncclDevFunc_AllGather_RING_SIMPLE_Sum_i8_0_0_2v
	.addrsig_sym _Z41ncclDevFunc_AllGather_PAT_LL_Sum_i8_0_0_2v
	.addrsig_sym _Z45ncclDevFunc_AllGather_PAT_SIMPLE_Sum_i8_0_0_2v
	.addrsig_sym _Z42ncclDevFunc_AllGather_RING_LL_Sum_i8_0_0_4v
	.addrsig_sym _Z46ncclDevFunc_AllGather_RING_SIMPLE_Sum_i8_0_0_4v
	.addrsig_sym _Z41ncclDevFunc_AllGather_PAT_LL_Sum_i8_0_0_4v
	.addrsig_sym _Z45ncclDevFunc_AllGather_PAT_SIMPLE_Sum_i8_0_0_4v
	.addrsig_sym ncclShmem
	.addrsig_sym ncclShmemPerWarp
	.addrsig_sym __hip_cuid_edba61649d993e4a
	.amdgpu_metadata
---
amdhsa.kernels:  []
amdhsa.target:   amdgcn-amd-amdhsa--gfx942
amdhsa.version:
  - 1
  - 2
...

	.end_amdgpu_metadata
